;; amdgpu-corpus repo=pytorch/pytorch kind=compiled arch=gfx1100 opt=O3
	.text
	.amdgcn_target "amdgcn-amd-amdhsa--gfx1100"
	.amdhsa_code_object_version 6
	.section	.text._ZN2at6native29vectorized_elementwise_kernelILi16ENS0_11FillFunctorIhEESt5arrayIPcLm1EEEEviT0_T1_,"axG",@progbits,_ZN2at6native29vectorized_elementwise_kernelILi16ENS0_11FillFunctorIhEESt5arrayIPcLm1EEEEviT0_T1_,comdat
	.protected	_ZN2at6native29vectorized_elementwise_kernelILi16ENS0_11FillFunctorIhEESt5arrayIPcLm1EEEEviT0_T1_ ; -- Begin function _ZN2at6native29vectorized_elementwise_kernelILi16ENS0_11FillFunctorIhEESt5arrayIPcLm1EEEEviT0_T1_
	.globl	_ZN2at6native29vectorized_elementwise_kernelILi16ENS0_11FillFunctorIhEESt5arrayIPcLm1EEEEviT0_T1_
	.p2align	8
	.type	_ZN2at6native29vectorized_elementwise_kernelILi16ENS0_11FillFunctorIhEESt5arrayIPcLm1EEEEviT0_T1_,@function
_ZN2at6native29vectorized_elementwise_kernelILi16ENS0_11FillFunctorIhEESt5arrayIPcLm1EEEEviT0_T1_: ; @_ZN2at6native29vectorized_elementwise_kernelILi16ENS0_11FillFunctorIhEESt5arrayIPcLm1EEEEviT0_T1_
; %bb.0:
	s_load_b128 s[0:3], s[0:1], 0x0
	s_lshl_b32 s4, s15, 12
	s_waitcnt lgkmcnt(0)
	v_lshlrev_b16 v1, 8, s1
	v_and_b32_e64 v2, 0xff, s1
	s_sub_i32 s5, s0, s4
	s_mov_b32 s0, -1
	s_cmpk_gt_i32 s5, 0xfff
	s_cbranch_scc0 .LBB0_2
; %bb.1:
	v_or_b32_e32 v3, v2, v1
	s_ashr_i32 s0, s4, 31
	s_add_u32 s6, s2, s4
	s_addc_u32 s7, s3, s0
	s_mov_b32 s0, 0
	v_and_b32_e32 v4, 0xffff, v3
	v_lshlrev_b32_e32 v3, 16, v3
	s_delay_alu instid0(VALU_DEP_1) | instskip(NEXT) | instid1(VALU_DEP_1)
	v_or_b32_e32 v3, v4, v3
	v_dual_mov_b32 v4, v3 :: v_dual_lshlrev_b32 v7, 4, v0
	v_mov_b32_e32 v5, v3
	v_mov_b32_e32 v6, v3
	global_store_b128 v7, v[3:6], s[6:7]
.LBB0_2:
	s_and_not1_b32 vcc_lo, exec_lo, s0
	s_cbranch_vccnz .LBB0_20
; %bb.3:
	v_or_b32_e32 v3, v2, v1
	v_or_b32_e32 v4, 0x100, v0
	v_and_b32_e32 v5, 0xffff, v2
	v_or_b32_e32 v11, 0x900, v0
	v_or_b32_e32 v6, 0x200, v0
	v_and_b32_e32 v3, 0xffff, v3
	v_cmp_gt_i32_e64 s0, s5, v4
	v_lshlrev_b32_e32 v2, 16, v2
	v_or_b32_e32 v10, 0x400, v0
	v_perm_b32 v8, s1, 0, 0x3020104
	v_or_b32_e32 v15, 0xa00, v0
	v_cndmask_b32_e64 v9, v5, v3, s0
	v_cmp_gt_i32_e64 s0, s5, v11
	v_or_b32_e32 v12, 0x500, v0
	v_or_b32_e32 v13, 0x600, v0
	;; [unrolled: 1-line block ×4, first 2 shown]
	v_cndmask_b32_e64 v3, v5, v3, s0
	v_cmp_gt_i32_e64 s0, s5, v6
	v_or_b32_e32 v6, 0xc00, v0
	v_cmp_gt_i32_e32 vcc_lo, s5, v0
	s_delay_alu instid0(VALU_DEP_4) | instskip(NEXT) | instid1(VALU_DEP_4)
	v_or_b32_e32 v2, v3, v2
	v_cndmask_b32_e64 v5, v9, v14, s0
	v_cmp_gt_i32_e64 s0, s5, v10
	s_delay_alu instid0(VALU_DEP_2) | instskip(NEXT) | instid1(VALU_DEP_2)
	v_lshrrev_b32_e32 v10, 16, v5
	v_cndmask_b32_e64 v9, 0, v8, s0
	v_cmp_gt_i32_e64 s0, s5, v6
	s_delay_alu instid0(VALU_DEP_1) | instskip(SKIP_2) | instid1(VALU_DEP_3)
	v_cndmask_b32_e64 v6, 0, v8, s0
	v_cmp_gt_i32_e64 s0, s5, v15
	v_or_b32_e32 v8, 0xd00, v0
	v_perm_b32 v11, v6, s1, 0x7060004
	s_delay_alu instid0(VALU_DEP_3) | instskip(SKIP_3) | instid1(VALU_DEP_4)
	v_cndmask_b32_e64 v2, v3, v2, s0
	v_and_b32_e32 v3, 0xff, v10
	v_perm_b32 v10, v9, s1, 0x7060004
	v_cmp_gt_i32_e64 s0, s5, v12
	v_lshrrev_b32_e32 v14, 16, v2
	s_delay_alu instid0(VALU_DEP_4) | instskip(NEXT) | instid1(VALU_DEP_3)
	v_or_b32_e32 v3, v3, v1
	v_cndmask_b32_e64 v9, v9, v10, s0
	v_cmp_gt_i32_e64 s0, s5, v8
	s_delay_alu instid0(VALU_DEP_4) | instskip(NEXT) | instid1(VALU_DEP_4)
	v_and_b32_e32 v8, 0xff, v14
	v_lshlrev_b32_e32 v3, 16, v3
	v_or_b32_e32 v10, 0xe00, v0
	s_delay_alu instid0(VALU_DEP_4)
	v_cndmask_b32_e64 v6, v6, v11, s0
	v_perm_b32 v11, v9, s1, 0x7000504
	v_cmp_gt_i32_e64 s0, s5, v13
	v_and_or_b32 v3, 0xffff, v5, v3
	v_or_b32_e32 v1, v8, v1
	v_perm_b32 v12, v6, s1, 0x7000504
	s_delay_alu instid0(VALU_DEP_4) | instskip(SKIP_1) | instid1(VALU_DEP_4)
	v_cndmask_b32_e64 v8, v9, v11, s0
	v_cmp_gt_i32_e64 s0, s5, v7
	v_lshlrev_b32_e32 v1, 16, v1
	v_or_b32_e32 v9, 0xb00, v0
	s_delay_alu instid0(VALU_DEP_4) | instskip(NEXT) | instid1(VALU_DEP_4)
	v_perm_b32 v7, v8, s1, 0x60504
	v_cndmask_b32_e64 v5, v5, v3, s0
	v_or_b32_e32 v3, 0x700, v0
	v_cmp_gt_i32_e64 s0, s5, v10
	v_and_or_b32 v1, 0xffff, v2, v1
	v_or_b32_e32 v10, 0xf00, v0
	s_delay_alu instid0(VALU_DEP_3) | instskip(SKIP_1) | instid1(VALU_DEP_2)
	v_cndmask_b32_e64 v6, v6, v12, s0
	v_cmp_gt_i32_e64 s0, s5, v3
	v_perm_b32 v11, v6, s1, 0x60504
	s_delay_alu instid0(VALU_DEP_2) | instskip(SKIP_1) | instid1(VALU_DEP_1)
	v_cndmask_b32_e64 v3, v8, v7, s0
	v_cmp_gt_i32_e64 s0, s5, v9
	v_cndmask_b32_e64 v2, v2, v1, s0
	v_cmp_gt_i32_e64 s0, s5, v10
	s_delay_alu instid0(VALU_DEP_1)
	v_cndmask_b32_e64 v1, v6, v11, s0
	s_and_saveexec_b32 s0, vcc_lo
	s_cbranch_execnz .LBB0_21
; %bb.4:
	s_or_b32 exec_lo, exec_lo, s0
	s_delay_alu instid0(SALU_CYCLE_1)
	s_mov_b32 s0, exec_lo
	v_cmpx_gt_i32_e64 s5, v0
	s_cbranch_execnz .LBB0_22
.LBB0_5:
	s_or_b32 exec_lo, exec_lo, s0
	s_delay_alu instid0(SALU_CYCLE_1)
	s_mov_b32 s0, exec_lo
	v_cmpx_gt_i32_e64 s5, v0
	s_cbranch_execnz .LBB0_23
.LBB0_6:
	s_or_b32 exec_lo, exec_lo, s0
	s_delay_alu instid0(SALU_CYCLE_1)
	s_mov_b32 s0, exec_lo
	v_cmpx_gt_i32_e64 s5, v0
	s_cbranch_execnz .LBB0_24
.LBB0_7:
	s_or_b32 exec_lo, exec_lo, s0
	s_delay_alu instid0(SALU_CYCLE_1)
	s_mov_b32 s0, exec_lo
	v_cmpx_gt_i32_e64 s5, v0
	s_cbranch_execnz .LBB0_25
.LBB0_8:
	s_or_b32 exec_lo, exec_lo, s0
	s_delay_alu instid0(SALU_CYCLE_1)
	s_mov_b32 s0, exec_lo
	v_cmpx_gt_i32_e64 s5, v0
	s_cbranch_execnz .LBB0_26
.LBB0_9:
	s_or_b32 exec_lo, exec_lo, s0
	s_delay_alu instid0(SALU_CYCLE_1)
	s_mov_b32 s0, exec_lo
	v_cmpx_gt_i32_e64 s5, v0
	s_cbranch_execnz .LBB0_27
.LBB0_10:
	s_or_b32 exec_lo, exec_lo, s0
	s_delay_alu instid0(SALU_CYCLE_1)
	s_mov_b32 s0, exec_lo
	v_cmpx_gt_i32_e64 s5, v0
	s_cbranch_execnz .LBB0_28
.LBB0_11:
	s_or_b32 exec_lo, exec_lo, s0
	s_delay_alu instid0(SALU_CYCLE_1)
	s_mov_b32 s0, exec_lo
	v_cmpx_gt_i32_e64 s5, v0
	s_cbranch_execnz .LBB0_29
.LBB0_12:
	s_or_b32 exec_lo, exec_lo, s0
	s_delay_alu instid0(SALU_CYCLE_1)
	s_mov_b32 s0, exec_lo
	v_cmpx_gt_i32_e64 s5, v0
	s_cbranch_execnz .LBB0_30
.LBB0_13:
	s_or_b32 exec_lo, exec_lo, s0
	s_delay_alu instid0(SALU_CYCLE_1)
	s_mov_b32 s0, exec_lo
	v_cmpx_gt_i32_e64 s5, v0
	s_cbranch_execnz .LBB0_31
.LBB0_14:
	s_or_b32 exec_lo, exec_lo, s0
	s_delay_alu instid0(SALU_CYCLE_1)
	s_mov_b32 s0, exec_lo
	v_cmpx_gt_i32_e64 s5, v0
	s_cbranch_execnz .LBB0_32
.LBB0_15:
	s_or_b32 exec_lo, exec_lo, s0
	s_delay_alu instid0(SALU_CYCLE_1)
	s_mov_b32 s0, exec_lo
	v_cmpx_gt_i32_e64 s5, v0
	s_cbranch_execnz .LBB0_33
.LBB0_16:
	s_or_b32 exec_lo, exec_lo, s0
	s_delay_alu instid0(SALU_CYCLE_1)
	s_mov_b32 s0, exec_lo
	v_cmpx_gt_i32_e64 s5, v0
	s_cbranch_execnz .LBB0_34
.LBB0_17:
	s_or_b32 exec_lo, exec_lo, s0
	s_delay_alu instid0(SALU_CYCLE_1)
	s_mov_b32 s0, exec_lo
	v_cmpx_gt_i32_e64 s5, v0
	s_cbranch_execnz .LBB0_35
.LBB0_18:
	s_or_b32 exec_lo, exec_lo, s0
	s_delay_alu instid0(SALU_CYCLE_1)
	s_mov_b32 s0, exec_lo
	v_cmpx_gt_i32_e64 s5, v0
	s_cbranch_execz .LBB0_20
.LBB0_19:
	v_add_nc_u32_e32 v0, s4, v0
	v_lshrrev_b32_e32 v1, 24, v1
	global_store_b8 v0, v1, s[2:3]
.LBB0_20:
	s_nop 0
	s_sendmsg sendmsg(MSG_DEALLOC_VGPRS)
	s_endpgm
.LBB0_21:
	v_or_b32_e32 v6, s4, v0
	v_mov_b32_e32 v0, v4
	global_store_b8 v6, v5, s[2:3]
	s_or_b32 exec_lo, exec_lo, s0
	s_delay_alu instid0(SALU_CYCLE_1)
	s_mov_b32 s0, exec_lo
	v_cmpx_gt_i32_e64 s5, v0
	s_cbranch_execz .LBB0_5
.LBB0_22:
	v_add_nc_u32_e32 v4, s4, v0
	v_lshrrev_b32_e32 v6, 8, v5
	v_add_nc_u32_e32 v0, 0x100, v0
	global_store_b8 v4, v6, s[2:3]
	s_or_b32 exec_lo, exec_lo, s0
	s_delay_alu instid0(SALU_CYCLE_1)
	s_mov_b32 s0, exec_lo
	v_cmpx_gt_i32_e64 s5, v0
	s_cbranch_execz .LBB0_6
.LBB0_23:
	v_add_nc_u32_e32 v4, s4, v0
	v_add_nc_u32_e32 v0, 0x100, v0
	global_store_d16_hi_b8 v4, v5, s[2:3]
	s_or_b32 exec_lo, exec_lo, s0
	s_delay_alu instid0(SALU_CYCLE_1)
	s_mov_b32 s0, exec_lo
	v_cmpx_gt_i32_e64 s5, v0
	s_cbranch_execz .LBB0_7
.LBB0_24:
	v_add_nc_u32_e32 v4, s4, v0
	v_lshrrev_b32_e32 v5, 24, v5
	v_add_nc_u32_e32 v0, 0x100, v0
	global_store_b8 v4, v5, s[2:3]
	s_or_b32 exec_lo, exec_lo, s0
	s_delay_alu instid0(SALU_CYCLE_1)
	s_mov_b32 s0, exec_lo
	v_cmpx_gt_i32_e64 s5, v0
	s_cbranch_execz .LBB0_8
.LBB0_25:
	v_add_nc_u32_e32 v4, s4, v0
	v_add_nc_u32_e32 v0, 0x100, v0
	global_store_b8 v4, v3, s[2:3]
	s_or_b32 exec_lo, exec_lo, s0
	s_delay_alu instid0(SALU_CYCLE_1)
	s_mov_b32 s0, exec_lo
	v_cmpx_gt_i32_e64 s5, v0
	s_cbranch_execz .LBB0_9
.LBB0_26:
	v_add_nc_u32_e32 v4, s4, v0
	v_lshrrev_b32_e32 v5, 8, v3
	v_add_nc_u32_e32 v0, 0x100, v0
	global_store_b8 v4, v5, s[2:3]
	s_or_b32 exec_lo, exec_lo, s0
	s_delay_alu instid0(SALU_CYCLE_1)
	s_mov_b32 s0, exec_lo
	v_cmpx_gt_i32_e64 s5, v0
	s_cbranch_execz .LBB0_10
.LBB0_27:
	v_add_nc_u32_e32 v4, s4, v0
	v_add_nc_u32_e32 v0, 0x100, v0
	global_store_d16_hi_b8 v4, v3, s[2:3]
	s_or_b32 exec_lo, exec_lo, s0
	s_delay_alu instid0(SALU_CYCLE_1)
	s_mov_b32 s0, exec_lo
	v_cmpx_gt_i32_e64 s5, v0
	s_cbranch_execz .LBB0_11
.LBB0_28:
	v_add_nc_u32_e32 v4, s4, v0
	v_lshrrev_b32_e32 v3, 24, v3
	v_add_nc_u32_e32 v0, 0x100, v0
	global_store_b8 v4, v3, s[2:3]
	s_or_b32 exec_lo, exec_lo, s0
	s_delay_alu instid0(SALU_CYCLE_1)
	s_mov_b32 s0, exec_lo
	v_cmpx_gt_i32_e64 s5, v0
	s_cbranch_execz .LBB0_12
.LBB0_29:
	v_add_nc_u32_e32 v3, s4, v0
	v_add_nc_u32_e32 v0, 0x100, v0
	global_store_b8 v3, v2, s[2:3]
	s_or_b32 exec_lo, exec_lo, s0
	s_delay_alu instid0(SALU_CYCLE_1)
	s_mov_b32 s0, exec_lo
	v_cmpx_gt_i32_e64 s5, v0
	s_cbranch_execz .LBB0_13
.LBB0_30:
	v_add_nc_u32_e32 v3, s4, v0
	v_lshrrev_b32_e32 v4, 8, v2
	v_add_nc_u32_e32 v0, 0x100, v0
	global_store_b8 v3, v4, s[2:3]
	s_or_b32 exec_lo, exec_lo, s0
	s_delay_alu instid0(SALU_CYCLE_1)
	s_mov_b32 s0, exec_lo
	v_cmpx_gt_i32_e64 s5, v0
	s_cbranch_execz .LBB0_14
.LBB0_31:
	v_add_nc_u32_e32 v3, s4, v0
	v_add_nc_u32_e32 v0, 0x100, v0
	global_store_d16_hi_b8 v3, v2, s[2:3]
	s_or_b32 exec_lo, exec_lo, s0
	s_delay_alu instid0(SALU_CYCLE_1)
	s_mov_b32 s0, exec_lo
	v_cmpx_gt_i32_e64 s5, v0
	s_cbranch_execz .LBB0_15
.LBB0_32:
	v_add_nc_u32_e32 v3, s4, v0
	v_lshrrev_b32_e32 v2, 24, v2
	v_add_nc_u32_e32 v0, 0x100, v0
	global_store_b8 v3, v2, s[2:3]
	s_or_b32 exec_lo, exec_lo, s0
	s_delay_alu instid0(SALU_CYCLE_1)
	s_mov_b32 s0, exec_lo
	v_cmpx_gt_i32_e64 s5, v0
	s_cbranch_execz .LBB0_16
.LBB0_33:
	v_add_nc_u32_e32 v2, s4, v0
	v_add_nc_u32_e32 v0, 0x100, v0
	global_store_b8 v2, v1, s[2:3]
	s_or_b32 exec_lo, exec_lo, s0
	s_delay_alu instid0(SALU_CYCLE_1)
	s_mov_b32 s0, exec_lo
	v_cmpx_gt_i32_e64 s5, v0
	s_cbranch_execz .LBB0_17
.LBB0_34:
	v_add_nc_u32_e32 v2, s4, v0
	v_lshrrev_b32_e32 v3, 8, v1
	v_add_nc_u32_e32 v0, 0x100, v0
	global_store_b8 v2, v3, s[2:3]
	s_or_b32 exec_lo, exec_lo, s0
	s_delay_alu instid0(SALU_CYCLE_1)
	s_mov_b32 s0, exec_lo
	v_cmpx_gt_i32_e64 s5, v0
	s_cbranch_execz .LBB0_18
.LBB0_35:
	v_add_nc_u32_e32 v2, s4, v0
	v_add_nc_u32_e32 v0, 0x100, v0
	global_store_d16_hi_b8 v2, v1, s[2:3]
	s_or_b32 exec_lo, exec_lo, s0
	s_delay_alu instid0(SALU_CYCLE_1)
	s_mov_b32 s0, exec_lo
	v_cmpx_gt_i32_e64 s5, v0
	s_cbranch_execnz .LBB0_19
	s_branch .LBB0_20
	.section	.rodata,"a",@progbits
	.p2align	6, 0x0
	.amdhsa_kernel _ZN2at6native29vectorized_elementwise_kernelILi16ENS0_11FillFunctorIhEESt5arrayIPcLm1EEEEviT0_T1_
		.amdhsa_group_segment_fixed_size 0
		.amdhsa_private_segment_fixed_size 0
		.amdhsa_kernarg_size 16
		.amdhsa_user_sgpr_count 15
		.amdhsa_user_sgpr_dispatch_ptr 0
		.amdhsa_user_sgpr_queue_ptr 0
		.amdhsa_user_sgpr_kernarg_segment_ptr 1
		.amdhsa_user_sgpr_dispatch_id 0
		.amdhsa_user_sgpr_private_segment_size 0
		.amdhsa_wavefront_size32 1
		.amdhsa_uses_dynamic_stack 0
		.amdhsa_enable_private_segment 0
		.amdhsa_system_sgpr_workgroup_id_x 1
		.amdhsa_system_sgpr_workgroup_id_y 0
		.amdhsa_system_sgpr_workgroup_id_z 0
		.amdhsa_system_sgpr_workgroup_info 0
		.amdhsa_system_vgpr_workitem_id 0
		.amdhsa_next_free_vgpr 16
		.amdhsa_next_free_sgpr 16
		.amdhsa_reserve_vcc 1
		.amdhsa_float_round_mode_32 0
		.amdhsa_float_round_mode_16_64 0
		.amdhsa_float_denorm_mode_32 3
		.amdhsa_float_denorm_mode_16_64 3
		.amdhsa_dx10_clamp 1
		.amdhsa_ieee_mode 1
		.amdhsa_fp16_overflow 0
		.amdhsa_workgroup_processor_mode 1
		.amdhsa_memory_ordered 1
		.amdhsa_forward_progress 0
		.amdhsa_shared_vgpr_count 0
		.amdhsa_exception_fp_ieee_invalid_op 0
		.amdhsa_exception_fp_denorm_src 0
		.amdhsa_exception_fp_ieee_div_zero 0
		.amdhsa_exception_fp_ieee_overflow 0
		.amdhsa_exception_fp_ieee_underflow 0
		.amdhsa_exception_fp_ieee_inexact 0
		.amdhsa_exception_int_div_zero 0
	.end_amdhsa_kernel
	.section	.text._ZN2at6native29vectorized_elementwise_kernelILi16ENS0_11FillFunctorIhEESt5arrayIPcLm1EEEEviT0_T1_,"axG",@progbits,_ZN2at6native29vectorized_elementwise_kernelILi16ENS0_11FillFunctorIhEESt5arrayIPcLm1EEEEviT0_T1_,comdat
.Lfunc_end0:
	.size	_ZN2at6native29vectorized_elementwise_kernelILi16ENS0_11FillFunctorIhEESt5arrayIPcLm1EEEEviT0_T1_, .Lfunc_end0-_ZN2at6native29vectorized_elementwise_kernelILi16ENS0_11FillFunctorIhEESt5arrayIPcLm1EEEEviT0_T1_
                                        ; -- End function
	.section	.AMDGPU.csdata,"",@progbits
; Kernel info:
; codeLenInByte = 1776
; NumSgprs: 18
; NumVgprs: 16
; ScratchSize: 0
; MemoryBound: 0
; FloatMode: 240
; IeeeMode: 1
; LDSByteSize: 0 bytes/workgroup (compile time only)
; SGPRBlocks: 2
; VGPRBlocks: 1
; NumSGPRsForWavesPerEU: 18
; NumVGPRsForWavesPerEU: 16
; Occupancy: 16
; WaveLimiterHint : 0
; COMPUTE_PGM_RSRC2:SCRATCH_EN: 0
; COMPUTE_PGM_RSRC2:USER_SGPR: 15
; COMPUTE_PGM_RSRC2:TRAP_HANDLER: 0
; COMPUTE_PGM_RSRC2:TGID_X_EN: 1
; COMPUTE_PGM_RSRC2:TGID_Y_EN: 0
; COMPUTE_PGM_RSRC2:TGID_Z_EN: 0
; COMPUTE_PGM_RSRC2:TIDIG_COMP_CNT: 0
	.section	.text._ZN2at6native29vectorized_elementwise_kernelILi8ENS0_11FillFunctorIhEESt5arrayIPcLm1EEEEviT0_T1_,"axG",@progbits,_ZN2at6native29vectorized_elementwise_kernelILi8ENS0_11FillFunctorIhEESt5arrayIPcLm1EEEEviT0_T1_,comdat
	.protected	_ZN2at6native29vectorized_elementwise_kernelILi8ENS0_11FillFunctorIhEESt5arrayIPcLm1EEEEviT0_T1_ ; -- Begin function _ZN2at6native29vectorized_elementwise_kernelILi8ENS0_11FillFunctorIhEESt5arrayIPcLm1EEEEviT0_T1_
	.globl	_ZN2at6native29vectorized_elementwise_kernelILi8ENS0_11FillFunctorIhEESt5arrayIPcLm1EEEEviT0_T1_
	.p2align	8
	.type	_ZN2at6native29vectorized_elementwise_kernelILi8ENS0_11FillFunctorIhEESt5arrayIPcLm1EEEEviT0_T1_,@function
_ZN2at6native29vectorized_elementwise_kernelILi8ENS0_11FillFunctorIhEESt5arrayIPcLm1EEEEviT0_T1_: ; @_ZN2at6native29vectorized_elementwise_kernelILi8ENS0_11FillFunctorIhEESt5arrayIPcLm1EEEEviT0_T1_
; %bb.0:
	s_load_b128 s[0:3], s[0:1], 0x0
	s_lshl_b32 s4, s15, 12
	s_waitcnt lgkmcnt(0)
	s_sub_i32 s5, s0, s4
	s_mov_b32 s0, -1
	s_cmpk_gt_i32 s5, 0xfff
	s_cbranch_scc0 .LBB1_2
; %bb.1:
	s_ashr_i32 s0, s4, 31
	s_add_u32 s6, s2, s4
	s_addc_u32 s7, s3, s0
	s_and_b32 s0, s1, 0xff
	s_delay_alu instid0(SALU_CYCLE_1)
	s_mul_i32 s8, s0, 0x1010101
	s_mov_b32 s0, 0
	s_mov_b32 s9, s8
	v_mov_b32_e32 v1, s8
	v_dual_mov_b32 v2, s9 :: v_dual_lshlrev_b32 v3, 3, v0
	s_clause 0x1
	global_store_b64 v3, v[1:2], s[6:7]
	global_store_b64 v3, v[1:2], s[6:7] offset:2048
.LBB1_2:
	s_and_not1_b32 vcc_lo, exec_lo, s0
	s_cbranch_vccnz .LBB1_20
; %bb.3:
	v_lshlrev_b16 v1, 8, s1
	v_and_b32_e64 v2, 0xff, s1
	v_or_b32_e32 v4, 0x100, v0
	v_or_b32_e32 v11, 0x900, v0
	;; [unrolled: 1-line block ×5, first 2 shown]
	v_and_b32_e32 v7, 0xffff, v2
	v_cmp_gt_i32_e64 s0, s5, v4
	v_lshlrev_b32_e32 v2, 16, v2
	v_perm_b32 v8, s1, 0, 0x3020104
	v_and_b32_e32 v3, 0xffff, v3
	v_or_b32_e32 v12, 0x500, v0
	v_or_b32_e32 v13, 0x600, v0
	;; [unrolled: 1-line block ×4, first 2 shown]
	v_cndmask_b32_e64 v10, v7, v3, s0
	v_cmp_gt_i32_e64 s0, s5, v11
	v_cmp_gt_i32_e32 vcc_lo, s5, v0
	s_delay_alu instid0(VALU_DEP_3) | instskip(NEXT) | instid1(VALU_DEP_3)
	v_or_b32_e32 v15, v10, v2
	v_cndmask_b32_e64 v3, v7, v3, s0
	v_cmp_gt_i32_e64 s0, s5, v5
	v_or_b32_e32 v7, 0xa00, v0
	s_delay_alu instid0(VALU_DEP_3) | instskip(NEXT) | instid1(VALU_DEP_3)
	v_or_b32_e32 v2, v3, v2
	v_cndmask_b32_e64 v5, v10, v15, s0
	v_cmp_gt_i32_e64 s0, s5, v9
	v_or_b32_e32 v10, 0xc00, v0
	s_delay_alu instid0(VALU_DEP_3) | instskip(NEXT) | instid1(VALU_DEP_3)
	v_lshrrev_b32_e32 v11, 16, v5
	v_cndmask_b32_e64 v9, 0, v8, s0
	v_cmp_gt_i32_e64 s0, s5, v7
	s_delay_alu instid0(VALU_DEP_3) | instskip(NEXT) | instid1(VALU_DEP_2)
	v_and_b32_e32 v7, 0xff, v11
	v_cndmask_b32_e64 v2, v3, v2, s0
	v_cmp_gt_i32_e64 s0, s5, v10
	v_perm_b32 v10, v9, s1, 0x7060004
	s_delay_alu instid0(VALU_DEP_4) | instskip(NEXT) | instid1(VALU_DEP_4)
	v_or_b32_e32 v7, v7, v1
	v_lshrrev_b32_e32 v11, 16, v2
	s_delay_alu instid0(VALU_DEP_4) | instskip(SKIP_3) | instid1(VALU_DEP_4)
	v_cndmask_b32_e64 v3, 0, v8, s0
	v_or_b32_e32 v8, 0xd00, v0
	v_cmp_gt_i32_e64 s0, s5, v12
	v_lshlrev_b32_e32 v7, 16, v7
	v_perm_b32 v15, v3, s1, 0x7060004
	s_delay_alu instid0(VALU_DEP_3)
	v_cndmask_b32_e64 v9, v9, v10, s0
	v_cmp_gt_i32_e64 s0, s5, v8
	v_and_b32_e32 v10, 0xff, v11
	v_or_b32_e32 v8, 0xe00, v0
	v_and_or_b32 v7, 0xffff, v5, v7
	v_perm_b32 v11, v9, s1, 0x7000504
	v_cndmask_b32_e64 v3, v3, v15, s0
	v_cmp_gt_i32_e64 s0, s5, v13
	v_or_b32_e32 v1, v10, v1
	s_delay_alu instid0(VALU_DEP_3) | instskip(NEXT) | instid1(VALU_DEP_3)
	v_perm_b32 v10, v3, s1, 0x7000504
	v_cndmask_b32_e64 v9, v9, v11, s0
	v_cmp_gt_i32_e64 s0, s5, v6
	s_delay_alu instid0(VALU_DEP_4) | instskip(NEXT) | instid1(VALU_DEP_2)
	v_lshlrev_b32_e32 v1, 16, v1
	v_cndmask_b32_e64 v5, v5, v7, s0
	v_cmp_gt_i32_e64 s0, s5, v8
	v_or_b32_e32 v7, 0xb00, v0
	s_delay_alu instid0(VALU_DEP_4) | instskip(SKIP_1) | instid1(VALU_DEP_4)
	v_and_or_b32 v1, 0xffff, v2, v1
	v_or_b32_e32 v8, 0xf00, v0
	v_cndmask_b32_e64 v6, v3, v10, s0
	v_perm_b32 v3, v9, s1, 0x60504
	v_cmp_gt_i32_e64 s0, s5, v14
	s_delay_alu instid0(VALU_DEP_3) | instskip(NEXT) | instid1(VALU_DEP_2)
	v_perm_b32 v10, v6, s1, 0x60504
	v_cndmask_b32_e64 v3, v9, v3, s0
	v_cmp_gt_i32_e64 s0, s5, v7
	s_delay_alu instid0(VALU_DEP_1) | instskip(SKIP_1) | instid1(VALU_DEP_1)
	v_cndmask_b32_e64 v2, v2, v1, s0
	v_cmp_gt_i32_e64 s0, s5, v8
	v_cndmask_b32_e64 v1, v6, v10, s0
	s_and_saveexec_b32 s0, vcc_lo
	s_cbranch_execnz .LBB1_21
; %bb.4:
	s_or_b32 exec_lo, exec_lo, s0
	s_delay_alu instid0(SALU_CYCLE_1)
	s_mov_b32 s0, exec_lo
	v_cmpx_gt_i32_e64 s5, v0
	s_cbranch_execnz .LBB1_22
.LBB1_5:
	s_or_b32 exec_lo, exec_lo, s0
	s_delay_alu instid0(SALU_CYCLE_1)
	s_mov_b32 s0, exec_lo
	v_cmpx_gt_i32_e64 s5, v0
	s_cbranch_execnz .LBB1_23
.LBB1_6:
	s_or_b32 exec_lo, exec_lo, s0
	s_delay_alu instid0(SALU_CYCLE_1)
	s_mov_b32 s0, exec_lo
	v_cmpx_gt_i32_e64 s5, v0
	s_cbranch_execnz .LBB1_24
.LBB1_7:
	s_or_b32 exec_lo, exec_lo, s0
	s_delay_alu instid0(SALU_CYCLE_1)
	s_mov_b32 s0, exec_lo
	v_cmpx_gt_i32_e64 s5, v0
	s_cbranch_execnz .LBB1_25
.LBB1_8:
	s_or_b32 exec_lo, exec_lo, s0
	s_delay_alu instid0(SALU_CYCLE_1)
	s_mov_b32 s0, exec_lo
	v_cmpx_gt_i32_e64 s5, v0
	s_cbranch_execnz .LBB1_26
.LBB1_9:
	s_or_b32 exec_lo, exec_lo, s0
	s_delay_alu instid0(SALU_CYCLE_1)
	s_mov_b32 s0, exec_lo
	v_cmpx_gt_i32_e64 s5, v0
	s_cbranch_execnz .LBB1_27
.LBB1_10:
	s_or_b32 exec_lo, exec_lo, s0
	s_delay_alu instid0(SALU_CYCLE_1)
	s_mov_b32 s0, exec_lo
	v_cmpx_gt_i32_e64 s5, v0
	s_cbranch_execnz .LBB1_28
.LBB1_11:
	s_or_b32 exec_lo, exec_lo, s0
	s_delay_alu instid0(SALU_CYCLE_1)
	s_mov_b32 s0, exec_lo
	v_cmpx_gt_i32_e64 s5, v0
	s_cbranch_execnz .LBB1_29
.LBB1_12:
	s_or_b32 exec_lo, exec_lo, s0
	s_delay_alu instid0(SALU_CYCLE_1)
	s_mov_b32 s0, exec_lo
	v_cmpx_gt_i32_e64 s5, v0
	s_cbranch_execnz .LBB1_30
.LBB1_13:
	s_or_b32 exec_lo, exec_lo, s0
	s_delay_alu instid0(SALU_CYCLE_1)
	s_mov_b32 s0, exec_lo
	v_cmpx_gt_i32_e64 s5, v0
	s_cbranch_execnz .LBB1_31
.LBB1_14:
	s_or_b32 exec_lo, exec_lo, s0
	s_delay_alu instid0(SALU_CYCLE_1)
	s_mov_b32 s0, exec_lo
	v_cmpx_gt_i32_e64 s5, v0
	s_cbranch_execnz .LBB1_32
.LBB1_15:
	s_or_b32 exec_lo, exec_lo, s0
	s_delay_alu instid0(SALU_CYCLE_1)
	s_mov_b32 s0, exec_lo
	v_cmpx_gt_i32_e64 s5, v0
	s_cbranch_execnz .LBB1_33
.LBB1_16:
	s_or_b32 exec_lo, exec_lo, s0
	s_delay_alu instid0(SALU_CYCLE_1)
	s_mov_b32 s0, exec_lo
	v_cmpx_gt_i32_e64 s5, v0
	s_cbranch_execnz .LBB1_34
.LBB1_17:
	s_or_b32 exec_lo, exec_lo, s0
	s_delay_alu instid0(SALU_CYCLE_1)
	s_mov_b32 s0, exec_lo
	v_cmpx_gt_i32_e64 s5, v0
	s_cbranch_execnz .LBB1_35
.LBB1_18:
	s_or_b32 exec_lo, exec_lo, s0
	s_delay_alu instid0(SALU_CYCLE_1)
	s_mov_b32 s0, exec_lo
	v_cmpx_gt_i32_e64 s5, v0
	s_cbranch_execz .LBB1_20
.LBB1_19:
	v_add_nc_u32_e32 v0, s4, v0
	v_lshrrev_b32_e32 v1, 24, v1
	global_store_b8 v0, v1, s[2:3]
.LBB1_20:
	s_nop 0
	s_sendmsg sendmsg(MSG_DEALLOC_VGPRS)
	s_endpgm
.LBB1_21:
	v_or_b32_e32 v6, s4, v0
	v_mov_b32_e32 v0, v4
	global_store_b8 v6, v5, s[2:3]
	s_or_b32 exec_lo, exec_lo, s0
	s_delay_alu instid0(SALU_CYCLE_1)
	s_mov_b32 s0, exec_lo
	v_cmpx_gt_i32_e64 s5, v0
	s_cbranch_execz .LBB1_5
.LBB1_22:
	v_add_nc_u32_e32 v4, s4, v0
	v_lshrrev_b32_e32 v6, 8, v5
	v_add_nc_u32_e32 v0, 0x100, v0
	global_store_b8 v4, v6, s[2:3]
	s_or_b32 exec_lo, exec_lo, s0
	s_delay_alu instid0(SALU_CYCLE_1)
	s_mov_b32 s0, exec_lo
	v_cmpx_gt_i32_e64 s5, v0
	s_cbranch_execz .LBB1_6
.LBB1_23:
	v_add_nc_u32_e32 v4, s4, v0
	v_add_nc_u32_e32 v0, 0x100, v0
	global_store_d16_hi_b8 v4, v5, s[2:3]
	s_or_b32 exec_lo, exec_lo, s0
	s_delay_alu instid0(SALU_CYCLE_1)
	s_mov_b32 s0, exec_lo
	v_cmpx_gt_i32_e64 s5, v0
	s_cbranch_execz .LBB1_7
.LBB1_24:
	v_add_nc_u32_e32 v4, s4, v0
	v_lshrrev_b32_e32 v5, 24, v5
	v_add_nc_u32_e32 v0, 0x100, v0
	global_store_b8 v4, v5, s[2:3]
	s_or_b32 exec_lo, exec_lo, s0
	s_delay_alu instid0(SALU_CYCLE_1)
	s_mov_b32 s0, exec_lo
	v_cmpx_gt_i32_e64 s5, v0
	s_cbranch_execz .LBB1_8
.LBB1_25:
	v_add_nc_u32_e32 v4, s4, v0
	v_add_nc_u32_e32 v0, 0x100, v0
	global_store_b8 v4, v3, s[2:3]
	s_or_b32 exec_lo, exec_lo, s0
	s_delay_alu instid0(SALU_CYCLE_1)
	s_mov_b32 s0, exec_lo
	v_cmpx_gt_i32_e64 s5, v0
	s_cbranch_execz .LBB1_9
.LBB1_26:
	v_add_nc_u32_e32 v4, s4, v0
	v_lshrrev_b32_e32 v5, 8, v3
	v_add_nc_u32_e32 v0, 0x100, v0
	global_store_b8 v4, v5, s[2:3]
	s_or_b32 exec_lo, exec_lo, s0
	s_delay_alu instid0(SALU_CYCLE_1)
	s_mov_b32 s0, exec_lo
	v_cmpx_gt_i32_e64 s5, v0
	s_cbranch_execz .LBB1_10
.LBB1_27:
	v_add_nc_u32_e32 v4, s4, v0
	v_add_nc_u32_e32 v0, 0x100, v0
	global_store_d16_hi_b8 v4, v3, s[2:3]
	s_or_b32 exec_lo, exec_lo, s0
	s_delay_alu instid0(SALU_CYCLE_1)
	s_mov_b32 s0, exec_lo
	v_cmpx_gt_i32_e64 s5, v0
	s_cbranch_execz .LBB1_11
.LBB1_28:
	v_add_nc_u32_e32 v4, s4, v0
	v_lshrrev_b32_e32 v3, 24, v3
	v_add_nc_u32_e32 v0, 0x100, v0
	global_store_b8 v4, v3, s[2:3]
	s_or_b32 exec_lo, exec_lo, s0
	s_delay_alu instid0(SALU_CYCLE_1)
	s_mov_b32 s0, exec_lo
	v_cmpx_gt_i32_e64 s5, v0
	s_cbranch_execz .LBB1_12
.LBB1_29:
	v_add_nc_u32_e32 v3, s4, v0
	v_add_nc_u32_e32 v0, 0x100, v0
	global_store_b8 v3, v2, s[2:3]
	s_or_b32 exec_lo, exec_lo, s0
	s_delay_alu instid0(SALU_CYCLE_1)
	s_mov_b32 s0, exec_lo
	v_cmpx_gt_i32_e64 s5, v0
	s_cbranch_execz .LBB1_13
.LBB1_30:
	v_add_nc_u32_e32 v3, s4, v0
	v_lshrrev_b32_e32 v4, 8, v2
	v_add_nc_u32_e32 v0, 0x100, v0
	global_store_b8 v3, v4, s[2:3]
	s_or_b32 exec_lo, exec_lo, s0
	s_delay_alu instid0(SALU_CYCLE_1)
	s_mov_b32 s0, exec_lo
	v_cmpx_gt_i32_e64 s5, v0
	s_cbranch_execz .LBB1_14
.LBB1_31:
	v_add_nc_u32_e32 v3, s4, v0
	v_add_nc_u32_e32 v0, 0x100, v0
	global_store_d16_hi_b8 v3, v2, s[2:3]
	s_or_b32 exec_lo, exec_lo, s0
	s_delay_alu instid0(SALU_CYCLE_1)
	s_mov_b32 s0, exec_lo
	v_cmpx_gt_i32_e64 s5, v0
	s_cbranch_execz .LBB1_15
.LBB1_32:
	v_add_nc_u32_e32 v3, s4, v0
	v_lshrrev_b32_e32 v2, 24, v2
	v_add_nc_u32_e32 v0, 0x100, v0
	global_store_b8 v3, v2, s[2:3]
	s_or_b32 exec_lo, exec_lo, s0
	s_delay_alu instid0(SALU_CYCLE_1)
	s_mov_b32 s0, exec_lo
	v_cmpx_gt_i32_e64 s5, v0
	s_cbranch_execz .LBB1_16
.LBB1_33:
	v_add_nc_u32_e32 v2, s4, v0
	v_add_nc_u32_e32 v0, 0x100, v0
	global_store_b8 v2, v1, s[2:3]
	s_or_b32 exec_lo, exec_lo, s0
	s_delay_alu instid0(SALU_CYCLE_1)
	s_mov_b32 s0, exec_lo
	v_cmpx_gt_i32_e64 s5, v0
	s_cbranch_execz .LBB1_17
.LBB1_34:
	v_add_nc_u32_e32 v2, s4, v0
	v_lshrrev_b32_e32 v3, 8, v1
	v_add_nc_u32_e32 v0, 0x100, v0
	global_store_b8 v2, v3, s[2:3]
	s_or_b32 exec_lo, exec_lo, s0
	s_delay_alu instid0(SALU_CYCLE_1)
	s_mov_b32 s0, exec_lo
	v_cmpx_gt_i32_e64 s5, v0
	s_cbranch_execz .LBB1_18
.LBB1_35:
	v_add_nc_u32_e32 v2, s4, v0
	v_add_nc_u32_e32 v0, 0x100, v0
	global_store_d16_hi_b8 v2, v1, s[2:3]
	s_or_b32 exec_lo, exec_lo, s0
	s_delay_alu instid0(SALU_CYCLE_1)
	s_mov_b32 s0, exec_lo
	v_cmpx_gt_i32_e64 s5, v0
	s_cbranch_execnz .LBB1_19
	s_branch .LBB1_20
	.section	.rodata,"a",@progbits
	.p2align	6, 0x0
	.amdhsa_kernel _ZN2at6native29vectorized_elementwise_kernelILi8ENS0_11FillFunctorIhEESt5arrayIPcLm1EEEEviT0_T1_
		.amdhsa_group_segment_fixed_size 0
		.amdhsa_private_segment_fixed_size 0
		.amdhsa_kernarg_size 16
		.amdhsa_user_sgpr_count 15
		.amdhsa_user_sgpr_dispatch_ptr 0
		.amdhsa_user_sgpr_queue_ptr 0
		.amdhsa_user_sgpr_kernarg_segment_ptr 1
		.amdhsa_user_sgpr_dispatch_id 0
		.amdhsa_user_sgpr_private_segment_size 0
		.amdhsa_wavefront_size32 1
		.amdhsa_uses_dynamic_stack 0
		.amdhsa_enable_private_segment 0
		.amdhsa_system_sgpr_workgroup_id_x 1
		.amdhsa_system_sgpr_workgroup_id_y 0
		.amdhsa_system_sgpr_workgroup_id_z 0
		.amdhsa_system_sgpr_workgroup_info 0
		.amdhsa_system_vgpr_workitem_id 0
		.amdhsa_next_free_vgpr 16
		.amdhsa_next_free_sgpr 16
		.amdhsa_reserve_vcc 1
		.amdhsa_float_round_mode_32 0
		.amdhsa_float_round_mode_16_64 0
		.amdhsa_float_denorm_mode_32 3
		.amdhsa_float_denorm_mode_16_64 3
		.amdhsa_dx10_clamp 1
		.amdhsa_ieee_mode 1
		.amdhsa_fp16_overflow 0
		.amdhsa_workgroup_processor_mode 1
		.amdhsa_memory_ordered 1
		.amdhsa_forward_progress 0
		.amdhsa_shared_vgpr_count 0
		.amdhsa_exception_fp_ieee_invalid_op 0
		.amdhsa_exception_fp_denorm_src 0
		.amdhsa_exception_fp_ieee_div_zero 0
		.amdhsa_exception_fp_ieee_overflow 0
		.amdhsa_exception_fp_ieee_underflow 0
		.amdhsa_exception_fp_ieee_inexact 0
		.amdhsa_exception_int_div_zero 0
	.end_amdhsa_kernel
	.section	.text._ZN2at6native29vectorized_elementwise_kernelILi8ENS0_11FillFunctorIhEESt5arrayIPcLm1EEEEviT0_T1_,"axG",@progbits,_ZN2at6native29vectorized_elementwise_kernelILi8ENS0_11FillFunctorIhEESt5arrayIPcLm1EEEEviT0_T1_,comdat
.Lfunc_end1:
	.size	_ZN2at6native29vectorized_elementwise_kernelILi8ENS0_11FillFunctorIhEESt5arrayIPcLm1EEEEviT0_T1_, .Lfunc_end1-_ZN2at6native29vectorized_elementwise_kernelILi8ENS0_11FillFunctorIhEESt5arrayIPcLm1EEEEviT0_T1_
                                        ; -- End function
	.section	.AMDGPU.csdata,"",@progbits
; Kernel info:
; codeLenInByte = 1784
; NumSgprs: 18
; NumVgprs: 16
; ScratchSize: 0
; MemoryBound: 0
; FloatMode: 240
; IeeeMode: 1
; LDSByteSize: 0 bytes/workgroup (compile time only)
; SGPRBlocks: 2
; VGPRBlocks: 1
; NumSGPRsForWavesPerEU: 18
; NumVGPRsForWavesPerEU: 16
; Occupancy: 16
; WaveLimiterHint : 1
; COMPUTE_PGM_RSRC2:SCRATCH_EN: 0
; COMPUTE_PGM_RSRC2:USER_SGPR: 15
; COMPUTE_PGM_RSRC2:TRAP_HANDLER: 0
; COMPUTE_PGM_RSRC2:TGID_X_EN: 1
; COMPUTE_PGM_RSRC2:TGID_Y_EN: 0
; COMPUTE_PGM_RSRC2:TGID_Z_EN: 0
; COMPUTE_PGM_RSRC2:TIDIG_COMP_CNT: 0
	.section	.text._ZN2at6native29vectorized_elementwise_kernelILi4ENS0_11FillFunctorIhEESt5arrayIPcLm1EEEEviT0_T1_,"axG",@progbits,_ZN2at6native29vectorized_elementwise_kernelILi4ENS0_11FillFunctorIhEESt5arrayIPcLm1EEEEviT0_T1_,comdat
	.protected	_ZN2at6native29vectorized_elementwise_kernelILi4ENS0_11FillFunctorIhEESt5arrayIPcLm1EEEEviT0_T1_ ; -- Begin function _ZN2at6native29vectorized_elementwise_kernelILi4ENS0_11FillFunctorIhEESt5arrayIPcLm1EEEEviT0_T1_
	.globl	_ZN2at6native29vectorized_elementwise_kernelILi4ENS0_11FillFunctorIhEESt5arrayIPcLm1EEEEviT0_T1_
	.p2align	8
	.type	_ZN2at6native29vectorized_elementwise_kernelILi4ENS0_11FillFunctorIhEESt5arrayIPcLm1EEEEviT0_T1_,@function
_ZN2at6native29vectorized_elementwise_kernelILi4ENS0_11FillFunctorIhEESt5arrayIPcLm1EEEEviT0_T1_: ; @_ZN2at6native29vectorized_elementwise_kernelILi4ENS0_11FillFunctorIhEESt5arrayIPcLm1EEEEviT0_T1_
; %bb.0:
	s_load_b128 s[0:3], s[0:1], 0x0
	s_lshl_b32 s4, s15, 12
	s_waitcnt lgkmcnt(0)
	s_sub_i32 s5, s0, s4
	s_mov_b32 s0, -1
	s_cmpk_gt_i32 s5, 0xfff
	s_cbranch_scc0 .LBB2_2
; %bb.1:
	s_ashr_i32 s0, s4, 31
	s_add_u32 s6, s2, s4
	s_addc_u32 s7, s3, s0
	s_and_b32 s0, s1, 0xff
	s_delay_alu instid0(SALU_CYCLE_1) | instskip(NEXT) | instid1(SALU_CYCLE_1)
	s_mul_i32 s0, s0, 0x1010101
	v_dual_mov_b32 v2, s0 :: v_dual_lshlrev_b32 v1, 2, v0
	s_mov_b32 s0, 0
	s_clause 0x3
	global_store_b32 v1, v2, s[6:7]
	global_store_b32 v1, v2, s[6:7] offset:1024
	global_store_b32 v1, v2, s[6:7] offset:2048
	;; [unrolled: 1-line block ×3, first 2 shown]
.LBB2_2:
	s_and_not1_b32 vcc_lo, exec_lo, s0
	s_cbranch_vccnz .LBB2_20
; %bb.3:
	v_lshlrev_b16 v1, 8, s1
	v_and_b32_e64 v2, 0xff, s1
	v_or_b32_e32 v4, 0x100, v0
	v_or_b32_e32 v11, 0x900, v0
	;; [unrolled: 1-line block ×5, first 2 shown]
	v_and_b32_e32 v7, 0xffff, v2
	v_cmp_gt_i32_e64 s0, s5, v4
	v_lshlrev_b32_e32 v2, 16, v2
	v_perm_b32 v8, s1, 0, 0x3020104
	v_and_b32_e32 v3, 0xffff, v3
	v_or_b32_e32 v12, 0x500, v0
	v_or_b32_e32 v13, 0x600, v0
	v_or_b32_e32 v6, 0x300, v0
	v_or_b32_e32 v14, 0x700, v0
	v_cndmask_b32_e64 v10, v7, v3, s0
	v_cmp_gt_i32_e64 s0, s5, v11
	v_cmp_gt_i32_e32 vcc_lo, s5, v0
	s_delay_alu instid0(VALU_DEP_3) | instskip(NEXT) | instid1(VALU_DEP_3)
	v_or_b32_e32 v15, v10, v2
	v_cndmask_b32_e64 v3, v7, v3, s0
	v_cmp_gt_i32_e64 s0, s5, v5
	v_or_b32_e32 v7, 0xa00, v0
	s_delay_alu instid0(VALU_DEP_3) | instskip(NEXT) | instid1(VALU_DEP_3)
	v_or_b32_e32 v2, v3, v2
	v_cndmask_b32_e64 v5, v10, v15, s0
	v_cmp_gt_i32_e64 s0, s5, v9
	v_or_b32_e32 v10, 0xc00, v0
	s_delay_alu instid0(VALU_DEP_3) | instskip(NEXT) | instid1(VALU_DEP_3)
	v_lshrrev_b32_e32 v11, 16, v5
	v_cndmask_b32_e64 v9, 0, v8, s0
	v_cmp_gt_i32_e64 s0, s5, v7
	s_delay_alu instid0(VALU_DEP_3) | instskip(NEXT) | instid1(VALU_DEP_2)
	v_and_b32_e32 v7, 0xff, v11
	v_cndmask_b32_e64 v2, v3, v2, s0
	v_cmp_gt_i32_e64 s0, s5, v10
	v_perm_b32 v10, v9, s1, 0x7060004
	s_delay_alu instid0(VALU_DEP_4) | instskip(NEXT) | instid1(VALU_DEP_4)
	v_or_b32_e32 v7, v7, v1
	v_lshrrev_b32_e32 v11, 16, v2
	s_delay_alu instid0(VALU_DEP_4) | instskip(SKIP_3) | instid1(VALU_DEP_4)
	v_cndmask_b32_e64 v3, 0, v8, s0
	v_or_b32_e32 v8, 0xd00, v0
	v_cmp_gt_i32_e64 s0, s5, v12
	v_lshlrev_b32_e32 v7, 16, v7
	v_perm_b32 v15, v3, s1, 0x7060004
	s_delay_alu instid0(VALU_DEP_3)
	v_cndmask_b32_e64 v9, v9, v10, s0
	v_cmp_gt_i32_e64 s0, s5, v8
	v_and_b32_e32 v10, 0xff, v11
	v_or_b32_e32 v8, 0xe00, v0
	v_and_or_b32 v7, 0xffff, v5, v7
	v_perm_b32 v11, v9, s1, 0x7000504
	v_cndmask_b32_e64 v3, v3, v15, s0
	v_cmp_gt_i32_e64 s0, s5, v13
	v_or_b32_e32 v1, v10, v1
	s_delay_alu instid0(VALU_DEP_3) | instskip(NEXT) | instid1(VALU_DEP_3)
	v_perm_b32 v10, v3, s1, 0x7000504
	v_cndmask_b32_e64 v9, v9, v11, s0
	v_cmp_gt_i32_e64 s0, s5, v6
	s_delay_alu instid0(VALU_DEP_4) | instskip(NEXT) | instid1(VALU_DEP_2)
	v_lshlrev_b32_e32 v1, 16, v1
	v_cndmask_b32_e64 v5, v5, v7, s0
	v_cmp_gt_i32_e64 s0, s5, v8
	v_or_b32_e32 v7, 0xb00, v0
	s_delay_alu instid0(VALU_DEP_4) | instskip(SKIP_1) | instid1(VALU_DEP_4)
	v_and_or_b32 v1, 0xffff, v2, v1
	v_or_b32_e32 v8, 0xf00, v0
	v_cndmask_b32_e64 v6, v3, v10, s0
	v_perm_b32 v3, v9, s1, 0x60504
	v_cmp_gt_i32_e64 s0, s5, v14
	s_delay_alu instid0(VALU_DEP_3) | instskip(NEXT) | instid1(VALU_DEP_2)
	v_perm_b32 v10, v6, s1, 0x60504
	v_cndmask_b32_e64 v3, v9, v3, s0
	v_cmp_gt_i32_e64 s0, s5, v7
	s_delay_alu instid0(VALU_DEP_1) | instskip(SKIP_1) | instid1(VALU_DEP_1)
	v_cndmask_b32_e64 v2, v2, v1, s0
	v_cmp_gt_i32_e64 s0, s5, v8
	v_cndmask_b32_e64 v1, v6, v10, s0
	s_and_saveexec_b32 s0, vcc_lo
	s_cbranch_execnz .LBB2_21
; %bb.4:
	s_or_b32 exec_lo, exec_lo, s0
	s_delay_alu instid0(SALU_CYCLE_1)
	s_mov_b32 s0, exec_lo
	v_cmpx_gt_i32_e64 s5, v0
	s_cbranch_execnz .LBB2_22
.LBB2_5:
	s_or_b32 exec_lo, exec_lo, s0
	s_delay_alu instid0(SALU_CYCLE_1)
	s_mov_b32 s0, exec_lo
	v_cmpx_gt_i32_e64 s5, v0
	s_cbranch_execnz .LBB2_23
.LBB2_6:
	s_or_b32 exec_lo, exec_lo, s0
	s_delay_alu instid0(SALU_CYCLE_1)
	s_mov_b32 s0, exec_lo
	v_cmpx_gt_i32_e64 s5, v0
	s_cbranch_execnz .LBB2_24
.LBB2_7:
	s_or_b32 exec_lo, exec_lo, s0
	s_delay_alu instid0(SALU_CYCLE_1)
	s_mov_b32 s0, exec_lo
	v_cmpx_gt_i32_e64 s5, v0
	s_cbranch_execnz .LBB2_25
.LBB2_8:
	s_or_b32 exec_lo, exec_lo, s0
	s_delay_alu instid0(SALU_CYCLE_1)
	s_mov_b32 s0, exec_lo
	v_cmpx_gt_i32_e64 s5, v0
	s_cbranch_execnz .LBB2_26
.LBB2_9:
	s_or_b32 exec_lo, exec_lo, s0
	s_delay_alu instid0(SALU_CYCLE_1)
	s_mov_b32 s0, exec_lo
	v_cmpx_gt_i32_e64 s5, v0
	s_cbranch_execnz .LBB2_27
.LBB2_10:
	s_or_b32 exec_lo, exec_lo, s0
	s_delay_alu instid0(SALU_CYCLE_1)
	s_mov_b32 s0, exec_lo
	v_cmpx_gt_i32_e64 s5, v0
	s_cbranch_execnz .LBB2_28
.LBB2_11:
	s_or_b32 exec_lo, exec_lo, s0
	s_delay_alu instid0(SALU_CYCLE_1)
	s_mov_b32 s0, exec_lo
	v_cmpx_gt_i32_e64 s5, v0
	s_cbranch_execnz .LBB2_29
.LBB2_12:
	s_or_b32 exec_lo, exec_lo, s0
	s_delay_alu instid0(SALU_CYCLE_1)
	s_mov_b32 s0, exec_lo
	v_cmpx_gt_i32_e64 s5, v0
	s_cbranch_execnz .LBB2_30
.LBB2_13:
	s_or_b32 exec_lo, exec_lo, s0
	s_delay_alu instid0(SALU_CYCLE_1)
	s_mov_b32 s0, exec_lo
	v_cmpx_gt_i32_e64 s5, v0
	s_cbranch_execnz .LBB2_31
.LBB2_14:
	s_or_b32 exec_lo, exec_lo, s0
	s_delay_alu instid0(SALU_CYCLE_1)
	s_mov_b32 s0, exec_lo
	v_cmpx_gt_i32_e64 s5, v0
	s_cbranch_execnz .LBB2_32
.LBB2_15:
	s_or_b32 exec_lo, exec_lo, s0
	s_delay_alu instid0(SALU_CYCLE_1)
	s_mov_b32 s0, exec_lo
	v_cmpx_gt_i32_e64 s5, v0
	s_cbranch_execnz .LBB2_33
.LBB2_16:
	s_or_b32 exec_lo, exec_lo, s0
	s_delay_alu instid0(SALU_CYCLE_1)
	s_mov_b32 s0, exec_lo
	v_cmpx_gt_i32_e64 s5, v0
	s_cbranch_execnz .LBB2_34
.LBB2_17:
	s_or_b32 exec_lo, exec_lo, s0
	s_delay_alu instid0(SALU_CYCLE_1)
	s_mov_b32 s0, exec_lo
	v_cmpx_gt_i32_e64 s5, v0
	s_cbranch_execnz .LBB2_35
.LBB2_18:
	s_or_b32 exec_lo, exec_lo, s0
	s_delay_alu instid0(SALU_CYCLE_1)
	s_mov_b32 s0, exec_lo
	v_cmpx_gt_i32_e64 s5, v0
	s_cbranch_execz .LBB2_20
.LBB2_19:
	v_add_nc_u32_e32 v0, s4, v0
	v_lshrrev_b32_e32 v1, 24, v1
	global_store_b8 v0, v1, s[2:3]
.LBB2_20:
	s_nop 0
	s_sendmsg sendmsg(MSG_DEALLOC_VGPRS)
	s_endpgm
.LBB2_21:
	v_or_b32_e32 v6, s4, v0
	v_mov_b32_e32 v0, v4
	global_store_b8 v6, v5, s[2:3]
	s_or_b32 exec_lo, exec_lo, s0
	s_delay_alu instid0(SALU_CYCLE_1)
	s_mov_b32 s0, exec_lo
	v_cmpx_gt_i32_e64 s5, v0
	s_cbranch_execz .LBB2_5
.LBB2_22:
	v_add_nc_u32_e32 v4, s4, v0
	v_lshrrev_b32_e32 v6, 8, v5
	v_add_nc_u32_e32 v0, 0x100, v0
	global_store_b8 v4, v6, s[2:3]
	s_or_b32 exec_lo, exec_lo, s0
	s_delay_alu instid0(SALU_CYCLE_1)
	s_mov_b32 s0, exec_lo
	v_cmpx_gt_i32_e64 s5, v0
	s_cbranch_execz .LBB2_6
.LBB2_23:
	v_add_nc_u32_e32 v4, s4, v0
	v_add_nc_u32_e32 v0, 0x100, v0
	global_store_d16_hi_b8 v4, v5, s[2:3]
	s_or_b32 exec_lo, exec_lo, s0
	s_delay_alu instid0(SALU_CYCLE_1)
	s_mov_b32 s0, exec_lo
	v_cmpx_gt_i32_e64 s5, v0
	s_cbranch_execz .LBB2_7
.LBB2_24:
	v_add_nc_u32_e32 v4, s4, v0
	v_lshrrev_b32_e32 v5, 24, v5
	v_add_nc_u32_e32 v0, 0x100, v0
	global_store_b8 v4, v5, s[2:3]
	s_or_b32 exec_lo, exec_lo, s0
	s_delay_alu instid0(SALU_CYCLE_1)
	s_mov_b32 s0, exec_lo
	v_cmpx_gt_i32_e64 s5, v0
	s_cbranch_execz .LBB2_8
.LBB2_25:
	v_add_nc_u32_e32 v4, s4, v0
	v_add_nc_u32_e32 v0, 0x100, v0
	global_store_b8 v4, v3, s[2:3]
	s_or_b32 exec_lo, exec_lo, s0
	s_delay_alu instid0(SALU_CYCLE_1)
	s_mov_b32 s0, exec_lo
	v_cmpx_gt_i32_e64 s5, v0
	s_cbranch_execz .LBB2_9
.LBB2_26:
	v_add_nc_u32_e32 v4, s4, v0
	v_lshrrev_b32_e32 v5, 8, v3
	v_add_nc_u32_e32 v0, 0x100, v0
	global_store_b8 v4, v5, s[2:3]
	s_or_b32 exec_lo, exec_lo, s0
	s_delay_alu instid0(SALU_CYCLE_1)
	s_mov_b32 s0, exec_lo
	v_cmpx_gt_i32_e64 s5, v0
	s_cbranch_execz .LBB2_10
.LBB2_27:
	v_add_nc_u32_e32 v4, s4, v0
	v_add_nc_u32_e32 v0, 0x100, v0
	global_store_d16_hi_b8 v4, v3, s[2:3]
	s_or_b32 exec_lo, exec_lo, s0
	s_delay_alu instid0(SALU_CYCLE_1)
	s_mov_b32 s0, exec_lo
	v_cmpx_gt_i32_e64 s5, v0
	s_cbranch_execz .LBB2_11
.LBB2_28:
	v_add_nc_u32_e32 v4, s4, v0
	v_lshrrev_b32_e32 v3, 24, v3
	v_add_nc_u32_e32 v0, 0x100, v0
	global_store_b8 v4, v3, s[2:3]
	s_or_b32 exec_lo, exec_lo, s0
	s_delay_alu instid0(SALU_CYCLE_1)
	s_mov_b32 s0, exec_lo
	v_cmpx_gt_i32_e64 s5, v0
	s_cbranch_execz .LBB2_12
.LBB2_29:
	v_add_nc_u32_e32 v3, s4, v0
	v_add_nc_u32_e32 v0, 0x100, v0
	global_store_b8 v3, v2, s[2:3]
	s_or_b32 exec_lo, exec_lo, s0
	s_delay_alu instid0(SALU_CYCLE_1)
	s_mov_b32 s0, exec_lo
	v_cmpx_gt_i32_e64 s5, v0
	s_cbranch_execz .LBB2_13
.LBB2_30:
	v_add_nc_u32_e32 v3, s4, v0
	v_lshrrev_b32_e32 v4, 8, v2
	v_add_nc_u32_e32 v0, 0x100, v0
	global_store_b8 v3, v4, s[2:3]
	s_or_b32 exec_lo, exec_lo, s0
	s_delay_alu instid0(SALU_CYCLE_1)
	s_mov_b32 s0, exec_lo
	v_cmpx_gt_i32_e64 s5, v0
	s_cbranch_execz .LBB2_14
.LBB2_31:
	v_add_nc_u32_e32 v3, s4, v0
	v_add_nc_u32_e32 v0, 0x100, v0
	global_store_d16_hi_b8 v3, v2, s[2:3]
	s_or_b32 exec_lo, exec_lo, s0
	s_delay_alu instid0(SALU_CYCLE_1)
	s_mov_b32 s0, exec_lo
	v_cmpx_gt_i32_e64 s5, v0
	s_cbranch_execz .LBB2_15
.LBB2_32:
	v_add_nc_u32_e32 v3, s4, v0
	v_lshrrev_b32_e32 v2, 24, v2
	v_add_nc_u32_e32 v0, 0x100, v0
	global_store_b8 v3, v2, s[2:3]
	s_or_b32 exec_lo, exec_lo, s0
	s_delay_alu instid0(SALU_CYCLE_1)
	s_mov_b32 s0, exec_lo
	v_cmpx_gt_i32_e64 s5, v0
	s_cbranch_execz .LBB2_16
.LBB2_33:
	v_add_nc_u32_e32 v2, s4, v0
	v_add_nc_u32_e32 v0, 0x100, v0
	global_store_b8 v2, v1, s[2:3]
	s_or_b32 exec_lo, exec_lo, s0
	s_delay_alu instid0(SALU_CYCLE_1)
	s_mov_b32 s0, exec_lo
	v_cmpx_gt_i32_e64 s5, v0
	s_cbranch_execz .LBB2_17
.LBB2_34:
	v_add_nc_u32_e32 v2, s4, v0
	v_lshrrev_b32_e32 v3, 8, v1
	v_add_nc_u32_e32 v0, 0x100, v0
	global_store_b8 v2, v3, s[2:3]
	s_or_b32 exec_lo, exec_lo, s0
	s_delay_alu instid0(SALU_CYCLE_1)
	s_mov_b32 s0, exec_lo
	v_cmpx_gt_i32_e64 s5, v0
	s_cbranch_execz .LBB2_18
.LBB2_35:
	v_add_nc_u32_e32 v2, s4, v0
	v_add_nc_u32_e32 v0, 0x100, v0
	global_store_d16_hi_b8 v2, v1, s[2:3]
	s_or_b32 exec_lo, exec_lo, s0
	s_delay_alu instid0(SALU_CYCLE_1)
	s_mov_b32 s0, exec_lo
	v_cmpx_gt_i32_e64 s5, v0
	s_cbranch_execnz .LBB2_19
	s_branch .LBB2_20
	.section	.rodata,"a",@progbits
	.p2align	6, 0x0
	.amdhsa_kernel _ZN2at6native29vectorized_elementwise_kernelILi4ENS0_11FillFunctorIhEESt5arrayIPcLm1EEEEviT0_T1_
		.amdhsa_group_segment_fixed_size 0
		.amdhsa_private_segment_fixed_size 0
		.amdhsa_kernarg_size 16
		.amdhsa_user_sgpr_count 15
		.amdhsa_user_sgpr_dispatch_ptr 0
		.amdhsa_user_sgpr_queue_ptr 0
		.amdhsa_user_sgpr_kernarg_segment_ptr 1
		.amdhsa_user_sgpr_dispatch_id 0
		.amdhsa_user_sgpr_private_segment_size 0
		.amdhsa_wavefront_size32 1
		.amdhsa_uses_dynamic_stack 0
		.amdhsa_enable_private_segment 0
		.amdhsa_system_sgpr_workgroup_id_x 1
		.amdhsa_system_sgpr_workgroup_id_y 0
		.amdhsa_system_sgpr_workgroup_id_z 0
		.amdhsa_system_sgpr_workgroup_info 0
		.amdhsa_system_vgpr_workitem_id 0
		.amdhsa_next_free_vgpr 16
		.amdhsa_next_free_sgpr 16
		.amdhsa_reserve_vcc 1
		.amdhsa_float_round_mode_32 0
		.amdhsa_float_round_mode_16_64 0
		.amdhsa_float_denorm_mode_32 3
		.amdhsa_float_denorm_mode_16_64 3
		.amdhsa_dx10_clamp 1
		.amdhsa_ieee_mode 1
		.amdhsa_fp16_overflow 0
		.amdhsa_workgroup_processor_mode 1
		.amdhsa_memory_ordered 1
		.amdhsa_forward_progress 0
		.amdhsa_shared_vgpr_count 0
		.amdhsa_exception_fp_ieee_invalid_op 0
		.amdhsa_exception_fp_denorm_src 0
		.amdhsa_exception_fp_ieee_div_zero 0
		.amdhsa_exception_fp_ieee_overflow 0
		.amdhsa_exception_fp_ieee_underflow 0
		.amdhsa_exception_fp_ieee_inexact 0
		.amdhsa_exception_int_div_zero 0
	.end_amdhsa_kernel
	.section	.text._ZN2at6native29vectorized_elementwise_kernelILi4ENS0_11FillFunctorIhEESt5arrayIPcLm1EEEEviT0_T1_,"axG",@progbits,_ZN2at6native29vectorized_elementwise_kernelILi4ENS0_11FillFunctorIhEESt5arrayIPcLm1EEEEviT0_T1_,comdat
.Lfunc_end2:
	.size	_ZN2at6native29vectorized_elementwise_kernelILi4ENS0_11FillFunctorIhEESt5arrayIPcLm1EEEEviT0_T1_, .Lfunc_end2-_ZN2at6native29vectorized_elementwise_kernelILi4ENS0_11FillFunctorIhEESt5arrayIPcLm1EEEEviT0_T1_
                                        ; -- End function
	.section	.AMDGPU.csdata,"",@progbits
; Kernel info:
; codeLenInByte = 1792
; NumSgprs: 18
; NumVgprs: 16
; ScratchSize: 0
; MemoryBound: 0
; FloatMode: 240
; IeeeMode: 1
; LDSByteSize: 0 bytes/workgroup (compile time only)
; SGPRBlocks: 2
; VGPRBlocks: 1
; NumSGPRsForWavesPerEU: 18
; NumVGPRsForWavesPerEU: 16
; Occupancy: 16
; WaveLimiterHint : 1
; COMPUTE_PGM_RSRC2:SCRATCH_EN: 0
; COMPUTE_PGM_RSRC2:USER_SGPR: 15
; COMPUTE_PGM_RSRC2:TRAP_HANDLER: 0
; COMPUTE_PGM_RSRC2:TGID_X_EN: 1
; COMPUTE_PGM_RSRC2:TGID_Y_EN: 0
; COMPUTE_PGM_RSRC2:TGID_Z_EN: 0
; COMPUTE_PGM_RSRC2:TIDIG_COMP_CNT: 0
	.section	.text._ZN2at6native29vectorized_elementwise_kernelILi2ENS0_11FillFunctorIhEESt5arrayIPcLm1EEEEviT0_T1_,"axG",@progbits,_ZN2at6native29vectorized_elementwise_kernelILi2ENS0_11FillFunctorIhEESt5arrayIPcLm1EEEEviT0_T1_,comdat
	.protected	_ZN2at6native29vectorized_elementwise_kernelILi2ENS0_11FillFunctorIhEESt5arrayIPcLm1EEEEviT0_T1_ ; -- Begin function _ZN2at6native29vectorized_elementwise_kernelILi2ENS0_11FillFunctorIhEESt5arrayIPcLm1EEEEviT0_T1_
	.globl	_ZN2at6native29vectorized_elementwise_kernelILi2ENS0_11FillFunctorIhEESt5arrayIPcLm1EEEEviT0_T1_
	.p2align	8
	.type	_ZN2at6native29vectorized_elementwise_kernelILi2ENS0_11FillFunctorIhEESt5arrayIPcLm1EEEEviT0_T1_,@function
_ZN2at6native29vectorized_elementwise_kernelILi2ENS0_11FillFunctorIhEESt5arrayIPcLm1EEEEviT0_T1_: ; @_ZN2at6native29vectorized_elementwise_kernelILi2ENS0_11FillFunctorIhEESt5arrayIPcLm1EEEEviT0_T1_
; %bb.0:
	s_load_b128 s[0:3], s[0:1], 0x0
	s_lshl_b32 s4, s15, 12
	s_waitcnt lgkmcnt(0)
	v_and_b32_e64 v1, 0xff, s1
	s_sub_i32 s5, s0, s4
	s_mov_b32 s0, -1
	s_cmpk_gt_i32 s5, 0xfff
	s_cbranch_scc0 .LBB3_2
; %bb.1:
	v_lshlrev_b32_e32 v2, 1, v0
	v_mul_lo_u16 v3, 0x101, v1
	s_ashr_i32 s0, s4, 31
	s_add_u32 s6, s2, s4
	s_addc_u32 s7, s3, s0
	s_mov_b32 s0, 0
	s_clause 0x7
	global_store_b16 v2, v3, s[6:7]
	global_store_b16 v2, v3, s[6:7] offset:512
	global_store_b16 v2, v3, s[6:7] offset:1024
	;; [unrolled: 1-line block ×7, first 2 shown]
.LBB3_2:
	s_and_not1_b32 vcc_lo, exec_lo, s0
	s_cbranch_vccnz .LBB3_20
; %bb.3:
	v_lshlrev_b16 v2, 8, s1
	v_or_b32_e32 v4, 0x100, v0
	v_and_b32_e32 v5, 0xffff, v1
	v_or_b32_e32 v13, 0x900, v0
	v_or_b32_e32 v6, 0x200, v0
	;; [unrolled: 1-line block ×3, first 2 shown]
	v_cmp_gt_i32_e64 s0, s5, v4
	v_lshlrev_b32_e32 v1, 16, v1
	v_or_b32_e32 v9, 0x400, v0
	v_perm_b32 v8, s1, 0, 0x3020104
	v_and_b32_e32 v3, 0xffff, v3
	v_or_b32_e32 v17, 0xc00, v0
	v_or_b32_e32 v15, 0xa00, v0
	v_or_b32_e32 v10, 0x500, v0
	v_or_b32_e32 v12, 0x600, v0
	v_cndmask_b32_e64 v11, v5, v3, s0
	v_cmp_gt_i32_e64 s0, s5, v13
	v_or_b32_e32 v7, 0x300, v0
	v_or_b32_e32 v14, 0x700, v0
	v_cmp_gt_i32_e32 vcc_lo, s5, v0
	v_or_b32_e32 v16, v11, v1
	v_cndmask_b32_e64 v3, v5, v3, s0
	v_cmp_gt_i32_e64 s0, s5, v6
	s_delay_alu instid0(VALU_DEP_2) | instskip(NEXT) | instid1(VALU_DEP_2)
	v_or_b32_e32 v1, v3, v1
	v_cndmask_b32_e64 v5, v11, v16, s0
	v_cmp_gt_i32_e64 s0, s5, v9
	s_delay_alu instid0(VALU_DEP_2) | instskip(NEXT) | instid1(VALU_DEP_2)
	v_lshrrev_b32_e32 v9, 16, v5
	v_cndmask_b32_e64 v6, 0, v8, s0
	v_cmp_gt_i32_e64 s0, s5, v17
	s_delay_alu instid0(VALU_DEP_3) | instskip(NEXT) | instid1(VALU_DEP_3)
	v_and_b32_e32 v9, 0xff, v9
	v_perm_b32 v11, v6, s1, 0x7060004
	s_delay_alu instid0(VALU_DEP_3) | instskip(SKIP_1) | instid1(VALU_DEP_4)
	v_cndmask_b32_e64 v8, 0, v8, s0
	v_cmp_gt_i32_e64 s0, s5, v15
	v_or_b32_e32 v9, v9, v2
	s_delay_alu instid0(VALU_DEP_3) | instskip(NEXT) | instid1(VALU_DEP_3)
	v_perm_b32 v13, v8, s1, 0x7060004
	v_cndmask_b32_e64 v1, v3, v1, s0
	v_or_b32_e32 v3, 0xd00, v0
	v_cmp_gt_i32_e64 s0, s5, v10
	v_or_b32_e32 v10, 0xe00, v0
	v_lshlrev_b32_e32 v9, 16, v9
	v_lshrrev_b32_e32 v15, 16, v1
	s_delay_alu instid0(VALU_DEP_4) | instskip(SKIP_1) | instid1(VALU_DEP_2)
	v_cndmask_b32_e64 v6, v6, v11, s0
	v_cmp_gt_i32_e64 s0, s5, v3
	v_perm_b32 v11, v6, s1, 0x7000504
	s_delay_alu instid0(VALU_DEP_2) | instskip(SKIP_2) | instid1(VALU_DEP_3)
	v_cndmask_b32_e64 v3, v8, v13, s0
	v_cmp_gt_i32_e64 s0, s5, v12
	v_and_b32_e32 v8, 0xff, v15
	v_perm_b32 v13, v3, s1, 0x7000504
	s_delay_alu instid0(VALU_DEP_3) | instskip(SKIP_1) | instid1(VALU_DEP_4)
	v_cndmask_b32_e64 v6, v6, v11, s0
	v_cmp_gt_i32_e64 s0, s5, v10
	v_or_b32_e32 v2, v8, v2
	v_and_or_b32 v8, 0xffff, v5, v9
	s_delay_alu instid0(VALU_DEP_3) | instskip(SKIP_1) | instid1(VALU_DEP_4)
	v_cndmask_b32_e64 v9, v3, v13, s0
	v_cmp_gt_i32_e64 s0, s5, v7
	v_lshlrev_b32_e32 v2, 16, v2
	v_perm_b32 v3, v6, s1, 0x60504
	v_or_b32_e32 v7, 0xb00, v0
	v_perm_b32 v10, v9, s1, 0x60504
	v_cndmask_b32_e64 v5, v5, v8, s0
	v_cmp_gt_i32_e64 s0, s5, v14
	v_and_or_b32 v2, 0xffff, v1, v2
	v_or_b32_e32 v8, 0xf00, v0
	s_delay_alu instid0(VALU_DEP_3) | instskip(SKIP_1) | instid1(VALU_DEP_1)
	v_cndmask_b32_e64 v3, v6, v3, s0
	v_cmp_gt_i32_e64 s0, s5, v7
	v_cndmask_b32_e64 v2, v1, v2, s0
	s_delay_alu instid0(VALU_DEP_4) | instskip(NEXT) | instid1(VALU_DEP_1)
	v_cmp_gt_i32_e64 s0, s5, v8
	v_cndmask_b32_e64 v1, v9, v10, s0
	s_and_saveexec_b32 s0, vcc_lo
	s_cbranch_execnz .LBB3_21
; %bb.4:
	s_or_b32 exec_lo, exec_lo, s0
	s_delay_alu instid0(SALU_CYCLE_1)
	s_mov_b32 s0, exec_lo
	v_cmpx_gt_i32_e64 s5, v0
	s_cbranch_execnz .LBB3_22
.LBB3_5:
	s_or_b32 exec_lo, exec_lo, s0
	s_delay_alu instid0(SALU_CYCLE_1)
	s_mov_b32 s0, exec_lo
	v_cmpx_gt_i32_e64 s5, v0
	s_cbranch_execnz .LBB3_23
.LBB3_6:
	s_or_b32 exec_lo, exec_lo, s0
	s_delay_alu instid0(SALU_CYCLE_1)
	s_mov_b32 s0, exec_lo
	v_cmpx_gt_i32_e64 s5, v0
	s_cbranch_execnz .LBB3_24
.LBB3_7:
	s_or_b32 exec_lo, exec_lo, s0
	s_delay_alu instid0(SALU_CYCLE_1)
	s_mov_b32 s0, exec_lo
	v_cmpx_gt_i32_e64 s5, v0
	s_cbranch_execnz .LBB3_25
.LBB3_8:
	s_or_b32 exec_lo, exec_lo, s0
	s_delay_alu instid0(SALU_CYCLE_1)
	s_mov_b32 s0, exec_lo
	v_cmpx_gt_i32_e64 s5, v0
	s_cbranch_execnz .LBB3_26
.LBB3_9:
	s_or_b32 exec_lo, exec_lo, s0
	s_delay_alu instid0(SALU_CYCLE_1)
	s_mov_b32 s0, exec_lo
	v_cmpx_gt_i32_e64 s5, v0
	s_cbranch_execnz .LBB3_27
.LBB3_10:
	s_or_b32 exec_lo, exec_lo, s0
	s_delay_alu instid0(SALU_CYCLE_1)
	s_mov_b32 s0, exec_lo
	v_cmpx_gt_i32_e64 s5, v0
	s_cbranch_execnz .LBB3_28
.LBB3_11:
	s_or_b32 exec_lo, exec_lo, s0
	s_delay_alu instid0(SALU_CYCLE_1)
	s_mov_b32 s0, exec_lo
	v_cmpx_gt_i32_e64 s5, v0
	s_cbranch_execnz .LBB3_29
.LBB3_12:
	s_or_b32 exec_lo, exec_lo, s0
	s_delay_alu instid0(SALU_CYCLE_1)
	s_mov_b32 s0, exec_lo
	v_cmpx_gt_i32_e64 s5, v0
	s_cbranch_execnz .LBB3_30
.LBB3_13:
	s_or_b32 exec_lo, exec_lo, s0
	s_delay_alu instid0(SALU_CYCLE_1)
	s_mov_b32 s0, exec_lo
	v_cmpx_gt_i32_e64 s5, v0
	s_cbranch_execnz .LBB3_31
.LBB3_14:
	s_or_b32 exec_lo, exec_lo, s0
	s_delay_alu instid0(SALU_CYCLE_1)
	s_mov_b32 s0, exec_lo
	v_cmpx_gt_i32_e64 s5, v0
	s_cbranch_execnz .LBB3_32
.LBB3_15:
	s_or_b32 exec_lo, exec_lo, s0
	s_delay_alu instid0(SALU_CYCLE_1)
	s_mov_b32 s0, exec_lo
	v_cmpx_gt_i32_e64 s5, v0
	s_cbranch_execnz .LBB3_33
.LBB3_16:
	s_or_b32 exec_lo, exec_lo, s0
	s_delay_alu instid0(SALU_CYCLE_1)
	s_mov_b32 s0, exec_lo
	v_cmpx_gt_i32_e64 s5, v0
	s_cbranch_execnz .LBB3_34
.LBB3_17:
	s_or_b32 exec_lo, exec_lo, s0
	s_delay_alu instid0(SALU_CYCLE_1)
	s_mov_b32 s0, exec_lo
	v_cmpx_gt_i32_e64 s5, v0
	s_cbranch_execnz .LBB3_35
.LBB3_18:
	s_or_b32 exec_lo, exec_lo, s0
	s_delay_alu instid0(SALU_CYCLE_1)
	s_mov_b32 s0, exec_lo
	v_cmpx_gt_i32_e64 s5, v0
	s_cbranch_execz .LBB3_20
.LBB3_19:
	v_add_nc_u32_e32 v0, s4, v0
	v_lshrrev_b32_e32 v1, 24, v1
	global_store_b8 v0, v1, s[2:3]
.LBB3_20:
	s_nop 0
	s_sendmsg sendmsg(MSG_DEALLOC_VGPRS)
	s_endpgm
.LBB3_21:
	v_or_b32_e32 v6, s4, v0
	v_mov_b32_e32 v0, v4
	global_store_b8 v6, v5, s[2:3]
	s_or_b32 exec_lo, exec_lo, s0
	s_delay_alu instid0(SALU_CYCLE_1)
	s_mov_b32 s0, exec_lo
	v_cmpx_gt_i32_e64 s5, v0
	s_cbranch_execz .LBB3_5
.LBB3_22:
	v_add_nc_u32_e32 v4, s4, v0
	v_lshrrev_b32_e32 v6, 8, v5
	v_add_nc_u32_e32 v0, 0x100, v0
	global_store_b8 v4, v6, s[2:3]
	s_or_b32 exec_lo, exec_lo, s0
	s_delay_alu instid0(SALU_CYCLE_1)
	s_mov_b32 s0, exec_lo
	v_cmpx_gt_i32_e64 s5, v0
	s_cbranch_execz .LBB3_6
.LBB3_23:
	v_add_nc_u32_e32 v4, s4, v0
	v_add_nc_u32_e32 v0, 0x100, v0
	global_store_d16_hi_b8 v4, v5, s[2:3]
	s_or_b32 exec_lo, exec_lo, s0
	s_delay_alu instid0(SALU_CYCLE_1)
	s_mov_b32 s0, exec_lo
	v_cmpx_gt_i32_e64 s5, v0
	s_cbranch_execz .LBB3_7
.LBB3_24:
	v_add_nc_u32_e32 v4, s4, v0
	v_lshrrev_b32_e32 v5, 24, v5
	v_add_nc_u32_e32 v0, 0x100, v0
	global_store_b8 v4, v5, s[2:3]
	s_or_b32 exec_lo, exec_lo, s0
	s_delay_alu instid0(SALU_CYCLE_1)
	s_mov_b32 s0, exec_lo
	v_cmpx_gt_i32_e64 s5, v0
	s_cbranch_execz .LBB3_8
.LBB3_25:
	v_add_nc_u32_e32 v4, s4, v0
	v_add_nc_u32_e32 v0, 0x100, v0
	global_store_b8 v4, v3, s[2:3]
	s_or_b32 exec_lo, exec_lo, s0
	s_delay_alu instid0(SALU_CYCLE_1)
	s_mov_b32 s0, exec_lo
	v_cmpx_gt_i32_e64 s5, v0
	s_cbranch_execz .LBB3_9
.LBB3_26:
	v_add_nc_u32_e32 v4, s4, v0
	v_lshrrev_b32_e32 v5, 8, v3
	v_add_nc_u32_e32 v0, 0x100, v0
	global_store_b8 v4, v5, s[2:3]
	s_or_b32 exec_lo, exec_lo, s0
	s_delay_alu instid0(SALU_CYCLE_1)
	s_mov_b32 s0, exec_lo
	v_cmpx_gt_i32_e64 s5, v0
	s_cbranch_execz .LBB3_10
.LBB3_27:
	v_add_nc_u32_e32 v4, s4, v0
	v_add_nc_u32_e32 v0, 0x100, v0
	global_store_d16_hi_b8 v4, v3, s[2:3]
	s_or_b32 exec_lo, exec_lo, s0
	s_delay_alu instid0(SALU_CYCLE_1)
	s_mov_b32 s0, exec_lo
	v_cmpx_gt_i32_e64 s5, v0
	s_cbranch_execz .LBB3_11
.LBB3_28:
	v_add_nc_u32_e32 v4, s4, v0
	v_lshrrev_b32_e32 v3, 24, v3
	v_add_nc_u32_e32 v0, 0x100, v0
	global_store_b8 v4, v3, s[2:3]
	s_or_b32 exec_lo, exec_lo, s0
	s_delay_alu instid0(SALU_CYCLE_1)
	s_mov_b32 s0, exec_lo
	v_cmpx_gt_i32_e64 s5, v0
	s_cbranch_execz .LBB3_12
.LBB3_29:
	v_add_nc_u32_e32 v3, s4, v0
	v_add_nc_u32_e32 v0, 0x100, v0
	global_store_b8 v3, v2, s[2:3]
	s_or_b32 exec_lo, exec_lo, s0
	s_delay_alu instid0(SALU_CYCLE_1)
	s_mov_b32 s0, exec_lo
	v_cmpx_gt_i32_e64 s5, v0
	s_cbranch_execz .LBB3_13
.LBB3_30:
	v_add_nc_u32_e32 v3, s4, v0
	v_lshrrev_b32_e32 v4, 8, v2
	v_add_nc_u32_e32 v0, 0x100, v0
	global_store_b8 v3, v4, s[2:3]
	s_or_b32 exec_lo, exec_lo, s0
	s_delay_alu instid0(SALU_CYCLE_1)
	s_mov_b32 s0, exec_lo
	v_cmpx_gt_i32_e64 s5, v0
	s_cbranch_execz .LBB3_14
.LBB3_31:
	v_add_nc_u32_e32 v3, s4, v0
	v_add_nc_u32_e32 v0, 0x100, v0
	global_store_d16_hi_b8 v3, v2, s[2:3]
	s_or_b32 exec_lo, exec_lo, s0
	s_delay_alu instid0(SALU_CYCLE_1)
	s_mov_b32 s0, exec_lo
	v_cmpx_gt_i32_e64 s5, v0
	s_cbranch_execz .LBB3_15
.LBB3_32:
	v_add_nc_u32_e32 v3, s4, v0
	v_lshrrev_b32_e32 v2, 24, v2
	v_add_nc_u32_e32 v0, 0x100, v0
	global_store_b8 v3, v2, s[2:3]
	s_or_b32 exec_lo, exec_lo, s0
	s_delay_alu instid0(SALU_CYCLE_1)
	s_mov_b32 s0, exec_lo
	v_cmpx_gt_i32_e64 s5, v0
	s_cbranch_execz .LBB3_16
.LBB3_33:
	v_add_nc_u32_e32 v2, s4, v0
	v_add_nc_u32_e32 v0, 0x100, v0
	global_store_b8 v2, v1, s[2:3]
	s_or_b32 exec_lo, exec_lo, s0
	s_delay_alu instid0(SALU_CYCLE_1)
	s_mov_b32 s0, exec_lo
	v_cmpx_gt_i32_e64 s5, v0
	s_cbranch_execz .LBB3_17
.LBB3_34:
	v_add_nc_u32_e32 v2, s4, v0
	v_lshrrev_b32_e32 v3, 8, v1
	v_add_nc_u32_e32 v0, 0x100, v0
	global_store_b8 v2, v3, s[2:3]
	s_or_b32 exec_lo, exec_lo, s0
	s_delay_alu instid0(SALU_CYCLE_1)
	s_mov_b32 s0, exec_lo
	v_cmpx_gt_i32_e64 s5, v0
	s_cbranch_execz .LBB3_18
.LBB3_35:
	v_add_nc_u32_e32 v2, s4, v0
	v_add_nc_u32_e32 v0, 0x100, v0
	global_store_d16_hi_b8 v2, v1, s[2:3]
	s_or_b32 exec_lo, exec_lo, s0
	s_delay_alu instid0(SALU_CYCLE_1)
	s_mov_b32 s0, exec_lo
	v_cmpx_gt_i32_e64 s5, v0
	s_cbranch_execnz .LBB3_19
	s_branch .LBB3_20
	.section	.rodata,"a",@progbits
	.p2align	6, 0x0
	.amdhsa_kernel _ZN2at6native29vectorized_elementwise_kernelILi2ENS0_11FillFunctorIhEESt5arrayIPcLm1EEEEviT0_T1_
		.amdhsa_group_segment_fixed_size 0
		.amdhsa_private_segment_fixed_size 0
		.amdhsa_kernarg_size 16
		.amdhsa_user_sgpr_count 15
		.amdhsa_user_sgpr_dispatch_ptr 0
		.amdhsa_user_sgpr_queue_ptr 0
		.amdhsa_user_sgpr_kernarg_segment_ptr 1
		.amdhsa_user_sgpr_dispatch_id 0
		.amdhsa_user_sgpr_private_segment_size 0
		.amdhsa_wavefront_size32 1
		.amdhsa_uses_dynamic_stack 0
		.amdhsa_enable_private_segment 0
		.amdhsa_system_sgpr_workgroup_id_x 1
		.amdhsa_system_sgpr_workgroup_id_y 0
		.amdhsa_system_sgpr_workgroup_id_z 0
		.amdhsa_system_sgpr_workgroup_info 0
		.amdhsa_system_vgpr_workitem_id 0
		.amdhsa_next_free_vgpr 18
		.amdhsa_next_free_sgpr 16
		.amdhsa_reserve_vcc 1
		.amdhsa_float_round_mode_32 0
		.amdhsa_float_round_mode_16_64 0
		.amdhsa_float_denorm_mode_32 3
		.amdhsa_float_denorm_mode_16_64 3
		.amdhsa_dx10_clamp 1
		.amdhsa_ieee_mode 1
		.amdhsa_fp16_overflow 0
		.amdhsa_workgroup_processor_mode 1
		.amdhsa_memory_ordered 1
		.amdhsa_forward_progress 0
		.amdhsa_shared_vgpr_count 0
		.amdhsa_exception_fp_ieee_invalid_op 0
		.amdhsa_exception_fp_denorm_src 0
		.amdhsa_exception_fp_ieee_div_zero 0
		.amdhsa_exception_fp_ieee_overflow 0
		.amdhsa_exception_fp_ieee_underflow 0
		.amdhsa_exception_fp_ieee_inexact 0
		.amdhsa_exception_int_div_zero 0
	.end_amdhsa_kernel
	.section	.text._ZN2at6native29vectorized_elementwise_kernelILi2ENS0_11FillFunctorIhEESt5arrayIPcLm1EEEEviT0_T1_,"axG",@progbits,_ZN2at6native29vectorized_elementwise_kernelILi2ENS0_11FillFunctorIhEESt5arrayIPcLm1EEEEviT0_T1_,comdat
.Lfunc_end3:
	.size	_ZN2at6native29vectorized_elementwise_kernelILi2ENS0_11FillFunctorIhEESt5arrayIPcLm1EEEEviT0_T1_, .Lfunc_end3-_ZN2at6native29vectorized_elementwise_kernelILi2ENS0_11FillFunctorIhEESt5arrayIPcLm1EEEEviT0_T1_
                                        ; -- End function
	.section	.AMDGPU.csdata,"",@progbits
; Kernel info:
; codeLenInByte = 1808
; NumSgprs: 18
; NumVgprs: 18
; ScratchSize: 0
; MemoryBound: 0
; FloatMode: 240
; IeeeMode: 1
; LDSByteSize: 0 bytes/workgroup (compile time only)
; SGPRBlocks: 2
; VGPRBlocks: 2
; NumSGPRsForWavesPerEU: 18
; NumVGPRsForWavesPerEU: 18
; Occupancy: 16
; WaveLimiterHint : 1
; COMPUTE_PGM_RSRC2:SCRATCH_EN: 0
; COMPUTE_PGM_RSRC2:USER_SGPR: 15
; COMPUTE_PGM_RSRC2:TRAP_HANDLER: 0
; COMPUTE_PGM_RSRC2:TGID_X_EN: 1
; COMPUTE_PGM_RSRC2:TGID_Y_EN: 0
; COMPUTE_PGM_RSRC2:TGID_Z_EN: 0
; COMPUTE_PGM_RSRC2:TIDIG_COMP_CNT: 0
	.section	.text._ZN2at6native27unrolled_elementwise_kernelINS0_11FillFunctorIhEESt5arrayIPcLm1EELi4E23TrivialOffsetCalculatorILi0EjES7_ILi1EjENS0_6memory15LoadWithoutCastENSA_16StoreWithoutCastEEEviT_T0_T2_T3_T4_T5_,"axG",@progbits,_ZN2at6native27unrolled_elementwise_kernelINS0_11FillFunctorIhEESt5arrayIPcLm1EELi4E23TrivialOffsetCalculatorILi0EjES7_ILi1EjENS0_6memory15LoadWithoutCastENSA_16StoreWithoutCastEEEviT_T0_T2_T3_T4_T5_,comdat
	.protected	_ZN2at6native27unrolled_elementwise_kernelINS0_11FillFunctorIhEESt5arrayIPcLm1EELi4E23TrivialOffsetCalculatorILi0EjES7_ILi1EjENS0_6memory15LoadWithoutCastENSA_16StoreWithoutCastEEEviT_T0_T2_T3_T4_T5_ ; -- Begin function _ZN2at6native27unrolled_elementwise_kernelINS0_11FillFunctorIhEESt5arrayIPcLm1EELi4E23TrivialOffsetCalculatorILi0EjES7_ILi1EjENS0_6memory15LoadWithoutCastENSA_16StoreWithoutCastEEEviT_T0_T2_T3_T4_T5_
	.globl	_ZN2at6native27unrolled_elementwise_kernelINS0_11FillFunctorIhEESt5arrayIPcLm1EELi4E23TrivialOffsetCalculatorILi0EjES7_ILi1EjENS0_6memory15LoadWithoutCastENSA_16StoreWithoutCastEEEviT_T0_T2_T3_T4_T5_
	.p2align	8
	.type	_ZN2at6native27unrolled_elementwise_kernelINS0_11FillFunctorIhEESt5arrayIPcLm1EELi4E23TrivialOffsetCalculatorILi0EjES7_ILi1EjENS0_6memory15LoadWithoutCastENSA_16StoreWithoutCastEEEviT_T0_T2_T3_T4_T5_,@function
_ZN2at6native27unrolled_elementwise_kernelINS0_11FillFunctorIhEESt5arrayIPcLm1EELi4E23TrivialOffsetCalculatorILi0EjES7_ILi1EjENS0_6memory15LoadWithoutCastENSA_16StoreWithoutCastEEEviT_T0_T2_T3_T4_T5_: ; @_ZN2at6native27unrolled_elementwise_kernelINS0_11FillFunctorIhEESt5arrayIPcLm1EELi4E23TrivialOffsetCalculatorILi0EjES7_ILi1EjENS0_6memory15LoadWithoutCastENSA_16StoreWithoutCastEEEviT_T0_T2_T3_T4_T5_
; %bb.0:
	s_load_b128 s[0:3], s[0:1], 0x0
	s_waitcnt lgkmcnt(0)
	v_and_b32_e64 v1, 0xff, s1
	v_lshlrev_b16 v3, 8, s1
	s_and_b32 s4, s1, 0xffff0000
	s_delay_alu instid0(VALU_DEP_1) | instskip(NEXT) | instid1(VALU_DEP_1)
	v_or_b32_e32 v2, v1, v3
	v_and_b32_e32 v4, 0xffff, v2
	v_or_b32_e32 v2, 0x100, v0
	s_delay_alu instid0(VALU_DEP_2) | instskip(SKIP_1) | instid1(SALU_CYCLE_1)
	v_or_b32_e32 v4, s4, v4
	s_lshl_b32 s4, s15, 10
	s_sub_i32 s5, s0, s4
	s_delay_alu instid0(VALU_DEP_2) | instid1(SALU_CYCLE_1)
	v_cmp_gt_i32_e32 vcc_lo, s5, v2
	s_delay_alu instid0(VALU_DEP_2) | instskip(NEXT) | instid1(VALU_DEP_1)
	v_cndmask_b32_e32 v4, s1, v4, vcc_lo
	v_lshrrev_b32_e32 v5, 16, v4
	s_delay_alu instid0(VALU_DEP_1) | instskip(NEXT) | instid1(VALU_DEP_1)
	v_and_b32_e32 v5, 0xffffff00, v5
	v_or_b32_e32 v1, v1, v5
	v_or_b32_e32 v5, 0x200, v0
	s_delay_alu instid0(VALU_DEP_2) | instskip(NEXT) | instid1(VALU_DEP_2)
	v_lshlrev_b32_e32 v1, 16, v1
	v_cmp_gt_i32_e32 vcc_lo, s5, v5
	s_delay_alu instid0(VALU_DEP_2) | instskip(NEXT) | instid1(VALU_DEP_1)
	v_and_or_b32 v1, 0xffff, v4, v1
	v_cndmask_b32_e32 v1, v4, v1, vcc_lo
	s_delay_alu instid0(VALU_DEP_1) | instskip(NEXT) | instid1(VALU_DEP_1)
	v_lshrrev_b32_e32 v4, 16, v1
	v_and_b32_e32 v4, 0xff, v4
	s_delay_alu instid0(VALU_DEP_1) | instskip(SKIP_1) | instid1(VALU_DEP_2)
	v_or_b32_e32 v3, v4, v3
	v_or_b32_e32 v4, 0x300, v0
	v_lshlrev_b32_e32 v3, 16, v3
	s_delay_alu instid0(VALU_DEP_2) | instskip(NEXT) | instid1(VALU_DEP_2)
	v_cmp_gt_i32_e64 s0, s5, v4
	v_and_or_b32 v3, 0xffff, v1, v3
	s_delay_alu instid0(VALU_DEP_1)
	v_cndmask_b32_e64 v1, v1, v3, s0
	s_mov_b32 s0, exec_lo
	v_cmpx_gt_i32_e64 s5, v0
	s_cbranch_execnz .LBB4_5
; %bb.1:
	s_or_b32 exec_lo, exec_lo, s0
	s_delay_alu instid0(SALU_CYCLE_1)
	s_mov_b32 s0, exec_lo
	v_cmpx_gt_i32_e64 s5, v0
	s_cbranch_execnz .LBB4_6
.LBB4_2:
	s_or_b32 exec_lo, exec_lo, s0
	s_delay_alu instid0(SALU_CYCLE_1)
	s_mov_b32 s0, exec_lo
	v_cmpx_gt_i32_e64 s5, v0
	s_cbranch_execnz .LBB4_7
.LBB4_3:
	s_or_b32 exec_lo, exec_lo, s0
	s_delay_alu instid0(SALU_CYCLE_1)
	s_mov_b32 s0, exec_lo
	v_cmpx_gt_i32_e64 s5, v0
	s_cbranch_execnz .LBB4_8
.LBB4_4:
	s_nop 0
	s_sendmsg sendmsg(MSG_DEALLOC_VGPRS)
	s_endpgm
.LBB4_5:
	v_or_b32_e32 v3, s4, v0
	v_mov_b32_e32 v0, v2
	global_store_b8 v3, v1, s[2:3]
	s_or_b32 exec_lo, exec_lo, s0
	s_delay_alu instid0(SALU_CYCLE_1)
	s_mov_b32 s0, exec_lo
	v_cmpx_gt_i32_e64 s5, v0
	s_cbranch_execz .LBB4_2
.LBB4_6:
	v_add_nc_u32_e32 v2, 0x100, v0
	v_lshrrev_b32_e32 v3, 8, v1
	v_add_nc_u32_e32 v4, s4, v0
	s_delay_alu instid0(VALU_DEP_3) | instskip(SKIP_2) | instid1(SALU_CYCLE_1)
	v_mov_b32_e32 v0, v2
	global_store_b8 v4, v3, s[2:3]
	s_or_b32 exec_lo, exec_lo, s0
	s_mov_b32 s0, exec_lo
	v_cmpx_gt_i32_e64 s5, v0
	s_cbranch_execz .LBB4_3
.LBB4_7:
	v_add_nc_u32_e32 v2, 0x100, v0
	s_delay_alu instid0(VALU_DEP_1) | instskip(SKIP_2) | instid1(SALU_CYCLE_1)
	v_dual_mov_b32 v0, v2 :: v_dual_add_nc_u32 v3, s4, v0
	global_store_d16_hi_b8 v3, v1, s[2:3]
	s_or_b32 exec_lo, exec_lo, s0
	s_mov_b32 s0, exec_lo
	v_cmpx_gt_i32_e64 s5, v0
	s_cbranch_execz .LBB4_4
.LBB4_8:
	v_lshrrev_b32_e32 v1, 24, v1
	v_add_nc_u32_e32 v0, s4, v0
	global_store_b8 v0, v1, s[2:3]
	s_nop 0
	s_sendmsg sendmsg(MSG_DEALLOC_VGPRS)
	s_endpgm
	.section	.rodata,"a",@progbits
	.p2align	6, 0x0
	.amdhsa_kernel _ZN2at6native27unrolled_elementwise_kernelINS0_11FillFunctorIhEESt5arrayIPcLm1EELi4E23TrivialOffsetCalculatorILi0EjES7_ILi1EjENS0_6memory15LoadWithoutCastENSA_16StoreWithoutCastEEEviT_T0_T2_T3_T4_T5_
		.amdhsa_group_segment_fixed_size 0
		.amdhsa_private_segment_fixed_size 0
		.amdhsa_kernarg_size 20
		.amdhsa_user_sgpr_count 15
		.amdhsa_user_sgpr_dispatch_ptr 0
		.amdhsa_user_sgpr_queue_ptr 0
		.amdhsa_user_sgpr_kernarg_segment_ptr 1
		.amdhsa_user_sgpr_dispatch_id 0
		.amdhsa_user_sgpr_private_segment_size 0
		.amdhsa_wavefront_size32 1
		.amdhsa_uses_dynamic_stack 0
		.amdhsa_enable_private_segment 0
		.amdhsa_system_sgpr_workgroup_id_x 1
		.amdhsa_system_sgpr_workgroup_id_y 0
		.amdhsa_system_sgpr_workgroup_id_z 0
		.amdhsa_system_sgpr_workgroup_info 0
		.amdhsa_system_vgpr_workitem_id 0
		.amdhsa_next_free_vgpr 6
		.amdhsa_next_free_sgpr 16
		.amdhsa_reserve_vcc 1
		.amdhsa_float_round_mode_32 0
		.amdhsa_float_round_mode_16_64 0
		.amdhsa_float_denorm_mode_32 3
		.amdhsa_float_denorm_mode_16_64 3
		.amdhsa_dx10_clamp 1
		.amdhsa_ieee_mode 1
		.amdhsa_fp16_overflow 0
		.amdhsa_workgroup_processor_mode 1
		.amdhsa_memory_ordered 1
		.amdhsa_forward_progress 0
		.amdhsa_shared_vgpr_count 0
		.amdhsa_exception_fp_ieee_invalid_op 0
		.amdhsa_exception_fp_denorm_src 0
		.amdhsa_exception_fp_ieee_div_zero 0
		.amdhsa_exception_fp_ieee_overflow 0
		.amdhsa_exception_fp_ieee_underflow 0
		.amdhsa_exception_fp_ieee_inexact 0
		.amdhsa_exception_int_div_zero 0
	.end_amdhsa_kernel
	.section	.text._ZN2at6native27unrolled_elementwise_kernelINS0_11FillFunctorIhEESt5arrayIPcLm1EELi4E23TrivialOffsetCalculatorILi0EjES7_ILi1EjENS0_6memory15LoadWithoutCastENSA_16StoreWithoutCastEEEviT_T0_T2_T3_T4_T5_,"axG",@progbits,_ZN2at6native27unrolled_elementwise_kernelINS0_11FillFunctorIhEESt5arrayIPcLm1EELi4E23TrivialOffsetCalculatorILi0EjES7_ILi1EjENS0_6memory15LoadWithoutCastENSA_16StoreWithoutCastEEEviT_T0_T2_T3_T4_T5_,comdat
.Lfunc_end4:
	.size	_ZN2at6native27unrolled_elementwise_kernelINS0_11FillFunctorIhEESt5arrayIPcLm1EELi4E23TrivialOffsetCalculatorILi0EjES7_ILi1EjENS0_6memory15LoadWithoutCastENSA_16StoreWithoutCastEEEviT_T0_T2_T3_T4_T5_, .Lfunc_end4-_ZN2at6native27unrolled_elementwise_kernelINS0_11FillFunctorIhEESt5arrayIPcLm1EELi4E23TrivialOffsetCalculatorILi0EjES7_ILi1EjENS0_6memory15LoadWithoutCastENSA_16StoreWithoutCastEEEviT_T0_T2_T3_T4_T5_
                                        ; -- End function
	.section	.AMDGPU.csdata,"",@progbits
; Kernel info:
; codeLenInByte = 496
; NumSgprs: 18
; NumVgprs: 6
; ScratchSize: 0
; MemoryBound: 0
; FloatMode: 240
; IeeeMode: 1
; LDSByteSize: 0 bytes/workgroup (compile time only)
; SGPRBlocks: 2
; VGPRBlocks: 0
; NumSGPRsForWavesPerEU: 18
; NumVGPRsForWavesPerEU: 6
; Occupancy: 16
; WaveLimiterHint : 0
; COMPUTE_PGM_RSRC2:SCRATCH_EN: 0
; COMPUTE_PGM_RSRC2:USER_SGPR: 15
; COMPUTE_PGM_RSRC2:TRAP_HANDLER: 0
; COMPUTE_PGM_RSRC2:TGID_X_EN: 1
; COMPUTE_PGM_RSRC2:TGID_Y_EN: 0
; COMPUTE_PGM_RSRC2:TGID_Z_EN: 0
; COMPUTE_PGM_RSRC2:TIDIG_COMP_CNT: 0
	.section	.text._ZN2at6native32elementwise_kernel_manual_unrollILi128ELi8EZNS0_22gpu_kernel_impl_nocastINS0_11FillFunctorIhEEEEvRNS_18TensorIteratorBaseERKT_EUlibE_EEviT1_,"axG",@progbits,_ZN2at6native32elementwise_kernel_manual_unrollILi128ELi8EZNS0_22gpu_kernel_impl_nocastINS0_11FillFunctorIhEEEEvRNS_18TensorIteratorBaseERKT_EUlibE_EEviT1_,comdat
	.protected	_ZN2at6native32elementwise_kernel_manual_unrollILi128ELi8EZNS0_22gpu_kernel_impl_nocastINS0_11FillFunctorIhEEEEvRNS_18TensorIteratorBaseERKT_EUlibE_EEviT1_ ; -- Begin function _ZN2at6native32elementwise_kernel_manual_unrollILi128ELi8EZNS0_22gpu_kernel_impl_nocastINS0_11FillFunctorIhEEEEvRNS_18TensorIteratorBaseERKT_EUlibE_EEviT1_
	.globl	_ZN2at6native32elementwise_kernel_manual_unrollILi128ELi8EZNS0_22gpu_kernel_impl_nocastINS0_11FillFunctorIhEEEEvRNS_18TensorIteratorBaseERKT_EUlibE_EEviT1_
	.p2align	8
	.type	_ZN2at6native32elementwise_kernel_manual_unrollILi128ELi8EZNS0_22gpu_kernel_impl_nocastINS0_11FillFunctorIhEEEEvRNS_18TensorIteratorBaseERKT_EUlibE_EEviT1_,@function
_ZN2at6native32elementwise_kernel_manual_unrollILi128ELi8EZNS0_22gpu_kernel_impl_nocastINS0_11FillFunctorIhEEEEvRNS_18TensorIteratorBaseERKT_EUlibE_EEviT1_: ; @_ZN2at6native32elementwise_kernel_manual_unrollILi128ELi8EZNS0_22gpu_kernel_impl_nocastINS0_11FillFunctorIhEEEEvRNS_18TensorIteratorBaseERKT_EUlibE_EEviT1_
; %bb.0:
	s_clause 0x1
	s_load_b32 s18, s[0:1], 0x8
	s_load_b32 s24, s[0:1], 0x0
	v_lshl_or_b32 v6, s15, 10, v0
	s_or_b32 s0, s0, 8
	s_mov_b32 s2, exec_lo
	s_delay_alu instid0(VALU_DEP_1) | instskip(SKIP_2) | instid1(SALU_CYCLE_1)
	v_or_b32_e32 v8, 0x380, v6
	s_waitcnt lgkmcnt(0)
	s_add_i32 s19, s18, -1
	s_cmp_gt_u32 s19, 1
	s_cselect_b32 s20, -1, 0
	v_cmpx_le_i32_e64 s24, v8
	s_xor_b32 s21, exec_lo, s2
	s_cbranch_execz .LBB5_7
; %bb.1:
	s_clause 0x4
	s_load_b128 s[4:7], s[0:1], 0x4
	s_load_b64 s[10:11], s[0:1], 0x14
	s_load_b64 s[8:9], s[0:1], 0xc4
	;; [unrolled: 1-line block ×3, first 2 shown]
	s_load_b32 s22, s[0:1], 0x110
	s_cmp_lg_u32 s18, 0
	s_mov_b32 s27, exec_lo
	s_cselect_b32 s26, -1, 0
	s_add_u32 s12, s0, 0xc4
	s_addc_u32 s13, s1, 0
	s_min_u32 s25, s19, 15
	s_cmp_gt_u32 s18, 1
	s_cselect_b32 s23, -1, 0
	v_cmpx_gt_i32_e64 s24, v6
	s_cbranch_execz .LBB5_14
; %bb.2:
	s_and_not1_b32 vcc_lo, exec_lo, s20
	s_cbranch_vccnz .LBB5_21
; %bb.3:
	v_mov_b32_e32 v0, 0
	s_and_not1_b32 vcc_lo, exec_lo, s26
	s_cbranch_vccnz .LBB5_125
; %bb.4:
	s_add_i32 s29, s25, 1
	s_cmp_eq_u32 s19, 2
	s_mov_b32 s28, 0
	s_cbranch_scc1 .LBB5_121
; %bb.5:
	v_dual_mov_b32 v0, 0 :: v_dual_mov_b32 v1, v6
	s_and_b32 s28, s29, 28
	s_mov_b32 s30, 0
	s_mov_b64 s[14:15], s[0:1]
	s_mov_b64 s[16:17], s[12:13]
.LBB5_6:                                ; =>This Inner Loop Header: Depth=1
	s_clause 0x1
	s_load_b256 s[36:43], s[14:15], 0x4
	s_load_b128 s[44:47], s[14:15], 0x24
	s_load_b128 s[48:51], s[16:17], 0x0
	s_add_u32 s14, s14, 48
	s_addc_u32 s15, s15, 0
	s_add_i32 s30, s30, 4
	s_add_u32 s16, s16, 16
	s_addc_u32 s17, s17, 0
	s_cmp_lg_u32 s28, s30
	s_waitcnt lgkmcnt(0)
	v_mul_hi_u32 v2, s37, v1
	s_delay_alu instid0(VALU_DEP_1) | instskip(NEXT) | instid1(VALU_DEP_1)
	v_add_nc_u32_e32 v2, v1, v2
	v_lshrrev_b32_e32 v2, s38, v2
	s_delay_alu instid0(VALU_DEP_1) | instskip(SKIP_1) | instid1(VALU_DEP_2)
	v_mul_hi_u32 v3, s40, v2
	v_mul_lo_u32 v7, v2, s36
	v_add_nc_u32_e32 v3, v2, v3
	s_delay_alu instid0(VALU_DEP_2) | instskip(NEXT) | instid1(VALU_DEP_2)
	v_sub_nc_u32_e32 v7, v1, v7
	v_lshrrev_b32_e32 v3, s41, v3
	s_delay_alu instid0(VALU_DEP_2) | instskip(NEXT) | instid1(VALU_DEP_2)
	v_mul_lo_u32 v7, v7, s48
	v_mul_hi_u32 v4, s43, v3
	v_mul_lo_u32 v8, v3, s39
	s_delay_alu instid0(VALU_DEP_2) | instskip(NEXT) | instid1(VALU_DEP_2)
	v_add_nc_u32_e32 v4, v3, v4
	v_sub_nc_u32_e32 v2, v2, v8
	s_delay_alu instid0(VALU_DEP_2) | instskip(NEXT) | instid1(VALU_DEP_2)
	v_lshrrev_b32_e32 v4, s44, v4
	v_mul_lo_u32 v2, v2, s49
	s_delay_alu instid0(VALU_DEP_2) | instskip(NEXT) | instid1(VALU_DEP_2)
	v_mul_hi_u32 v5, s46, v4
	v_add3_u32 v0, v7, v0, v2
	s_delay_alu instid0(VALU_DEP_2) | instskip(NEXT) | instid1(VALU_DEP_1)
	v_add_nc_u32_e32 v5, v4, v5
	v_lshrrev_b32_e32 v1, s47, v5
	v_mul_lo_u32 v5, v4, s42
	s_delay_alu instid0(VALU_DEP_2) | instskip(NEXT) | instid1(VALU_DEP_2)
	v_mul_lo_u32 v9, v1, s45
	v_sub_nc_u32_e32 v3, v3, v5
	s_delay_alu instid0(VALU_DEP_2) | instskip(NEXT) | instid1(VALU_DEP_2)
	v_sub_nc_u32_e32 v4, v4, v9
	v_mul_lo_u32 v3, v3, s50
	s_delay_alu instid0(VALU_DEP_2) | instskip(NEXT) | instid1(VALU_DEP_1)
	v_mul_lo_u32 v4, v4, s51
	v_add3_u32 v0, v3, v0, v4
	s_cbranch_scc1 .LBB5_6
	s_branch .LBB5_122
.LBB5_7:
	s_and_not1_saveexec_b32 s2, s21
	s_cbranch_execz .LBB5_206
.LBB5_8:
	v_cndmask_b32_e64 v7, 0, 1, s20
	s_and_not1_b32 vcc_lo, exec_lo, s20
	s_cbranch_vccnz .LBB5_20
; %bb.9:
	v_mov_b32_e32 v0, 0
	s_cmp_eq_u32 s18, 0
	s_mov_b32 s6, 0
	s_cbranch_scc1 .LBB5_26
; %bb.10:
	s_min_u32 s7, s19, 15
	v_mov_b32_e32 v0, 0
	s_add_i32 s7, s7, 1
	s_cmp_eq_u32 s19, 2
	s_mov_b32 s8, 0
	s_cbranch_scc1 .LBB5_23
; %bb.11:
	v_dual_mov_b32 v0, 0 :: v_dual_mov_b32 v1, v6
	s_add_u32 s2, s0, 0xc4
	s_addc_u32 s3, s1, 0
	s_and_b32 s8, s7, 28
	s_mov_b32 s9, 0
	s_mov_b64 s[4:5], s[0:1]
.LBB5_12:                               ; =>This Inner Loop Header: Depth=1
	s_clause 0x1
	s_load_b256 s[20:27], s[4:5], 0x4
	s_load_b128 s[12:15], s[4:5], 0x24
	s_load_b128 s[28:31], s[2:3], 0x0
	s_add_u32 s4, s4, 48
	s_addc_u32 s5, s5, 0
	s_add_i32 s9, s9, 4
	s_add_u32 s2, s2, 16
	s_addc_u32 s3, s3, 0
	s_cmp_lg_u32 s8, s9
	s_waitcnt lgkmcnt(0)
	v_mul_hi_u32 v2, s21, v1
	s_delay_alu instid0(VALU_DEP_1) | instskip(NEXT) | instid1(VALU_DEP_1)
	v_add_nc_u32_e32 v2, v1, v2
	v_lshrrev_b32_e32 v2, s22, v2
	s_delay_alu instid0(VALU_DEP_1) | instskip(SKIP_1) | instid1(VALU_DEP_2)
	v_mul_hi_u32 v3, s24, v2
	v_mul_lo_u32 v9, v2, s20
	v_add_nc_u32_e32 v3, v2, v3
	s_delay_alu instid0(VALU_DEP_2) | instskip(NEXT) | instid1(VALU_DEP_2)
	v_sub_nc_u32_e32 v9, v1, v9
	v_lshrrev_b32_e32 v3, s25, v3
	s_delay_alu instid0(VALU_DEP_2) | instskip(NEXT) | instid1(VALU_DEP_2)
	v_mul_lo_u32 v9, v9, s28
	v_mul_hi_u32 v4, s27, v3
	v_mul_lo_u32 v10, v3, s23
	s_delay_alu instid0(VALU_DEP_2) | instskip(NEXT) | instid1(VALU_DEP_2)
	v_add_nc_u32_e32 v4, v3, v4
	v_sub_nc_u32_e32 v2, v2, v10
	s_delay_alu instid0(VALU_DEP_2) | instskip(NEXT) | instid1(VALU_DEP_2)
	v_lshrrev_b32_e32 v4, s12, v4
	v_mul_lo_u32 v2, v2, s29
	s_delay_alu instid0(VALU_DEP_2) | instskip(NEXT) | instid1(VALU_DEP_2)
	v_mul_hi_u32 v5, s14, v4
	v_add3_u32 v0, v9, v0, v2
	s_delay_alu instid0(VALU_DEP_2) | instskip(NEXT) | instid1(VALU_DEP_1)
	v_add_nc_u32_e32 v5, v4, v5
	v_lshrrev_b32_e32 v1, s15, v5
	v_mul_lo_u32 v5, v4, s26
	s_delay_alu instid0(VALU_DEP_2) | instskip(NEXT) | instid1(VALU_DEP_2)
	v_mul_lo_u32 v11, v1, s13
	v_sub_nc_u32_e32 v3, v3, v5
	s_delay_alu instid0(VALU_DEP_2) | instskip(NEXT) | instid1(VALU_DEP_2)
	v_sub_nc_u32_e32 v4, v4, v11
	v_mul_lo_u32 v3, v3, s30
	s_delay_alu instid0(VALU_DEP_2) | instskip(NEXT) | instid1(VALU_DEP_1)
	v_mul_lo_u32 v4, v4, s31
	v_add3_u32 v0, v3, v0, v4
	s_cbranch_scc1 .LBB5_12
; %bb.13:
	s_and_b32 s7, s7, 3
	s_delay_alu instid0(SALU_CYCLE_1)
	s_cmp_eq_u32 s7, 0
	s_cbranch_scc0 .LBB5_24
	s_branch .LBB5_26
.LBB5_14:
	s_or_b32 exec_lo, exec_lo, s27
	s_delay_alu instid0(SALU_CYCLE_1)
	s_mov_b32 s27, exec_lo
	v_cmpx_gt_i32_e64 s24, v6
	s_cbranch_execz .LBB5_129
.LBB5_15:
	s_and_not1_b32 vcc_lo, exec_lo, s20
	s_cbranch_vccnz .LBB5_22
; %bb.16:
	v_mov_b32_e32 v0, 0
	s_and_not1_b32 vcc_lo, exec_lo, s26
	s_cbranch_vccnz .LBB5_140
; %bb.17:
	s_add_i32 s29, s25, 1
	s_cmp_eq_u32 s19, 2
	s_mov_b32 s28, 0
	s_cbranch_scc1 .LBB5_136
; %bb.18:
	v_dual_mov_b32 v0, 0 :: v_dual_mov_b32 v1, v6
	s_and_b32 s28, s29, 28
	s_mov_b32 s30, 0
	s_mov_b64 s[14:15], s[0:1]
	s_mov_b64 s[16:17], s[12:13]
.LBB5_19:                               ; =>This Inner Loop Header: Depth=1
	s_clause 0x1
	s_load_b256 s[36:43], s[14:15], 0x4
	s_load_b128 s[44:47], s[14:15], 0x24
	s_load_b128 s[48:51], s[16:17], 0x0
	s_add_u32 s14, s14, 48
	s_addc_u32 s15, s15, 0
	s_add_i32 s30, s30, 4
	s_add_u32 s16, s16, 16
	s_addc_u32 s17, s17, 0
	s_cmp_eq_u32 s28, s30
	s_waitcnt lgkmcnt(0)
	v_mul_hi_u32 v2, s37, v1
	s_delay_alu instid0(VALU_DEP_1) | instskip(NEXT) | instid1(VALU_DEP_1)
	v_add_nc_u32_e32 v2, v1, v2
	v_lshrrev_b32_e32 v2, s38, v2
	s_delay_alu instid0(VALU_DEP_1) | instskip(SKIP_1) | instid1(VALU_DEP_2)
	v_mul_hi_u32 v3, s40, v2
	v_mul_lo_u32 v7, v2, s36
	v_add_nc_u32_e32 v3, v2, v3
	s_delay_alu instid0(VALU_DEP_2) | instskip(NEXT) | instid1(VALU_DEP_2)
	v_sub_nc_u32_e32 v7, v1, v7
	v_lshrrev_b32_e32 v3, s41, v3
	s_delay_alu instid0(VALU_DEP_2) | instskip(NEXT) | instid1(VALU_DEP_2)
	v_mul_lo_u32 v7, v7, s48
	v_mul_hi_u32 v4, s43, v3
	v_mul_lo_u32 v8, v3, s39
	s_delay_alu instid0(VALU_DEP_2) | instskip(NEXT) | instid1(VALU_DEP_2)
	v_add_nc_u32_e32 v4, v3, v4
	v_sub_nc_u32_e32 v2, v2, v8
	s_delay_alu instid0(VALU_DEP_2) | instskip(NEXT) | instid1(VALU_DEP_2)
	v_lshrrev_b32_e32 v4, s44, v4
	v_mul_lo_u32 v2, v2, s49
	s_delay_alu instid0(VALU_DEP_2) | instskip(NEXT) | instid1(VALU_DEP_2)
	v_mul_hi_u32 v5, s46, v4
	v_add3_u32 v0, v7, v0, v2
	s_delay_alu instid0(VALU_DEP_2) | instskip(NEXT) | instid1(VALU_DEP_1)
	v_add_nc_u32_e32 v5, v4, v5
	v_lshrrev_b32_e32 v1, s47, v5
	v_mul_lo_u32 v5, v4, s42
	s_delay_alu instid0(VALU_DEP_2) | instskip(NEXT) | instid1(VALU_DEP_2)
	v_mul_lo_u32 v9, v1, s45
	v_sub_nc_u32_e32 v3, v3, v5
	s_delay_alu instid0(VALU_DEP_2) | instskip(NEXT) | instid1(VALU_DEP_2)
	v_sub_nc_u32_e32 v4, v4, v9
	v_mul_lo_u32 v3, v3, s50
	s_delay_alu instid0(VALU_DEP_2) | instskip(NEXT) | instid1(VALU_DEP_1)
	v_mul_lo_u32 v4, v4, s51
	v_add3_u32 v0, v3, v0, v4
	s_cbranch_scc0 .LBB5_19
	s_branch .LBB5_137
.LBB5_20:
	s_mov_b32 s6, -1
                                        ; implicit-def: $vgpr0
	s_branch .LBB5_26
.LBB5_21:
                                        ; implicit-def: $vgpr0
	s_branch .LBB5_126
.LBB5_22:
                                        ; implicit-def: $vgpr0
	s_branch .LBB5_141
.LBB5_23:
	v_mov_b32_e32 v1, v6
	s_and_b32 s7, s7, 3
	s_delay_alu instid0(SALU_CYCLE_1)
	s_cmp_eq_u32 s7, 0
	s_cbranch_scc1 .LBB5_26
.LBB5_24:
	s_lshl_b32 s2, s8, 2
	s_mul_i32 s4, s8, 12
	s_add_u32 s2, s2, s0
	s_addc_u32 s3, 0, s1
	s_add_u32 s2, s2, 0xc4
	s_addc_u32 s3, s3, 0
	;; [unrolled: 2-line block ×3, first 2 shown]
	.p2align	6
.LBB5_25:                               ; =>This Inner Loop Header: Depth=1
	s_clause 0x1
	s_load_b64 s[8:9], s[4:5], 0x4
	s_load_b32 s10, s[4:5], 0xc
	s_add_u32 s4, s4, 12
	s_addc_u32 s5, s5, 0
	s_waitcnt lgkmcnt(0)
	v_mul_hi_u32 v2, s9, v1
	s_load_b32 s9, s[2:3], 0x0
	s_add_u32 s2, s2, 4
	s_addc_u32 s3, s3, 0
	s_add_i32 s7, s7, -1
	s_delay_alu instid0(SALU_CYCLE_1) | instskip(NEXT) | instid1(VALU_DEP_1)
	s_cmp_lg_u32 s7, 0
	v_add_nc_u32_e32 v2, v1, v2
	s_delay_alu instid0(VALU_DEP_1) | instskip(NEXT) | instid1(VALU_DEP_1)
	v_lshrrev_b32_e32 v4, s10, v2
	v_mul_lo_u32 v2, v4, s8
	s_delay_alu instid0(VALU_DEP_1) | instskip(SKIP_1) | instid1(VALU_DEP_1)
	v_sub_nc_u32_e32 v1, v1, v2
	s_waitcnt lgkmcnt(0)
	v_mad_u64_u32 v[2:3], null, v1, s9, v[0:1]
	s_delay_alu instid0(VALU_DEP_1)
	v_dual_mov_b32 v1, v4 :: v_dual_mov_b32 v0, v2
	s_cbranch_scc1 .LBB5_25
.LBB5_26:
	s_and_not1_b32 vcc_lo, exec_lo, s6
	s_cbranch_vccnz .LBB5_29
; %bb.27:
	s_clause 0x1
	s_load_b128 s[4:7], s[0:1], 0x4
	s_load_b32 s2, s[0:1], 0xc4
	s_cmp_lt_u32 s18, 2
	s_waitcnt lgkmcnt(0)
	v_mul_hi_u32 v0, s5, v6
	s_delay_alu instid0(VALU_DEP_1) | instskip(NEXT) | instid1(VALU_DEP_1)
	v_add_nc_u32_e32 v0, v6, v0
	v_lshrrev_b32_e32 v1, s6, v0
	s_delay_alu instid0(VALU_DEP_1) | instskip(NEXT) | instid1(VALU_DEP_1)
	v_mul_lo_u32 v0, v1, s4
	v_sub_nc_u32_e32 v0, v6, v0
	s_delay_alu instid0(VALU_DEP_1)
	v_mul_lo_u32 v0, v0, s2
	s_cbranch_scc1 .LBB5_29
; %bb.28:
	s_clause 0x1
	s_load_b128 s[4:7], s[0:1], 0x10
	s_load_b32 s2, s[0:1], 0xc8
	s_waitcnt lgkmcnt(0)
	v_mul_hi_u32 v2, s5, v1
	s_delay_alu instid0(VALU_DEP_1) | instskip(NEXT) | instid1(VALU_DEP_1)
	v_add_nc_u32_e32 v2, v1, v2
	v_lshrrev_b32_e32 v2, s6, v2
	s_delay_alu instid0(VALU_DEP_1) | instskip(NEXT) | instid1(VALU_DEP_1)
	v_mul_lo_u32 v2, v2, s4
	v_sub_nc_u32_e32 v3, v1, v2
	s_delay_alu instid0(VALU_DEP_1) | instskip(NEXT) | instid1(VALU_DEP_1)
	v_mad_u64_u32 v[1:2], null, v3, s2, v[0:1]
	v_mov_b32_e32 v0, v1
.LBB5_29:
	v_cmp_ne_u32_e32 vcc_lo, 1, v7
	v_add_nc_u32_e32 v2, 0x80, v6
	s_cbranch_vccnz .LBB5_35
; %bb.30:
	v_mov_b32_e32 v1, 0
	s_cmp_eq_u32 s18, 0
	s_mov_b32 s6, 0
	s_cbranch_scc1 .LBB5_39
; %bb.31:
	s_min_u32 s7, s19, 15
	v_mov_b32_e32 v1, 0
	s_add_i32 s7, s7, 1
	s_cmp_eq_u32 s19, 2
	s_mov_b32 s8, 0
	s_cbranch_scc1 .LBB5_36
; %bb.32:
	v_mov_b32_e32 v1, 0
	v_mov_b32_e32 v3, v2
	s_add_u32 s2, s0, 0xc4
	s_addc_u32 s3, s1, 0
	s_and_b32 s8, s7, 28
	s_mov_b32 s9, 0
	s_mov_b64 s[4:5], s[0:1]
.LBB5_33:                               ; =>This Inner Loop Header: Depth=1
	s_clause 0x1
	s_load_b256 s[20:27], s[4:5], 0x4
	s_load_b128 s[12:15], s[4:5], 0x24
	s_load_b128 s[28:31], s[2:3], 0x0
	s_add_u32 s4, s4, 48
	s_addc_u32 s5, s5, 0
	s_add_i32 s9, s9, 4
	s_add_u32 s2, s2, 16
	s_addc_u32 s3, s3, 0
	s_cmp_lg_u32 s8, s9
	s_waitcnt lgkmcnt(0)
	v_mul_hi_u32 v4, s21, v3
	s_delay_alu instid0(VALU_DEP_1) | instskip(NEXT) | instid1(VALU_DEP_1)
	v_add_nc_u32_e32 v4, v3, v4
	v_lshrrev_b32_e32 v4, s22, v4
	s_delay_alu instid0(VALU_DEP_1) | instskip(SKIP_1) | instid1(VALU_DEP_2)
	v_mul_hi_u32 v5, s24, v4
	v_mul_lo_u32 v11, v4, s20
	v_add_nc_u32_e32 v5, v4, v5
	s_delay_alu instid0(VALU_DEP_2) | instskip(NEXT) | instid1(VALU_DEP_2)
	v_sub_nc_u32_e32 v11, v3, v11
	v_lshrrev_b32_e32 v5, s25, v5
	s_delay_alu instid0(VALU_DEP_2) | instskip(NEXT) | instid1(VALU_DEP_2)
	v_mul_lo_u32 v11, v11, s28
	v_mul_hi_u32 v9, s27, v5
	v_mul_lo_u32 v12, v5, s23
	s_delay_alu instid0(VALU_DEP_2) | instskip(NEXT) | instid1(VALU_DEP_2)
	v_add_nc_u32_e32 v9, v5, v9
	v_sub_nc_u32_e32 v4, v4, v12
	s_delay_alu instid0(VALU_DEP_2) | instskip(NEXT) | instid1(VALU_DEP_2)
	v_lshrrev_b32_e32 v9, s12, v9
	v_mul_lo_u32 v4, v4, s29
	s_delay_alu instid0(VALU_DEP_2) | instskip(NEXT) | instid1(VALU_DEP_2)
	v_mul_hi_u32 v10, s14, v9
	v_add3_u32 v1, v11, v1, v4
	s_delay_alu instid0(VALU_DEP_2) | instskip(NEXT) | instid1(VALU_DEP_1)
	v_add_nc_u32_e32 v10, v9, v10
	v_lshrrev_b32_e32 v3, s15, v10
	v_mul_lo_u32 v10, v9, s26
	s_delay_alu instid0(VALU_DEP_2) | instskip(NEXT) | instid1(VALU_DEP_2)
	v_mul_lo_u32 v13, v3, s13
	v_sub_nc_u32_e32 v5, v5, v10
	s_delay_alu instid0(VALU_DEP_2) | instskip(NEXT) | instid1(VALU_DEP_2)
	v_sub_nc_u32_e32 v9, v9, v13
	v_mul_lo_u32 v5, v5, s30
	s_delay_alu instid0(VALU_DEP_2) | instskip(NEXT) | instid1(VALU_DEP_1)
	v_mul_lo_u32 v9, v9, s31
	v_add3_u32 v1, v5, v1, v9
	s_cbranch_scc1 .LBB5_33
; %bb.34:
	s_and_b32 s7, s7, 3
	s_delay_alu instid0(SALU_CYCLE_1)
	s_cmp_eq_u32 s7, 0
	s_cbranch_scc0 .LBB5_37
	s_branch .LBB5_39
.LBB5_35:
	s_mov_b32 s6, -1
                                        ; implicit-def: $vgpr1
	s_branch .LBB5_39
.LBB5_36:
	v_mov_b32_e32 v3, v2
	s_and_b32 s7, s7, 3
	s_delay_alu instid0(SALU_CYCLE_1)
	s_cmp_eq_u32 s7, 0
	s_cbranch_scc1 .LBB5_39
.LBB5_37:
	s_lshl_b32 s2, s8, 2
	s_mul_i32 s4, s8, 12
	s_add_u32 s2, s2, s0
	s_addc_u32 s3, 0, s1
	s_add_u32 s2, s2, 0xc4
	s_addc_u32 s3, s3, 0
	;; [unrolled: 2-line block ×3, first 2 shown]
	.p2align	6
.LBB5_38:                               ; =>This Inner Loop Header: Depth=1
	s_clause 0x1
	s_load_b64 s[8:9], s[4:5], 0x4
	s_load_b32 s10, s[4:5], 0xc
	s_add_u32 s4, s4, 12
	s_addc_u32 s5, s5, 0
	s_waitcnt lgkmcnt(0)
	v_mul_hi_u32 v4, s9, v3
	s_load_b32 s9, s[2:3], 0x0
	s_add_u32 s2, s2, 4
	s_addc_u32 s3, s3, 0
	s_add_i32 s7, s7, -1
	s_delay_alu instid0(SALU_CYCLE_1) | instskip(NEXT) | instid1(VALU_DEP_1)
	s_cmp_lg_u32 s7, 0
	v_add_nc_u32_e32 v4, v3, v4
	s_delay_alu instid0(VALU_DEP_1) | instskip(NEXT) | instid1(VALU_DEP_1)
	v_lshrrev_b32_e32 v9, s10, v4
	v_mul_lo_u32 v4, v9, s8
	s_delay_alu instid0(VALU_DEP_1) | instskip(SKIP_1) | instid1(VALU_DEP_1)
	v_sub_nc_u32_e32 v3, v3, v4
	s_waitcnt lgkmcnt(0)
	v_mad_u64_u32 v[4:5], null, v3, s9, v[1:2]
	v_mov_b32_e32 v3, v9
	s_delay_alu instid0(VALU_DEP_2)
	v_mov_b32_e32 v1, v4
	s_cbranch_scc1 .LBB5_38
.LBB5_39:
	s_and_not1_b32 vcc_lo, exec_lo, s6
	s_cbranch_vccnz .LBB5_42
; %bb.40:
	s_clause 0x1
	s_load_b128 s[4:7], s[0:1], 0x4
	s_load_b32 s2, s[0:1], 0xc4
	s_cmp_lt_u32 s18, 2
	s_waitcnt lgkmcnt(0)
	v_mul_hi_u32 v1, s5, v2
	s_delay_alu instid0(VALU_DEP_1) | instskip(NEXT) | instid1(VALU_DEP_1)
	v_add_nc_u32_e32 v1, v2, v1
	v_lshrrev_b32_e32 v3, s6, v1
	s_delay_alu instid0(VALU_DEP_1) | instskip(NEXT) | instid1(VALU_DEP_1)
	v_mul_lo_u32 v1, v3, s4
	v_sub_nc_u32_e32 v1, v2, v1
	s_delay_alu instid0(VALU_DEP_1)
	v_mul_lo_u32 v1, v1, s2
	s_cbranch_scc1 .LBB5_42
; %bb.41:
	s_clause 0x1
	s_load_b128 s[4:7], s[0:1], 0x10
	s_load_b32 s2, s[0:1], 0xc8
	s_waitcnt lgkmcnt(0)
	v_mul_hi_u32 v2, s5, v3
	s_delay_alu instid0(VALU_DEP_1) | instskip(NEXT) | instid1(VALU_DEP_1)
	v_add_nc_u32_e32 v2, v3, v2
	v_lshrrev_b32_e32 v2, s6, v2
	s_delay_alu instid0(VALU_DEP_1) | instskip(NEXT) | instid1(VALU_DEP_1)
	v_mul_lo_u32 v2, v2, s4
	v_sub_nc_u32_e32 v4, v3, v2
	s_delay_alu instid0(VALU_DEP_1) | instskip(NEXT) | instid1(VALU_DEP_1)
	v_mad_u64_u32 v[2:3], null, v4, s2, v[1:2]
	v_mov_b32_e32 v1, v2
.LBB5_42:
	v_cmp_ne_u32_e32 vcc_lo, 1, v7
	v_add_nc_u32_e32 v3, 0x100, v6
	s_cbranch_vccnz .LBB5_48
; %bb.43:
	v_mov_b32_e32 v2, 0
	s_cmp_eq_u32 s18, 0
	s_mov_b32 s6, 0
	s_cbranch_scc1 .LBB5_52
; %bb.44:
	s_min_u32 s7, s19, 15
	v_mov_b32_e32 v2, 0
	s_add_i32 s7, s7, 1
	s_cmp_eq_u32 s19, 2
	s_mov_b32 s8, 0
	s_cbranch_scc1 .LBB5_49
; %bb.45:
	v_mov_b32_e32 v2, 0
	v_mov_b32_e32 v4, v3
	s_add_u32 s2, s0, 0xc4
	s_addc_u32 s3, s1, 0
	s_and_b32 s8, s7, 28
	s_mov_b32 s9, 0
	s_mov_b64 s[4:5], s[0:1]
.LBB5_46:                               ; =>This Inner Loop Header: Depth=1
	s_clause 0x1
	s_load_b256 s[20:27], s[4:5], 0x4
	s_load_b128 s[12:15], s[4:5], 0x24
	s_load_b128 s[28:31], s[2:3], 0x0
	s_add_u32 s4, s4, 48
	s_addc_u32 s5, s5, 0
	s_add_i32 s9, s9, 4
	s_add_u32 s2, s2, 16
	s_addc_u32 s3, s3, 0
	s_cmp_lg_u32 s8, s9
	s_waitcnt lgkmcnt(0)
	v_mul_hi_u32 v5, s21, v4
	s_delay_alu instid0(VALU_DEP_1) | instskip(NEXT) | instid1(VALU_DEP_1)
	v_add_nc_u32_e32 v5, v4, v5
	v_lshrrev_b32_e32 v5, s22, v5
	s_delay_alu instid0(VALU_DEP_1) | instskip(SKIP_1) | instid1(VALU_DEP_2)
	v_mul_hi_u32 v9, s24, v5
	v_mul_lo_u32 v12, v5, s20
	v_add_nc_u32_e32 v9, v5, v9
	s_delay_alu instid0(VALU_DEP_2) | instskip(NEXT) | instid1(VALU_DEP_2)
	v_sub_nc_u32_e32 v12, v4, v12
	v_lshrrev_b32_e32 v9, s25, v9
	s_delay_alu instid0(VALU_DEP_2) | instskip(NEXT) | instid1(VALU_DEP_2)
	v_mul_lo_u32 v12, v12, s28
	v_mul_hi_u32 v10, s27, v9
	v_mul_lo_u32 v13, v9, s23
	s_delay_alu instid0(VALU_DEP_2) | instskip(NEXT) | instid1(VALU_DEP_2)
	v_add_nc_u32_e32 v10, v9, v10
	v_sub_nc_u32_e32 v5, v5, v13
	s_delay_alu instid0(VALU_DEP_2) | instskip(NEXT) | instid1(VALU_DEP_2)
	v_lshrrev_b32_e32 v10, s12, v10
	v_mul_lo_u32 v5, v5, s29
	s_delay_alu instid0(VALU_DEP_2) | instskip(NEXT) | instid1(VALU_DEP_2)
	v_mul_hi_u32 v11, s14, v10
	v_add3_u32 v2, v12, v2, v5
	s_delay_alu instid0(VALU_DEP_2) | instskip(NEXT) | instid1(VALU_DEP_1)
	v_add_nc_u32_e32 v11, v10, v11
	v_lshrrev_b32_e32 v4, s15, v11
	v_mul_lo_u32 v11, v10, s26
	s_delay_alu instid0(VALU_DEP_2) | instskip(NEXT) | instid1(VALU_DEP_2)
	v_mul_lo_u32 v14, v4, s13
	v_sub_nc_u32_e32 v9, v9, v11
	s_delay_alu instid0(VALU_DEP_2) | instskip(NEXT) | instid1(VALU_DEP_2)
	v_sub_nc_u32_e32 v10, v10, v14
	v_mul_lo_u32 v9, v9, s30
	s_delay_alu instid0(VALU_DEP_2) | instskip(NEXT) | instid1(VALU_DEP_1)
	v_mul_lo_u32 v10, v10, s31
	v_add3_u32 v2, v9, v2, v10
	s_cbranch_scc1 .LBB5_46
; %bb.47:
	s_and_b32 s7, s7, 3
	s_delay_alu instid0(SALU_CYCLE_1)
	s_cmp_eq_u32 s7, 0
	s_cbranch_scc0 .LBB5_50
	s_branch .LBB5_52
.LBB5_48:
	s_mov_b32 s6, -1
                                        ; implicit-def: $vgpr2
	s_branch .LBB5_52
.LBB5_49:
	v_mov_b32_e32 v4, v3
	s_and_b32 s7, s7, 3
	s_delay_alu instid0(SALU_CYCLE_1)
	s_cmp_eq_u32 s7, 0
	s_cbranch_scc1 .LBB5_52
.LBB5_50:
	s_lshl_b32 s2, s8, 2
	s_mul_i32 s4, s8, 12
	s_add_u32 s2, s2, s0
	s_addc_u32 s3, 0, s1
	s_add_u32 s2, s2, 0xc4
	s_addc_u32 s3, s3, 0
	;; [unrolled: 2-line block ×3, first 2 shown]
	.p2align	6
.LBB5_51:                               ; =>This Inner Loop Header: Depth=1
	s_clause 0x1
	s_load_b64 s[8:9], s[4:5], 0x4
	s_load_b32 s10, s[4:5], 0xc
	s_add_u32 s4, s4, 12
	s_addc_u32 s5, s5, 0
	s_waitcnt lgkmcnt(0)
	v_mul_hi_u32 v5, s9, v4
	s_load_b32 s9, s[2:3], 0x0
	s_add_u32 s2, s2, 4
	s_addc_u32 s3, s3, 0
	s_add_i32 s7, s7, -1
	s_delay_alu instid0(SALU_CYCLE_1) | instskip(NEXT) | instid1(VALU_DEP_1)
	s_cmp_lg_u32 s7, 0
	v_add_nc_u32_e32 v5, v4, v5
	s_delay_alu instid0(VALU_DEP_1) | instskip(NEXT) | instid1(VALU_DEP_1)
	v_lshrrev_b32_e32 v5, s10, v5
	v_mul_lo_u32 v9, v5, s8
	s_delay_alu instid0(VALU_DEP_1) | instskip(SKIP_1) | instid1(VALU_DEP_1)
	v_sub_nc_u32_e32 v4, v4, v9
	s_waitcnt lgkmcnt(0)
	v_mad_u64_u32 v[9:10], null, v4, s9, v[2:3]
	v_mov_b32_e32 v4, v5
	s_delay_alu instid0(VALU_DEP_2)
	v_mov_b32_e32 v2, v9
	s_cbranch_scc1 .LBB5_51
.LBB5_52:
	s_and_not1_b32 vcc_lo, exec_lo, s6
	s_cbranch_vccnz .LBB5_55
; %bb.53:
	s_clause 0x1
	s_load_b128 s[4:7], s[0:1], 0x4
	s_load_b32 s2, s[0:1], 0xc4
	s_cmp_lt_u32 s18, 2
	s_waitcnt lgkmcnt(0)
	v_mul_hi_u32 v2, s5, v3
	s_delay_alu instid0(VALU_DEP_1) | instskip(NEXT) | instid1(VALU_DEP_1)
	v_add_nc_u32_e32 v2, v3, v2
	v_lshrrev_b32_e32 v4, s6, v2
	s_delay_alu instid0(VALU_DEP_1) | instskip(NEXT) | instid1(VALU_DEP_1)
	v_mul_lo_u32 v2, v4, s4
	v_sub_nc_u32_e32 v2, v3, v2
	s_delay_alu instid0(VALU_DEP_1)
	v_mul_lo_u32 v2, v2, s2
	s_cbranch_scc1 .LBB5_55
; %bb.54:
	s_clause 0x1
	s_load_b128 s[4:7], s[0:1], 0x10
	s_load_b32 s2, s[0:1], 0xc8
	s_waitcnt lgkmcnt(0)
	v_mul_hi_u32 v3, s5, v4
	s_delay_alu instid0(VALU_DEP_1) | instskip(NEXT) | instid1(VALU_DEP_1)
	v_add_nc_u32_e32 v3, v4, v3
	v_lshrrev_b32_e32 v3, s6, v3
	s_delay_alu instid0(VALU_DEP_1) | instskip(NEXT) | instid1(VALU_DEP_1)
	v_mul_lo_u32 v3, v3, s4
	v_sub_nc_u32_e32 v5, v4, v3
	s_delay_alu instid0(VALU_DEP_1) | instskip(NEXT) | instid1(VALU_DEP_1)
	v_mad_u64_u32 v[3:4], null, v5, s2, v[2:3]
	v_mov_b32_e32 v2, v3
.LBB5_55:
	v_cmp_ne_u32_e32 vcc_lo, 1, v7
	v_add_nc_u32_e32 v4, 0x180, v6
	s_cbranch_vccnz .LBB5_61
; %bb.56:
	v_mov_b32_e32 v3, 0
	s_cmp_eq_u32 s18, 0
	s_mov_b32 s6, 0
	s_cbranch_scc1 .LBB5_65
; %bb.57:
	s_min_u32 s7, s19, 15
	v_mov_b32_e32 v3, 0
	s_add_i32 s7, s7, 1
	s_cmp_eq_u32 s19, 2
	s_mov_b32 s8, 0
	s_cbranch_scc1 .LBB5_62
; %bb.58:
	v_mov_b32_e32 v3, 0
	v_mov_b32_e32 v5, v4
	s_add_u32 s2, s0, 0xc4
	s_addc_u32 s3, s1, 0
	s_and_b32 s8, s7, 28
	s_mov_b32 s9, 0
	s_mov_b64 s[4:5], s[0:1]
.LBB5_59:                               ; =>This Inner Loop Header: Depth=1
	s_clause 0x1
	s_load_b256 s[20:27], s[4:5], 0x4
	s_load_b128 s[12:15], s[4:5], 0x24
	s_load_b128 s[28:31], s[2:3], 0x0
	s_add_u32 s4, s4, 48
	s_addc_u32 s5, s5, 0
	s_add_i32 s9, s9, 4
	s_add_u32 s2, s2, 16
	s_addc_u32 s3, s3, 0
	s_cmp_lg_u32 s8, s9
	s_waitcnt lgkmcnt(0)
	v_mul_hi_u32 v9, s21, v5
	s_delay_alu instid0(VALU_DEP_1) | instskip(NEXT) | instid1(VALU_DEP_1)
	v_add_nc_u32_e32 v9, v5, v9
	v_lshrrev_b32_e32 v9, s22, v9
	s_delay_alu instid0(VALU_DEP_1) | instskip(SKIP_1) | instid1(VALU_DEP_2)
	v_mul_hi_u32 v10, s24, v9
	v_mul_lo_u32 v13, v9, s20
	v_add_nc_u32_e32 v10, v9, v10
	s_delay_alu instid0(VALU_DEP_2) | instskip(NEXT) | instid1(VALU_DEP_2)
	v_sub_nc_u32_e32 v13, v5, v13
	v_lshrrev_b32_e32 v10, s25, v10
	s_delay_alu instid0(VALU_DEP_2) | instskip(NEXT) | instid1(VALU_DEP_2)
	v_mul_lo_u32 v13, v13, s28
	v_mul_hi_u32 v11, s27, v10
	v_mul_lo_u32 v14, v10, s23
	s_delay_alu instid0(VALU_DEP_2) | instskip(NEXT) | instid1(VALU_DEP_2)
	v_add_nc_u32_e32 v11, v10, v11
	v_sub_nc_u32_e32 v9, v9, v14
	s_delay_alu instid0(VALU_DEP_2) | instskip(NEXT) | instid1(VALU_DEP_2)
	v_lshrrev_b32_e32 v11, s12, v11
	v_mul_lo_u32 v9, v9, s29
	s_delay_alu instid0(VALU_DEP_2) | instskip(NEXT) | instid1(VALU_DEP_2)
	v_mul_hi_u32 v12, s14, v11
	v_add3_u32 v3, v13, v3, v9
	s_delay_alu instid0(VALU_DEP_2) | instskip(NEXT) | instid1(VALU_DEP_1)
	v_add_nc_u32_e32 v12, v11, v12
	v_lshrrev_b32_e32 v5, s15, v12
	v_mul_lo_u32 v12, v11, s26
	s_delay_alu instid0(VALU_DEP_2) | instskip(NEXT) | instid1(VALU_DEP_2)
	v_mul_lo_u32 v15, v5, s13
	v_sub_nc_u32_e32 v10, v10, v12
	s_delay_alu instid0(VALU_DEP_2) | instskip(NEXT) | instid1(VALU_DEP_2)
	v_sub_nc_u32_e32 v11, v11, v15
	v_mul_lo_u32 v10, v10, s30
	s_delay_alu instid0(VALU_DEP_2) | instskip(NEXT) | instid1(VALU_DEP_1)
	v_mul_lo_u32 v11, v11, s31
	v_add3_u32 v3, v10, v3, v11
	s_cbranch_scc1 .LBB5_59
; %bb.60:
	s_and_b32 s7, s7, 3
	s_delay_alu instid0(SALU_CYCLE_1)
	s_cmp_eq_u32 s7, 0
	s_cbranch_scc0 .LBB5_63
	s_branch .LBB5_65
.LBB5_61:
	s_mov_b32 s6, -1
                                        ; implicit-def: $vgpr3
	s_branch .LBB5_65
.LBB5_62:
	v_mov_b32_e32 v5, v4
	s_and_b32 s7, s7, 3
	s_delay_alu instid0(SALU_CYCLE_1)
	s_cmp_eq_u32 s7, 0
	s_cbranch_scc1 .LBB5_65
.LBB5_63:
	s_lshl_b32 s2, s8, 2
	s_mul_i32 s4, s8, 12
	s_add_u32 s2, s2, s0
	s_addc_u32 s3, 0, s1
	s_add_u32 s2, s2, 0xc4
	s_addc_u32 s3, s3, 0
	;; [unrolled: 2-line block ×3, first 2 shown]
	.p2align	6
.LBB5_64:                               ; =>This Inner Loop Header: Depth=1
	s_clause 0x1
	s_load_b64 s[8:9], s[4:5], 0x4
	s_load_b32 s10, s[4:5], 0xc
	s_add_u32 s4, s4, 12
	s_addc_u32 s5, s5, 0
	s_waitcnt lgkmcnt(0)
	v_mul_hi_u32 v9, s9, v5
	s_load_b32 s9, s[2:3], 0x0
	s_add_u32 s2, s2, 4
	s_addc_u32 s3, s3, 0
	s_add_i32 s7, s7, -1
	s_delay_alu instid0(SALU_CYCLE_1) | instskip(NEXT) | instid1(VALU_DEP_1)
	s_cmp_lg_u32 s7, 0
	v_add_nc_u32_e32 v9, v5, v9
	s_delay_alu instid0(VALU_DEP_1) | instskip(NEXT) | instid1(VALU_DEP_1)
	v_lshrrev_b32_e32 v11, s10, v9
	v_mul_lo_u32 v9, v11, s8
	s_delay_alu instid0(VALU_DEP_1) | instskip(SKIP_1) | instid1(VALU_DEP_1)
	v_sub_nc_u32_e32 v5, v5, v9
	s_waitcnt lgkmcnt(0)
	v_mad_u64_u32 v[9:10], null, v5, s9, v[3:4]
	v_mov_b32_e32 v5, v11
	s_delay_alu instid0(VALU_DEP_2)
	v_mov_b32_e32 v3, v9
	s_cbranch_scc1 .LBB5_64
.LBB5_65:
	s_and_not1_b32 vcc_lo, exec_lo, s6
	s_cbranch_vccnz .LBB5_68
; %bb.66:
	s_clause 0x1
	s_load_b128 s[4:7], s[0:1], 0x4
	s_load_b32 s2, s[0:1], 0xc4
	s_cmp_lt_u32 s18, 2
	s_waitcnt lgkmcnt(0)
	v_mul_hi_u32 v3, s5, v4
	s_delay_alu instid0(VALU_DEP_1) | instskip(NEXT) | instid1(VALU_DEP_1)
	v_add_nc_u32_e32 v3, v4, v3
	v_lshrrev_b32_e32 v5, s6, v3
	s_delay_alu instid0(VALU_DEP_1) | instskip(NEXT) | instid1(VALU_DEP_1)
	v_mul_lo_u32 v3, v5, s4
	v_sub_nc_u32_e32 v3, v4, v3
	s_delay_alu instid0(VALU_DEP_1)
	v_mul_lo_u32 v3, v3, s2
	s_cbranch_scc1 .LBB5_68
; %bb.67:
	s_clause 0x1
	s_load_b128 s[4:7], s[0:1], 0x10
	s_load_b32 s2, s[0:1], 0xc8
	s_waitcnt lgkmcnt(0)
	v_mul_hi_u32 v4, s5, v5
	s_delay_alu instid0(VALU_DEP_1) | instskip(NEXT) | instid1(VALU_DEP_1)
	v_add_nc_u32_e32 v4, v5, v4
	v_lshrrev_b32_e32 v4, s6, v4
	s_delay_alu instid0(VALU_DEP_1) | instskip(NEXT) | instid1(VALU_DEP_1)
	v_mul_lo_u32 v4, v4, s4
	v_sub_nc_u32_e32 v9, v5, v4
	s_delay_alu instid0(VALU_DEP_1) | instskip(NEXT) | instid1(VALU_DEP_1)
	v_mad_u64_u32 v[4:5], null, v9, s2, v[3:4]
	v_mov_b32_e32 v3, v4
.LBB5_68:
	v_cmp_ne_u32_e32 vcc_lo, 1, v7
	v_add_nc_u32_e32 v5, 0x200, v6
	s_cbranch_vccnz .LBB5_74
; %bb.69:
	v_mov_b32_e32 v4, 0
	s_cmp_eq_u32 s18, 0
	s_mov_b32 s6, 0
	s_cbranch_scc1 .LBB5_78
; %bb.70:
	s_min_u32 s7, s19, 15
	v_mov_b32_e32 v4, 0
	s_add_i32 s7, s7, 1
	s_cmp_eq_u32 s19, 2
	s_mov_b32 s8, 0
	s_cbranch_scc1 .LBB5_75
; %bb.71:
	v_dual_mov_b32 v4, 0 :: v_dual_mov_b32 v9, v5
	s_add_u32 s2, s0, 0xc4
	s_addc_u32 s3, s1, 0
	s_and_b32 s8, s7, 28
	s_mov_b32 s9, 0
	s_mov_b64 s[4:5], s[0:1]
.LBB5_72:                               ; =>This Inner Loop Header: Depth=1
	s_clause 0x1
	s_load_b256 s[20:27], s[4:5], 0x4
	s_load_b128 s[12:15], s[4:5], 0x24
	s_load_b128 s[28:31], s[2:3], 0x0
	s_add_u32 s4, s4, 48
	s_addc_u32 s5, s5, 0
	s_add_i32 s9, s9, 4
	s_add_u32 s2, s2, 16
	s_addc_u32 s3, s3, 0
	s_cmp_lg_u32 s8, s9
	s_waitcnt lgkmcnt(0)
	v_mul_hi_u32 v10, s21, v9
	s_delay_alu instid0(VALU_DEP_1) | instskip(NEXT) | instid1(VALU_DEP_1)
	v_add_nc_u32_e32 v10, v9, v10
	v_lshrrev_b32_e32 v10, s22, v10
	s_delay_alu instid0(VALU_DEP_1) | instskip(SKIP_1) | instid1(VALU_DEP_2)
	v_mul_hi_u32 v11, s24, v10
	v_mul_lo_u32 v14, v10, s20
	v_add_nc_u32_e32 v11, v10, v11
	s_delay_alu instid0(VALU_DEP_2) | instskip(NEXT) | instid1(VALU_DEP_2)
	v_sub_nc_u32_e32 v14, v9, v14
	v_lshrrev_b32_e32 v11, s25, v11
	s_delay_alu instid0(VALU_DEP_2) | instskip(NEXT) | instid1(VALU_DEP_2)
	v_mul_lo_u32 v14, v14, s28
	v_mul_hi_u32 v12, s27, v11
	v_mul_lo_u32 v15, v11, s23
	s_delay_alu instid0(VALU_DEP_2) | instskip(NEXT) | instid1(VALU_DEP_2)
	v_add_nc_u32_e32 v12, v11, v12
	v_sub_nc_u32_e32 v10, v10, v15
	s_delay_alu instid0(VALU_DEP_2) | instskip(NEXT) | instid1(VALU_DEP_2)
	v_lshrrev_b32_e32 v12, s12, v12
	v_mul_lo_u32 v10, v10, s29
	s_delay_alu instid0(VALU_DEP_2) | instskip(NEXT) | instid1(VALU_DEP_2)
	v_mul_hi_u32 v13, s14, v12
	v_add3_u32 v4, v14, v4, v10
	s_delay_alu instid0(VALU_DEP_2) | instskip(NEXT) | instid1(VALU_DEP_1)
	v_add_nc_u32_e32 v13, v12, v13
	v_lshrrev_b32_e32 v9, s15, v13
	v_mul_lo_u32 v13, v12, s26
	s_delay_alu instid0(VALU_DEP_2) | instskip(NEXT) | instid1(VALU_DEP_2)
	v_mul_lo_u32 v16, v9, s13
	v_sub_nc_u32_e32 v11, v11, v13
	s_delay_alu instid0(VALU_DEP_2) | instskip(NEXT) | instid1(VALU_DEP_2)
	v_sub_nc_u32_e32 v12, v12, v16
	v_mul_lo_u32 v11, v11, s30
	s_delay_alu instid0(VALU_DEP_2) | instskip(NEXT) | instid1(VALU_DEP_1)
	v_mul_lo_u32 v12, v12, s31
	v_add3_u32 v4, v11, v4, v12
	s_cbranch_scc1 .LBB5_72
; %bb.73:
	s_and_b32 s7, s7, 3
	s_delay_alu instid0(SALU_CYCLE_1)
	s_cmp_eq_u32 s7, 0
	s_cbranch_scc0 .LBB5_76
	s_branch .LBB5_78
.LBB5_74:
	s_mov_b32 s6, -1
                                        ; implicit-def: $vgpr4
	s_branch .LBB5_78
.LBB5_75:
	v_mov_b32_e32 v9, v5
	s_and_b32 s7, s7, 3
	s_delay_alu instid0(SALU_CYCLE_1)
	s_cmp_eq_u32 s7, 0
	s_cbranch_scc1 .LBB5_78
.LBB5_76:
	s_lshl_b32 s2, s8, 2
	s_mul_i32 s4, s8, 12
	s_add_u32 s2, s2, s0
	s_addc_u32 s3, 0, s1
	s_add_u32 s2, s2, 0xc4
	s_addc_u32 s3, s3, 0
	;; [unrolled: 2-line block ×3, first 2 shown]
	.p2align	6
.LBB5_77:                               ; =>This Inner Loop Header: Depth=1
	s_clause 0x1
	s_load_b64 s[8:9], s[4:5], 0x4
	s_load_b32 s10, s[4:5], 0xc
	s_add_u32 s4, s4, 12
	s_addc_u32 s5, s5, 0
	s_waitcnt lgkmcnt(0)
	v_mul_hi_u32 v10, s9, v9
	s_load_b32 s9, s[2:3], 0x0
	s_add_u32 s2, s2, 4
	s_addc_u32 s3, s3, 0
	s_add_i32 s7, s7, -1
	s_delay_alu instid0(SALU_CYCLE_1) | instskip(NEXT) | instid1(VALU_DEP_1)
	s_cmp_lg_u32 s7, 0
	v_add_nc_u32_e32 v10, v9, v10
	s_delay_alu instid0(VALU_DEP_1) | instskip(NEXT) | instid1(VALU_DEP_1)
	v_lshrrev_b32_e32 v12, s10, v10
	v_mul_lo_u32 v10, v12, s8
	s_delay_alu instid0(VALU_DEP_1) | instskip(SKIP_1) | instid1(VALU_DEP_1)
	v_sub_nc_u32_e32 v9, v9, v10
	s_waitcnt lgkmcnt(0)
	v_mad_u64_u32 v[10:11], null, v9, s9, v[4:5]
	s_delay_alu instid0(VALU_DEP_1)
	v_dual_mov_b32 v9, v12 :: v_dual_mov_b32 v4, v10
	s_cbranch_scc1 .LBB5_77
.LBB5_78:
	s_and_not1_b32 vcc_lo, exec_lo, s6
	s_cbranch_vccnz .LBB5_81
; %bb.79:
	s_clause 0x1
	s_load_b128 s[4:7], s[0:1], 0x4
	s_load_b32 s2, s[0:1], 0xc4
	s_cmp_lt_u32 s18, 2
	s_waitcnt lgkmcnt(0)
	v_mul_hi_u32 v4, s5, v5
	s_delay_alu instid0(VALU_DEP_1) | instskip(NEXT) | instid1(VALU_DEP_1)
	v_add_nc_u32_e32 v4, v5, v4
	v_lshrrev_b32_e32 v9, s6, v4
	s_delay_alu instid0(VALU_DEP_1) | instskip(NEXT) | instid1(VALU_DEP_1)
	v_mul_lo_u32 v4, v9, s4
	v_sub_nc_u32_e32 v4, v5, v4
	s_delay_alu instid0(VALU_DEP_1)
	v_mul_lo_u32 v4, v4, s2
	s_cbranch_scc1 .LBB5_81
; %bb.80:
	s_clause 0x1
	s_load_b128 s[4:7], s[0:1], 0x10
	s_load_b32 s2, s[0:1], 0xc8
	s_waitcnt lgkmcnt(0)
	v_mul_hi_u32 v5, s5, v9
	s_delay_alu instid0(VALU_DEP_1) | instskip(NEXT) | instid1(VALU_DEP_1)
	v_add_nc_u32_e32 v5, v9, v5
	v_lshrrev_b32_e32 v5, s6, v5
	s_delay_alu instid0(VALU_DEP_1) | instskip(NEXT) | instid1(VALU_DEP_1)
	v_mul_lo_u32 v5, v5, s4
	v_sub_nc_u32_e32 v5, v9, v5
	s_delay_alu instid0(VALU_DEP_1) | instskip(NEXT) | instid1(VALU_DEP_1)
	v_mad_u64_u32 v[9:10], null, v5, s2, v[4:5]
	v_mov_b32_e32 v4, v9
.LBB5_81:
	v_cmp_ne_u32_e32 vcc_lo, 1, v7
	v_add_nc_u32_e32 v9, 0x280, v6
	s_cbranch_vccnz .LBB5_87
; %bb.82:
	v_mov_b32_e32 v5, 0
	s_cmp_eq_u32 s18, 0
	s_mov_b32 s6, 0
	s_cbranch_scc1 .LBB5_91
; %bb.83:
	s_min_u32 s7, s19, 15
	v_mov_b32_e32 v5, 0
	s_add_i32 s7, s7, 1
	s_cmp_eq_u32 s19, 2
	s_mov_b32 s8, 0
	s_cbranch_scc1 .LBB5_88
; %bb.84:
	v_dual_mov_b32 v5, 0 :: v_dual_mov_b32 v10, v9
	s_add_u32 s2, s0, 0xc4
	s_addc_u32 s3, s1, 0
	s_and_b32 s8, s7, 28
	s_mov_b32 s9, 0
	s_mov_b64 s[4:5], s[0:1]
.LBB5_85:                               ; =>This Inner Loop Header: Depth=1
	s_clause 0x1
	s_load_b256 s[20:27], s[4:5], 0x4
	s_load_b128 s[12:15], s[4:5], 0x24
	s_load_b128 s[28:31], s[2:3], 0x0
	s_add_u32 s4, s4, 48
	s_addc_u32 s5, s5, 0
	s_add_i32 s9, s9, 4
	s_add_u32 s2, s2, 16
	s_addc_u32 s3, s3, 0
	s_cmp_lg_u32 s8, s9
	s_waitcnt lgkmcnt(0)
	v_mul_hi_u32 v11, s21, v10
	s_delay_alu instid0(VALU_DEP_1) | instskip(NEXT) | instid1(VALU_DEP_1)
	v_add_nc_u32_e32 v11, v10, v11
	v_lshrrev_b32_e32 v11, s22, v11
	s_delay_alu instid0(VALU_DEP_1) | instskip(SKIP_1) | instid1(VALU_DEP_2)
	v_mul_hi_u32 v12, s24, v11
	v_mul_lo_u32 v15, v11, s20
	v_add_nc_u32_e32 v12, v11, v12
	s_delay_alu instid0(VALU_DEP_2) | instskip(NEXT) | instid1(VALU_DEP_2)
	v_sub_nc_u32_e32 v15, v10, v15
	v_lshrrev_b32_e32 v12, s25, v12
	s_delay_alu instid0(VALU_DEP_2) | instskip(NEXT) | instid1(VALU_DEP_2)
	v_mul_lo_u32 v15, v15, s28
	v_mul_hi_u32 v13, s27, v12
	v_mul_lo_u32 v16, v12, s23
	s_delay_alu instid0(VALU_DEP_2) | instskip(NEXT) | instid1(VALU_DEP_2)
	v_add_nc_u32_e32 v13, v12, v13
	v_sub_nc_u32_e32 v11, v11, v16
	s_delay_alu instid0(VALU_DEP_2) | instskip(NEXT) | instid1(VALU_DEP_2)
	v_lshrrev_b32_e32 v13, s12, v13
	v_mul_lo_u32 v11, v11, s29
	s_delay_alu instid0(VALU_DEP_2) | instskip(NEXT) | instid1(VALU_DEP_2)
	v_mul_hi_u32 v14, s14, v13
	v_add3_u32 v5, v15, v5, v11
	s_delay_alu instid0(VALU_DEP_2) | instskip(NEXT) | instid1(VALU_DEP_1)
	v_add_nc_u32_e32 v14, v13, v14
	v_lshrrev_b32_e32 v10, s15, v14
	v_mul_lo_u32 v14, v13, s26
	s_delay_alu instid0(VALU_DEP_2) | instskip(NEXT) | instid1(VALU_DEP_2)
	v_mul_lo_u32 v17, v10, s13
	v_sub_nc_u32_e32 v12, v12, v14
	s_delay_alu instid0(VALU_DEP_2) | instskip(NEXT) | instid1(VALU_DEP_2)
	v_sub_nc_u32_e32 v13, v13, v17
	v_mul_lo_u32 v12, v12, s30
	s_delay_alu instid0(VALU_DEP_2) | instskip(NEXT) | instid1(VALU_DEP_1)
	v_mul_lo_u32 v13, v13, s31
	v_add3_u32 v5, v12, v5, v13
	s_cbranch_scc1 .LBB5_85
; %bb.86:
	s_and_b32 s7, s7, 3
	s_delay_alu instid0(SALU_CYCLE_1)
	s_cmp_eq_u32 s7, 0
	s_cbranch_scc0 .LBB5_89
	s_branch .LBB5_91
.LBB5_87:
	s_mov_b32 s6, -1
                                        ; implicit-def: $vgpr5
	s_branch .LBB5_91
.LBB5_88:
	v_mov_b32_e32 v10, v9
	s_and_b32 s7, s7, 3
	s_delay_alu instid0(SALU_CYCLE_1)
	s_cmp_eq_u32 s7, 0
	s_cbranch_scc1 .LBB5_91
.LBB5_89:
	s_lshl_b32 s2, s8, 2
	s_mul_i32 s4, s8, 12
	s_add_u32 s2, s2, s0
	s_addc_u32 s3, 0, s1
	s_add_u32 s2, s2, 0xc4
	s_addc_u32 s3, s3, 0
	;; [unrolled: 2-line block ×3, first 2 shown]
	.p2align	6
.LBB5_90:                               ; =>This Inner Loop Header: Depth=1
	s_clause 0x1
	s_load_b64 s[8:9], s[4:5], 0x4
	s_load_b32 s10, s[4:5], 0xc
	s_add_u32 s4, s4, 12
	s_addc_u32 s5, s5, 0
	s_waitcnt lgkmcnt(0)
	v_mul_hi_u32 v11, s9, v10
	s_load_b32 s9, s[2:3], 0x0
	s_add_u32 s2, s2, 4
	s_addc_u32 s3, s3, 0
	s_add_i32 s7, s7, -1
	s_delay_alu instid0(SALU_CYCLE_1) | instskip(NEXT) | instid1(VALU_DEP_1)
	s_cmp_lg_u32 s7, 0
	v_add_nc_u32_e32 v11, v10, v11
	s_delay_alu instid0(VALU_DEP_1) | instskip(NEXT) | instid1(VALU_DEP_1)
	v_lshrrev_b32_e32 v13, s10, v11
	v_mul_lo_u32 v11, v13, s8
	s_delay_alu instid0(VALU_DEP_1) | instskip(SKIP_1) | instid1(VALU_DEP_1)
	v_sub_nc_u32_e32 v10, v10, v11
	s_waitcnt lgkmcnt(0)
	v_mad_u64_u32 v[11:12], null, v10, s9, v[5:6]
	s_delay_alu instid0(VALU_DEP_1)
	v_dual_mov_b32 v10, v13 :: v_dual_mov_b32 v5, v11
	s_cbranch_scc1 .LBB5_90
.LBB5_91:
	s_and_not1_b32 vcc_lo, exec_lo, s6
	s_cbranch_vccnz .LBB5_94
; %bb.92:
	s_clause 0x1
	s_load_b128 s[4:7], s[0:1], 0x4
	s_load_b32 s2, s[0:1], 0xc4
	s_cmp_lt_u32 s18, 2
	s_waitcnt lgkmcnt(0)
	v_mul_hi_u32 v5, s5, v9
	s_delay_alu instid0(VALU_DEP_1) | instskip(NEXT) | instid1(VALU_DEP_1)
	v_add_nc_u32_e32 v5, v9, v5
	v_lshrrev_b32_e32 v10, s6, v5
	s_delay_alu instid0(VALU_DEP_1) | instskip(NEXT) | instid1(VALU_DEP_1)
	v_mul_lo_u32 v5, v10, s4
	v_sub_nc_u32_e32 v5, v9, v5
	s_delay_alu instid0(VALU_DEP_1)
	v_mul_lo_u32 v5, v5, s2
	s_cbranch_scc1 .LBB5_94
; %bb.93:
	s_clause 0x1
	s_load_b128 s[4:7], s[0:1], 0x10
	s_load_b32 s2, s[0:1], 0xc8
	s_waitcnt lgkmcnt(0)
	v_mul_hi_u32 v9, s5, v10
	s_delay_alu instid0(VALU_DEP_1) | instskip(NEXT) | instid1(VALU_DEP_1)
	v_add_nc_u32_e32 v9, v10, v9
	v_lshrrev_b32_e32 v9, s6, v9
	s_delay_alu instid0(VALU_DEP_1) | instskip(NEXT) | instid1(VALU_DEP_1)
	v_mul_lo_u32 v9, v9, s4
	v_sub_nc_u32_e32 v11, v10, v9
	s_delay_alu instid0(VALU_DEP_1) | instskip(NEXT) | instid1(VALU_DEP_1)
	v_mad_u64_u32 v[9:10], null, v11, s2, v[5:6]
	v_mov_b32_e32 v5, v9
.LBB5_94:
	v_cmp_ne_u32_e32 vcc_lo, 1, v7
	v_add_nc_u32_e32 v9, 0x300, v6
	s_cbranch_vccnz .LBB5_100
; %bb.95:
	v_mov_b32_e32 v6, 0
	s_cmp_eq_u32 s18, 0
	s_mov_b32 s6, 0
	s_cbranch_scc1 .LBB5_104
; %bb.96:
	s_min_u32 s7, s19, 15
	v_mov_b32_e32 v6, 0
	s_add_i32 s7, s7, 1
	s_cmp_eq_u32 s19, 2
	s_mov_b32 s8, 0
	s_cbranch_scc1 .LBB5_101
; %bb.97:
	v_mov_b32_e32 v6, 0
	v_mov_b32_e32 v10, v9
	s_add_u32 s2, s0, 0xc4
	s_addc_u32 s3, s1, 0
	s_and_b32 s8, s7, 28
	s_mov_b32 s9, 0
	s_mov_b64 s[4:5], s[0:1]
.LBB5_98:                               ; =>This Inner Loop Header: Depth=1
	s_clause 0x1
	s_load_b256 s[20:27], s[4:5], 0x4
	s_load_b128 s[12:15], s[4:5], 0x24
	s_load_b128 s[28:31], s[2:3], 0x0
	s_add_u32 s4, s4, 48
	s_addc_u32 s5, s5, 0
	s_add_i32 s9, s9, 4
	s_add_u32 s2, s2, 16
	s_addc_u32 s3, s3, 0
	s_cmp_lg_u32 s8, s9
	s_waitcnt lgkmcnt(0)
	v_mul_hi_u32 v11, s21, v10
	s_delay_alu instid0(VALU_DEP_1) | instskip(NEXT) | instid1(VALU_DEP_1)
	v_add_nc_u32_e32 v11, v10, v11
	v_lshrrev_b32_e32 v11, s22, v11
	s_delay_alu instid0(VALU_DEP_1) | instskip(SKIP_1) | instid1(VALU_DEP_2)
	v_mul_hi_u32 v12, s24, v11
	v_mul_lo_u32 v15, v11, s20
	v_add_nc_u32_e32 v12, v11, v12
	s_delay_alu instid0(VALU_DEP_2) | instskip(NEXT) | instid1(VALU_DEP_2)
	v_sub_nc_u32_e32 v15, v10, v15
	v_lshrrev_b32_e32 v12, s25, v12
	s_delay_alu instid0(VALU_DEP_2) | instskip(NEXT) | instid1(VALU_DEP_2)
	v_mul_lo_u32 v15, v15, s28
	v_mul_hi_u32 v13, s27, v12
	v_mul_lo_u32 v16, v12, s23
	s_delay_alu instid0(VALU_DEP_2) | instskip(NEXT) | instid1(VALU_DEP_2)
	v_add_nc_u32_e32 v13, v12, v13
	v_sub_nc_u32_e32 v11, v11, v16
	s_delay_alu instid0(VALU_DEP_2) | instskip(NEXT) | instid1(VALU_DEP_2)
	v_lshrrev_b32_e32 v13, s12, v13
	v_mul_lo_u32 v11, v11, s29
	s_delay_alu instid0(VALU_DEP_2) | instskip(NEXT) | instid1(VALU_DEP_2)
	v_mul_hi_u32 v14, s14, v13
	v_add3_u32 v6, v15, v6, v11
	s_delay_alu instid0(VALU_DEP_2) | instskip(NEXT) | instid1(VALU_DEP_1)
	v_add_nc_u32_e32 v14, v13, v14
	v_lshrrev_b32_e32 v10, s15, v14
	v_mul_lo_u32 v14, v13, s26
	s_delay_alu instid0(VALU_DEP_2) | instskip(NEXT) | instid1(VALU_DEP_2)
	v_mul_lo_u32 v17, v10, s13
	v_sub_nc_u32_e32 v12, v12, v14
	s_delay_alu instid0(VALU_DEP_2) | instskip(NEXT) | instid1(VALU_DEP_2)
	v_sub_nc_u32_e32 v13, v13, v17
	v_mul_lo_u32 v12, v12, s30
	s_delay_alu instid0(VALU_DEP_2) | instskip(NEXT) | instid1(VALU_DEP_1)
	v_mul_lo_u32 v13, v13, s31
	v_add3_u32 v6, v12, v6, v13
	s_cbranch_scc1 .LBB5_98
; %bb.99:
	s_and_b32 s7, s7, 3
	s_delay_alu instid0(SALU_CYCLE_1)
	s_cmp_eq_u32 s7, 0
	s_cbranch_scc0 .LBB5_102
	s_branch .LBB5_104
.LBB5_100:
	s_mov_b32 s6, -1
                                        ; implicit-def: $vgpr6
	s_branch .LBB5_104
.LBB5_101:
	v_mov_b32_e32 v10, v9
	s_and_b32 s7, s7, 3
	s_delay_alu instid0(SALU_CYCLE_1)
	s_cmp_eq_u32 s7, 0
	s_cbranch_scc1 .LBB5_104
.LBB5_102:
	s_lshl_b32 s2, s8, 2
	s_mul_i32 s4, s8, 12
	s_add_u32 s2, s2, s0
	s_addc_u32 s3, 0, s1
	s_add_u32 s2, s2, 0xc4
	s_addc_u32 s3, s3, 0
	s_add_u32 s4, s0, s4
	s_addc_u32 s5, 0, s1
	.p2align	6
.LBB5_103:                              ; =>This Inner Loop Header: Depth=1
	s_clause 0x1
	s_load_b64 s[8:9], s[4:5], 0x4
	s_load_b32 s10, s[4:5], 0xc
	s_add_u32 s4, s4, 12
	s_addc_u32 s5, s5, 0
	s_waitcnt lgkmcnt(0)
	v_mul_hi_u32 v11, s9, v10
	s_load_b32 s9, s[2:3], 0x0
	s_add_u32 s2, s2, 4
	s_addc_u32 s3, s3, 0
	s_add_i32 s7, s7, -1
	s_delay_alu instid0(SALU_CYCLE_1) | instskip(NEXT) | instid1(VALU_DEP_1)
	s_cmp_lg_u32 s7, 0
	v_add_nc_u32_e32 v11, v10, v11
	s_delay_alu instid0(VALU_DEP_1) | instskip(NEXT) | instid1(VALU_DEP_1)
	v_lshrrev_b32_e32 v13, s10, v11
	v_mul_lo_u32 v11, v13, s8
	s_delay_alu instid0(VALU_DEP_1) | instskip(SKIP_1) | instid1(VALU_DEP_1)
	v_sub_nc_u32_e32 v10, v10, v11
	s_waitcnt lgkmcnt(0)
	v_mad_u64_u32 v[11:12], null, v10, s9, v[6:7]
	v_mov_b32_e32 v10, v13
	s_delay_alu instid0(VALU_DEP_2)
	v_mov_b32_e32 v6, v11
	s_cbranch_scc1 .LBB5_103
.LBB5_104:
	s_and_not1_b32 vcc_lo, exec_lo, s6
	s_cbranch_vccnz .LBB5_107
; %bb.105:
	s_clause 0x1
	s_load_b128 s[4:7], s[0:1], 0x4
	s_load_b32 s2, s[0:1], 0xc4
	s_cmp_lt_u32 s18, 2
	s_waitcnt lgkmcnt(0)
	v_mul_hi_u32 v6, s5, v9
	s_delay_alu instid0(VALU_DEP_1) | instskip(NEXT) | instid1(VALU_DEP_1)
	v_add_nc_u32_e32 v6, v9, v6
	v_lshrrev_b32_e32 v10, s6, v6
	s_delay_alu instid0(VALU_DEP_1) | instskip(NEXT) | instid1(VALU_DEP_1)
	v_mul_lo_u32 v6, v10, s4
	v_sub_nc_u32_e32 v6, v9, v6
	s_delay_alu instid0(VALU_DEP_1)
	v_mul_lo_u32 v6, v6, s2
	s_cbranch_scc1 .LBB5_107
; %bb.106:
	s_clause 0x1
	s_load_b128 s[4:7], s[0:1], 0x10
	s_load_b32 s2, s[0:1], 0xc8
	s_waitcnt lgkmcnt(0)
	v_mul_hi_u32 v9, s5, v10
	s_delay_alu instid0(VALU_DEP_1) | instskip(NEXT) | instid1(VALU_DEP_1)
	v_add_nc_u32_e32 v9, v10, v9
	v_lshrrev_b32_e32 v9, s6, v9
	s_delay_alu instid0(VALU_DEP_1) | instskip(NEXT) | instid1(VALU_DEP_1)
	v_mul_lo_u32 v9, v9, s4
	v_sub_nc_u32_e32 v11, v10, v9
	s_delay_alu instid0(VALU_DEP_1) | instskip(NEXT) | instid1(VALU_DEP_1)
	v_mad_u64_u32 v[9:10], null, v11, s2, v[6:7]
	v_mov_b32_e32 v6, v9
.LBB5_107:
	v_cmp_ne_u32_e32 vcc_lo, 1, v7
	s_cbranch_vccnz .LBB5_113
; %bb.108:
	v_mov_b32_e32 v7, 0
	s_cmp_eq_u32 s18, 0
	s_mov_b32 s6, 0
	s_cbranch_scc1 .LBB5_117
; %bb.109:
	s_min_u32 s7, s19, 15
	v_mov_b32_e32 v7, 0
	s_add_i32 s7, s7, 1
	s_cmp_eq_u32 s19, 2
	s_mov_b32 s8, 0
	s_cbranch_scc1 .LBB5_114
; %bb.110:
	v_mov_b32_e32 v7, 0
	v_mov_b32_e32 v9, v8
	s_add_u32 s2, s0, 0xc4
	s_addc_u32 s3, s1, 0
	s_and_b32 s8, s7, 28
	s_mov_b32 s9, 0
	s_mov_b64 s[4:5], s[0:1]
.LBB5_111:                              ; =>This Inner Loop Header: Depth=1
	s_clause 0x1
	s_load_b256 s[20:27], s[4:5], 0x4
	s_load_b128 s[12:15], s[4:5], 0x24
	s_load_b128 s[28:31], s[2:3], 0x0
	s_add_u32 s4, s4, 48
	s_addc_u32 s5, s5, 0
	s_add_i32 s9, s9, 4
	s_add_u32 s2, s2, 16
	s_addc_u32 s3, s3, 0
	s_cmp_lg_u32 s8, s9
	s_waitcnt lgkmcnt(0)
	v_mul_hi_u32 v10, s21, v9
	s_delay_alu instid0(VALU_DEP_1) | instskip(NEXT) | instid1(VALU_DEP_1)
	v_add_nc_u32_e32 v10, v9, v10
	v_lshrrev_b32_e32 v10, s22, v10
	s_delay_alu instid0(VALU_DEP_1) | instskip(SKIP_1) | instid1(VALU_DEP_2)
	v_mul_hi_u32 v11, s24, v10
	v_mul_lo_u32 v14, v10, s20
	v_add_nc_u32_e32 v11, v10, v11
	s_delay_alu instid0(VALU_DEP_2) | instskip(NEXT) | instid1(VALU_DEP_2)
	v_sub_nc_u32_e32 v14, v9, v14
	v_lshrrev_b32_e32 v11, s25, v11
	s_delay_alu instid0(VALU_DEP_2) | instskip(NEXT) | instid1(VALU_DEP_2)
	v_mul_lo_u32 v14, v14, s28
	v_mul_hi_u32 v12, s27, v11
	v_mul_lo_u32 v15, v11, s23
	s_delay_alu instid0(VALU_DEP_2) | instskip(NEXT) | instid1(VALU_DEP_2)
	v_add_nc_u32_e32 v12, v11, v12
	v_sub_nc_u32_e32 v10, v10, v15
	s_delay_alu instid0(VALU_DEP_2) | instskip(NEXT) | instid1(VALU_DEP_2)
	v_lshrrev_b32_e32 v12, s12, v12
	v_mul_lo_u32 v10, v10, s29
	s_delay_alu instid0(VALU_DEP_2) | instskip(NEXT) | instid1(VALU_DEP_2)
	v_mul_hi_u32 v13, s14, v12
	v_add3_u32 v7, v14, v7, v10
	s_delay_alu instid0(VALU_DEP_2) | instskip(NEXT) | instid1(VALU_DEP_1)
	v_add_nc_u32_e32 v13, v12, v13
	v_lshrrev_b32_e32 v9, s15, v13
	v_mul_lo_u32 v13, v12, s26
	s_delay_alu instid0(VALU_DEP_2) | instskip(NEXT) | instid1(VALU_DEP_2)
	v_mul_lo_u32 v16, v9, s13
	v_sub_nc_u32_e32 v11, v11, v13
	s_delay_alu instid0(VALU_DEP_2) | instskip(NEXT) | instid1(VALU_DEP_2)
	v_sub_nc_u32_e32 v12, v12, v16
	v_mul_lo_u32 v11, v11, s30
	s_delay_alu instid0(VALU_DEP_2) | instskip(NEXT) | instid1(VALU_DEP_1)
	v_mul_lo_u32 v12, v12, s31
	v_add3_u32 v7, v11, v7, v12
	s_cbranch_scc1 .LBB5_111
; %bb.112:
	s_and_b32 s7, s7, 3
	s_delay_alu instid0(SALU_CYCLE_1)
	s_cmp_eq_u32 s7, 0
	s_cbranch_scc0 .LBB5_115
	s_branch .LBB5_117
.LBB5_113:
	s_mov_b32 s6, -1
                                        ; implicit-def: $vgpr7
	s_branch .LBB5_117
.LBB5_114:
	v_mov_b32_e32 v9, v8
	s_and_b32 s7, s7, 3
	s_delay_alu instid0(SALU_CYCLE_1)
	s_cmp_eq_u32 s7, 0
	s_cbranch_scc1 .LBB5_117
.LBB5_115:
	s_lshl_b32 s2, s8, 2
	s_mul_i32 s4, s8, 12
	s_add_u32 s2, s2, s0
	s_addc_u32 s3, 0, s1
	s_add_u32 s2, s2, 0xc4
	s_addc_u32 s3, s3, 0
	;; [unrolled: 2-line block ×3, first 2 shown]
	.p2align	6
.LBB5_116:                              ; =>This Inner Loop Header: Depth=1
	s_clause 0x1
	s_load_b64 s[8:9], s[4:5], 0x4
	s_load_b32 s10, s[4:5], 0xc
	s_add_u32 s4, s4, 12
	s_addc_u32 s5, s5, 0
	s_waitcnt lgkmcnt(0)
	v_mul_hi_u32 v10, s9, v9
	s_load_b32 s9, s[2:3], 0x0
	s_add_u32 s2, s2, 4
	s_addc_u32 s3, s3, 0
	s_add_i32 s7, s7, -1
	s_delay_alu instid0(SALU_CYCLE_1) | instskip(NEXT) | instid1(VALU_DEP_1)
	s_cmp_lg_u32 s7, 0
	v_add_nc_u32_e32 v10, v9, v10
	s_delay_alu instid0(VALU_DEP_1) | instskip(NEXT) | instid1(VALU_DEP_1)
	v_lshrrev_b32_e32 v12, s10, v10
	v_mul_lo_u32 v10, v12, s8
	s_delay_alu instid0(VALU_DEP_1) | instskip(SKIP_1) | instid1(VALU_DEP_1)
	v_sub_nc_u32_e32 v9, v9, v10
	s_waitcnt lgkmcnt(0)
	v_mad_u64_u32 v[10:11], null, v9, s9, v[7:8]
	v_mov_b32_e32 v9, v12
	s_delay_alu instid0(VALU_DEP_2)
	v_mov_b32_e32 v7, v10
	s_cbranch_scc1 .LBB5_116
.LBB5_117:
	s_and_not1_b32 vcc_lo, exec_lo, s6
	s_cbranch_vccnz .LBB5_120
; %bb.118:
	s_clause 0x1
	s_load_b128 s[4:7], s[0:1], 0x4
	s_load_b32 s2, s[0:1], 0xc4
	s_cmp_lt_u32 s18, 2
	s_waitcnt lgkmcnt(0)
	v_mul_hi_u32 v7, s5, v8
	s_delay_alu instid0(VALU_DEP_1) | instskip(NEXT) | instid1(VALU_DEP_1)
	v_add_nc_u32_e32 v7, v8, v7
	v_lshrrev_b32_e32 v9, s6, v7
	s_delay_alu instid0(VALU_DEP_1) | instskip(NEXT) | instid1(VALU_DEP_1)
	v_mul_lo_u32 v7, v9, s4
	v_sub_nc_u32_e32 v7, v8, v7
	s_delay_alu instid0(VALU_DEP_1)
	v_mul_lo_u32 v7, v7, s2
	s_cbranch_scc1 .LBB5_120
; %bb.119:
	s_clause 0x1
	s_load_b128 s[4:7], s[0:1], 0x10
	s_load_b32 s2, s[0:1], 0xc8
	s_waitcnt lgkmcnt(0)
	v_mul_hi_u32 v8, s5, v9
	s_delay_alu instid0(VALU_DEP_1) | instskip(NEXT) | instid1(VALU_DEP_1)
	v_add_nc_u32_e32 v8, v9, v8
	v_lshrrev_b32_e32 v8, s6, v8
	s_delay_alu instid0(VALU_DEP_1) | instskip(NEXT) | instid1(VALU_DEP_1)
	v_mul_lo_u32 v8, v8, s4
	v_sub_nc_u32_e32 v10, v9, v8
	s_delay_alu instid0(VALU_DEP_1) | instskip(NEXT) | instid1(VALU_DEP_1)
	v_mad_u64_u32 v[8:9], null, v10, s2, v[7:8]
	v_mov_b32_e32 v7, v8
.LBB5_120:
	s_clause 0x1
	s_load_b32 s2, s[0:1], 0x110
	s_load_b64 s[0:1], s[0:1], 0x108
	s_waitcnt lgkmcnt(0)
	v_mov_b32_e32 v8, s2
	s_clause 0x7
	global_store_b8 v0, v8, s[0:1]
	global_store_b8 v1, v8, s[0:1]
	;; [unrolled: 1-line block ×8, first 2 shown]
	s_nop 0
	s_sendmsg sendmsg(MSG_DEALLOC_VGPRS)
	s_endpgm
.LBB5_121:
	v_mov_b32_e32 v1, v6
.LBB5_122:
	s_and_b32 s29, s29, 3
	s_delay_alu instid0(SALU_CYCLE_1)
	s_cmp_eq_u32 s29, 0
	s_cbranch_scc1 .LBB5_125
; %bb.123:
	s_lshl_b32 s14, s28, 2
	s_mul_i32 s16, s28, 12
	s_add_u32 s14, s14, s0
	s_addc_u32 s15, s1, 0
	s_add_u32 s14, s14, 0xc4
	s_addc_u32 s15, s15, 0
	;; [unrolled: 2-line block ×3, first 2 shown]
	.p2align	6
.LBB5_124:                              ; =>This Inner Loop Header: Depth=1
	s_clause 0x1
	s_load_b64 s[30:31], s[16:17], 0x4
	s_load_b32 s28, s[16:17], 0xc
	s_add_u32 s16, s16, 12
	s_addc_u32 s17, s17, 0
	s_waitcnt lgkmcnt(0)
	v_mul_hi_u32 v2, s31, v1
	s_load_b32 s31, s[14:15], 0x0
	s_add_u32 s14, s14, 4
	s_addc_u32 s15, s15, 0
	s_add_i32 s29, s29, -1
	s_delay_alu instid0(SALU_CYCLE_1) | instskip(NEXT) | instid1(VALU_DEP_1)
	s_cmp_lg_u32 s29, 0
	v_add_nc_u32_e32 v2, v1, v2
	s_delay_alu instid0(VALU_DEP_1) | instskip(NEXT) | instid1(VALU_DEP_1)
	v_lshrrev_b32_e32 v4, s28, v2
	v_mul_lo_u32 v2, v4, s30
	s_delay_alu instid0(VALU_DEP_1) | instskip(SKIP_1) | instid1(VALU_DEP_1)
	v_sub_nc_u32_e32 v1, v1, v2
	s_waitcnt lgkmcnt(0)
	v_mad_u64_u32 v[2:3], null, v1, s31, v[0:1]
	s_delay_alu instid0(VALU_DEP_1)
	v_dual_mov_b32 v1, v4 :: v_dual_mov_b32 v0, v2
	s_cbranch_scc1 .LBB5_124
.LBB5_125:
	s_cbranch_execnz .LBB5_128
.LBB5_126:
	s_waitcnt lgkmcnt(0)
	v_mul_hi_u32 v0, s5, v6
	s_and_not1_b32 vcc_lo, exec_lo, s23
	s_delay_alu instid0(VALU_DEP_1) | instskip(NEXT) | instid1(VALU_DEP_1)
	v_add_nc_u32_e32 v0, v6, v0
	v_lshrrev_b32_e32 v1, s6, v0
	s_delay_alu instid0(VALU_DEP_1) | instskip(NEXT) | instid1(VALU_DEP_1)
	v_mul_lo_u32 v0, v1, s4
	v_sub_nc_u32_e32 v0, v6, v0
	s_delay_alu instid0(VALU_DEP_1)
	v_mul_lo_u32 v0, v0, s8
	s_cbranch_vccnz .LBB5_128
; %bb.127:
	v_mul_hi_u32 v2, s10, v1
	s_delay_alu instid0(VALU_DEP_1) | instskip(NEXT) | instid1(VALU_DEP_1)
	v_add_nc_u32_e32 v2, v1, v2
	v_lshrrev_b32_e32 v2, s11, v2
	s_delay_alu instid0(VALU_DEP_1) | instskip(NEXT) | instid1(VALU_DEP_1)
	v_mul_lo_u32 v2, v2, s7
	v_sub_nc_u32_e32 v3, v1, v2
	s_delay_alu instid0(VALU_DEP_1) | instskip(NEXT) | instid1(VALU_DEP_1)
	v_mad_u64_u32 v[1:2], null, v3, s9, v[0:1]
	v_mov_b32_e32 v0, v1
.LBB5_128:
	s_waitcnt lgkmcnt(0)
	v_dual_mov_b32 v1, s22 :: v_dual_add_nc_u32 v6, 0x80, v6
	global_store_b8 v0, v1, s[2:3]
	s_or_b32 exec_lo, exec_lo, s27
	s_delay_alu instid0(SALU_CYCLE_1)
	s_mov_b32 s27, exec_lo
	v_cmpx_gt_i32_e64 s24, v6
	s_cbranch_execnz .LBB5_15
.LBB5_129:
	s_or_b32 exec_lo, exec_lo, s27
	s_delay_alu instid0(SALU_CYCLE_1)
	s_mov_b32 s27, exec_lo
	v_cmpx_gt_i32_e64 s24, v6
	s_cbranch_execz .LBB5_144
.LBB5_130:
	s_and_not1_b32 vcc_lo, exec_lo, s20
	s_cbranch_vccnz .LBB5_135
; %bb.131:
	v_mov_b32_e32 v0, 0
	s_and_not1_b32 vcc_lo, exec_lo, s26
	s_cbranch_vccnz .LBB5_155
; %bb.132:
	s_add_i32 s29, s25, 1
	s_cmp_eq_u32 s19, 2
	s_mov_b32 s28, 0
	s_cbranch_scc1 .LBB5_151
; %bb.133:
	v_dual_mov_b32 v0, 0 :: v_dual_mov_b32 v1, v6
	s_and_b32 s28, s29, 28
	s_mov_b32 s30, 0
	s_mov_b64 s[14:15], s[0:1]
	s_mov_b64 s[16:17], s[12:13]
.LBB5_134:                              ; =>This Inner Loop Header: Depth=1
	s_clause 0x1
	s_load_b256 s[36:43], s[14:15], 0x4
	s_load_b128 s[44:47], s[14:15], 0x24
	s_load_b128 s[48:51], s[16:17], 0x0
	s_add_u32 s14, s14, 48
	s_addc_u32 s15, s15, 0
	s_add_i32 s30, s30, 4
	s_add_u32 s16, s16, 16
	s_addc_u32 s17, s17, 0
	s_cmp_eq_u32 s28, s30
	s_waitcnt lgkmcnt(0)
	v_mul_hi_u32 v2, s37, v1
	s_delay_alu instid0(VALU_DEP_1) | instskip(NEXT) | instid1(VALU_DEP_1)
	v_add_nc_u32_e32 v2, v1, v2
	v_lshrrev_b32_e32 v2, s38, v2
	s_delay_alu instid0(VALU_DEP_1) | instskip(SKIP_1) | instid1(VALU_DEP_2)
	v_mul_hi_u32 v3, s40, v2
	v_mul_lo_u32 v7, v2, s36
	v_add_nc_u32_e32 v3, v2, v3
	s_delay_alu instid0(VALU_DEP_2) | instskip(NEXT) | instid1(VALU_DEP_2)
	v_sub_nc_u32_e32 v7, v1, v7
	v_lshrrev_b32_e32 v3, s41, v3
	s_delay_alu instid0(VALU_DEP_2) | instskip(NEXT) | instid1(VALU_DEP_2)
	v_mul_lo_u32 v7, v7, s48
	v_mul_hi_u32 v4, s43, v3
	v_mul_lo_u32 v8, v3, s39
	s_delay_alu instid0(VALU_DEP_2) | instskip(NEXT) | instid1(VALU_DEP_2)
	v_add_nc_u32_e32 v4, v3, v4
	v_sub_nc_u32_e32 v2, v2, v8
	s_delay_alu instid0(VALU_DEP_2) | instskip(NEXT) | instid1(VALU_DEP_2)
	v_lshrrev_b32_e32 v4, s44, v4
	v_mul_lo_u32 v2, v2, s49
	s_delay_alu instid0(VALU_DEP_2) | instskip(NEXT) | instid1(VALU_DEP_2)
	v_mul_hi_u32 v5, s46, v4
	v_add3_u32 v0, v7, v0, v2
	s_delay_alu instid0(VALU_DEP_2) | instskip(NEXT) | instid1(VALU_DEP_1)
	v_add_nc_u32_e32 v5, v4, v5
	v_lshrrev_b32_e32 v1, s47, v5
	v_mul_lo_u32 v5, v4, s42
	s_delay_alu instid0(VALU_DEP_2) | instskip(NEXT) | instid1(VALU_DEP_2)
	v_mul_lo_u32 v9, v1, s45
	v_sub_nc_u32_e32 v3, v3, v5
	s_delay_alu instid0(VALU_DEP_2) | instskip(NEXT) | instid1(VALU_DEP_2)
	v_sub_nc_u32_e32 v4, v4, v9
	v_mul_lo_u32 v3, v3, s50
	s_delay_alu instid0(VALU_DEP_2) | instskip(NEXT) | instid1(VALU_DEP_1)
	v_mul_lo_u32 v4, v4, s51
	v_add3_u32 v0, v3, v0, v4
	s_cbranch_scc0 .LBB5_134
	s_branch .LBB5_152
.LBB5_135:
                                        ; implicit-def: $vgpr0
	s_branch .LBB5_156
.LBB5_136:
	v_mov_b32_e32 v1, v6
.LBB5_137:
	s_and_b32 s29, s29, 3
	s_delay_alu instid0(SALU_CYCLE_1)
	s_cmp_eq_u32 s29, 0
	s_cbranch_scc1 .LBB5_140
; %bb.138:
	s_lshl_b32 s14, s28, 2
	s_mul_i32 s16, s28, 12
	s_add_u32 s14, s14, s0
	s_addc_u32 s15, s1, 0
	s_add_u32 s14, s14, 0xc4
	s_addc_u32 s15, s15, 0
	;; [unrolled: 2-line block ×3, first 2 shown]
	.p2align	6
.LBB5_139:                              ; =>This Inner Loop Header: Depth=1
	s_clause 0x1
	s_load_b64 s[30:31], s[16:17], 0x4
	s_load_b32 s28, s[16:17], 0xc
	s_add_u32 s16, s16, 12
	s_addc_u32 s17, s17, 0
	s_waitcnt lgkmcnt(0)
	v_mul_hi_u32 v2, s31, v1
	s_load_b32 s31, s[14:15], 0x0
	s_add_u32 s14, s14, 4
	s_addc_u32 s15, s15, 0
	s_add_i32 s29, s29, -1
	s_delay_alu instid0(SALU_CYCLE_1) | instskip(NEXT) | instid1(VALU_DEP_1)
	s_cmp_lg_u32 s29, 0
	v_add_nc_u32_e32 v2, v1, v2
	s_delay_alu instid0(VALU_DEP_1) | instskip(NEXT) | instid1(VALU_DEP_1)
	v_lshrrev_b32_e32 v4, s28, v2
	v_mul_lo_u32 v2, v4, s30
	s_delay_alu instid0(VALU_DEP_1) | instskip(SKIP_1) | instid1(VALU_DEP_1)
	v_sub_nc_u32_e32 v1, v1, v2
	s_waitcnt lgkmcnt(0)
	v_mad_u64_u32 v[2:3], null, v1, s31, v[0:1]
	s_delay_alu instid0(VALU_DEP_1)
	v_dual_mov_b32 v1, v4 :: v_dual_mov_b32 v0, v2
	s_cbranch_scc1 .LBB5_139
.LBB5_140:
	s_cbranch_execnz .LBB5_143
.LBB5_141:
	s_waitcnt lgkmcnt(0)
	v_mul_hi_u32 v0, s5, v6
	s_and_not1_b32 vcc_lo, exec_lo, s23
	s_delay_alu instid0(VALU_DEP_1) | instskip(NEXT) | instid1(VALU_DEP_1)
	v_add_nc_u32_e32 v0, v6, v0
	v_lshrrev_b32_e32 v1, s6, v0
	s_delay_alu instid0(VALU_DEP_1) | instskip(NEXT) | instid1(VALU_DEP_1)
	v_mul_lo_u32 v0, v1, s4
	v_sub_nc_u32_e32 v0, v6, v0
	s_delay_alu instid0(VALU_DEP_1)
	v_mul_lo_u32 v0, v0, s8
	s_cbranch_vccnz .LBB5_143
; %bb.142:
	v_mul_hi_u32 v2, s10, v1
	s_delay_alu instid0(VALU_DEP_1) | instskip(NEXT) | instid1(VALU_DEP_1)
	v_add_nc_u32_e32 v2, v1, v2
	v_lshrrev_b32_e32 v2, s11, v2
	s_delay_alu instid0(VALU_DEP_1) | instskip(NEXT) | instid1(VALU_DEP_1)
	v_mul_lo_u32 v2, v2, s7
	v_sub_nc_u32_e32 v3, v1, v2
	s_delay_alu instid0(VALU_DEP_1) | instskip(NEXT) | instid1(VALU_DEP_1)
	v_mad_u64_u32 v[1:2], null, v3, s9, v[0:1]
	v_mov_b32_e32 v0, v1
.LBB5_143:
	s_waitcnt lgkmcnt(0)
	v_dual_mov_b32 v1, s22 :: v_dual_add_nc_u32 v6, 0x80, v6
	global_store_b8 v0, v1, s[2:3]
	s_or_b32 exec_lo, exec_lo, s27
	s_delay_alu instid0(SALU_CYCLE_1)
	s_mov_b32 s27, exec_lo
	v_cmpx_gt_i32_e64 s24, v6
	s_cbranch_execnz .LBB5_130
.LBB5_144:
	s_or_b32 exec_lo, exec_lo, s27
	s_delay_alu instid0(SALU_CYCLE_1)
	s_mov_b32 s27, exec_lo
	v_cmpx_gt_i32_e64 s24, v6
	s_cbranch_execz .LBB5_159
.LBB5_145:
	s_and_not1_b32 vcc_lo, exec_lo, s20
	s_cbranch_vccnz .LBB5_150
; %bb.146:
	v_mov_b32_e32 v0, 0
	s_and_not1_b32 vcc_lo, exec_lo, s26
	s_cbranch_vccnz .LBB5_170
; %bb.147:
	s_add_i32 s29, s25, 1
	s_cmp_eq_u32 s19, 2
	s_mov_b32 s28, 0
	s_cbranch_scc1 .LBB5_166
; %bb.148:
	v_dual_mov_b32 v0, 0 :: v_dual_mov_b32 v1, v6
	s_and_b32 s28, s29, 28
	s_mov_b32 s30, 0
	s_mov_b64 s[14:15], s[0:1]
	s_mov_b64 s[16:17], s[12:13]
.LBB5_149:                              ; =>This Inner Loop Header: Depth=1
	s_clause 0x1
	s_load_b256 s[36:43], s[14:15], 0x4
	s_load_b128 s[44:47], s[14:15], 0x24
	s_load_b128 s[48:51], s[16:17], 0x0
	s_add_u32 s14, s14, 48
	s_addc_u32 s15, s15, 0
	s_add_i32 s30, s30, 4
	s_add_u32 s16, s16, 16
	s_addc_u32 s17, s17, 0
	s_cmp_eq_u32 s28, s30
	s_waitcnt lgkmcnt(0)
	v_mul_hi_u32 v2, s37, v1
	s_delay_alu instid0(VALU_DEP_1) | instskip(NEXT) | instid1(VALU_DEP_1)
	v_add_nc_u32_e32 v2, v1, v2
	v_lshrrev_b32_e32 v2, s38, v2
	s_delay_alu instid0(VALU_DEP_1) | instskip(SKIP_1) | instid1(VALU_DEP_2)
	v_mul_hi_u32 v3, s40, v2
	v_mul_lo_u32 v7, v2, s36
	v_add_nc_u32_e32 v3, v2, v3
	s_delay_alu instid0(VALU_DEP_2) | instskip(NEXT) | instid1(VALU_DEP_2)
	v_sub_nc_u32_e32 v7, v1, v7
	v_lshrrev_b32_e32 v3, s41, v3
	s_delay_alu instid0(VALU_DEP_2) | instskip(NEXT) | instid1(VALU_DEP_2)
	v_mul_lo_u32 v7, v7, s48
	v_mul_hi_u32 v4, s43, v3
	v_mul_lo_u32 v8, v3, s39
	s_delay_alu instid0(VALU_DEP_2) | instskip(NEXT) | instid1(VALU_DEP_2)
	v_add_nc_u32_e32 v4, v3, v4
	v_sub_nc_u32_e32 v2, v2, v8
	s_delay_alu instid0(VALU_DEP_2) | instskip(NEXT) | instid1(VALU_DEP_2)
	v_lshrrev_b32_e32 v4, s44, v4
	v_mul_lo_u32 v2, v2, s49
	s_delay_alu instid0(VALU_DEP_2) | instskip(NEXT) | instid1(VALU_DEP_2)
	v_mul_hi_u32 v5, s46, v4
	v_add3_u32 v0, v7, v0, v2
	s_delay_alu instid0(VALU_DEP_2) | instskip(NEXT) | instid1(VALU_DEP_1)
	v_add_nc_u32_e32 v5, v4, v5
	v_lshrrev_b32_e32 v1, s47, v5
	v_mul_lo_u32 v5, v4, s42
	s_delay_alu instid0(VALU_DEP_2) | instskip(NEXT) | instid1(VALU_DEP_2)
	v_mul_lo_u32 v9, v1, s45
	v_sub_nc_u32_e32 v3, v3, v5
	s_delay_alu instid0(VALU_DEP_2) | instskip(NEXT) | instid1(VALU_DEP_2)
	v_sub_nc_u32_e32 v4, v4, v9
	v_mul_lo_u32 v3, v3, s50
	s_delay_alu instid0(VALU_DEP_2) | instskip(NEXT) | instid1(VALU_DEP_1)
	v_mul_lo_u32 v4, v4, s51
	v_add3_u32 v0, v3, v0, v4
	s_cbranch_scc0 .LBB5_149
	s_branch .LBB5_167
.LBB5_150:
                                        ; implicit-def: $vgpr0
	s_branch .LBB5_171
.LBB5_151:
	v_mov_b32_e32 v1, v6
.LBB5_152:
	s_and_b32 s29, s29, 3
	s_delay_alu instid0(SALU_CYCLE_1)
	s_cmp_eq_u32 s29, 0
	s_cbranch_scc1 .LBB5_155
; %bb.153:
	s_lshl_b32 s14, s28, 2
	s_mul_i32 s16, s28, 12
	s_add_u32 s14, s14, s0
	s_addc_u32 s15, s1, 0
	s_add_u32 s14, s14, 0xc4
	s_addc_u32 s15, s15, 0
	;; [unrolled: 2-line block ×3, first 2 shown]
	.p2align	6
.LBB5_154:                              ; =>This Inner Loop Header: Depth=1
	s_clause 0x1
	s_load_b64 s[30:31], s[16:17], 0x4
	s_load_b32 s28, s[16:17], 0xc
	s_add_u32 s16, s16, 12
	s_addc_u32 s17, s17, 0
	s_waitcnt lgkmcnt(0)
	v_mul_hi_u32 v2, s31, v1
	s_load_b32 s31, s[14:15], 0x0
	s_add_u32 s14, s14, 4
	s_addc_u32 s15, s15, 0
	s_add_i32 s29, s29, -1
	s_delay_alu instid0(SALU_CYCLE_1) | instskip(NEXT) | instid1(VALU_DEP_1)
	s_cmp_lg_u32 s29, 0
	v_add_nc_u32_e32 v2, v1, v2
	s_delay_alu instid0(VALU_DEP_1) | instskip(NEXT) | instid1(VALU_DEP_1)
	v_lshrrev_b32_e32 v4, s28, v2
	v_mul_lo_u32 v2, v4, s30
	s_delay_alu instid0(VALU_DEP_1) | instskip(SKIP_1) | instid1(VALU_DEP_1)
	v_sub_nc_u32_e32 v1, v1, v2
	s_waitcnt lgkmcnt(0)
	v_mad_u64_u32 v[2:3], null, v1, s31, v[0:1]
	s_delay_alu instid0(VALU_DEP_1)
	v_dual_mov_b32 v1, v4 :: v_dual_mov_b32 v0, v2
	s_cbranch_scc1 .LBB5_154
.LBB5_155:
	s_cbranch_execnz .LBB5_158
.LBB5_156:
	s_waitcnt lgkmcnt(0)
	v_mul_hi_u32 v0, s5, v6
	s_and_not1_b32 vcc_lo, exec_lo, s23
	s_delay_alu instid0(VALU_DEP_1) | instskip(NEXT) | instid1(VALU_DEP_1)
	v_add_nc_u32_e32 v0, v6, v0
	v_lshrrev_b32_e32 v1, s6, v0
	s_delay_alu instid0(VALU_DEP_1) | instskip(NEXT) | instid1(VALU_DEP_1)
	v_mul_lo_u32 v0, v1, s4
	v_sub_nc_u32_e32 v0, v6, v0
	s_delay_alu instid0(VALU_DEP_1)
	v_mul_lo_u32 v0, v0, s8
	s_cbranch_vccnz .LBB5_158
; %bb.157:
	v_mul_hi_u32 v2, s10, v1
	s_delay_alu instid0(VALU_DEP_1) | instskip(NEXT) | instid1(VALU_DEP_1)
	v_add_nc_u32_e32 v2, v1, v2
	v_lshrrev_b32_e32 v2, s11, v2
	s_delay_alu instid0(VALU_DEP_1) | instskip(NEXT) | instid1(VALU_DEP_1)
	v_mul_lo_u32 v2, v2, s7
	v_sub_nc_u32_e32 v3, v1, v2
	s_delay_alu instid0(VALU_DEP_1) | instskip(NEXT) | instid1(VALU_DEP_1)
	v_mad_u64_u32 v[1:2], null, v3, s9, v[0:1]
	v_mov_b32_e32 v0, v1
.LBB5_158:
	s_waitcnt lgkmcnt(0)
	v_dual_mov_b32 v1, s22 :: v_dual_add_nc_u32 v6, 0x80, v6
	global_store_b8 v0, v1, s[2:3]
	s_or_b32 exec_lo, exec_lo, s27
	s_delay_alu instid0(SALU_CYCLE_1)
	s_mov_b32 s27, exec_lo
	v_cmpx_gt_i32_e64 s24, v6
	s_cbranch_execnz .LBB5_145
.LBB5_159:
	s_or_b32 exec_lo, exec_lo, s27
	s_delay_alu instid0(SALU_CYCLE_1)
	s_mov_b32 s27, exec_lo
	v_cmpx_gt_i32_e64 s24, v6
	s_cbranch_execz .LBB5_174
.LBB5_160:
	s_and_not1_b32 vcc_lo, exec_lo, s20
	s_cbranch_vccnz .LBB5_165
; %bb.161:
	v_mov_b32_e32 v0, 0
	s_and_not1_b32 vcc_lo, exec_lo, s26
	s_cbranch_vccnz .LBB5_185
; %bb.162:
	s_add_i32 s29, s25, 1
	s_cmp_eq_u32 s19, 2
	s_mov_b32 s28, 0
	s_cbranch_scc1 .LBB5_181
; %bb.163:
	v_dual_mov_b32 v0, 0 :: v_dual_mov_b32 v1, v6
	s_and_b32 s28, s29, 28
	s_mov_b32 s30, 0
	s_mov_b64 s[14:15], s[0:1]
	s_mov_b64 s[16:17], s[12:13]
.LBB5_164:                              ; =>This Inner Loop Header: Depth=1
	s_clause 0x1
	s_load_b256 s[36:43], s[14:15], 0x4
	s_load_b128 s[44:47], s[14:15], 0x24
	s_load_b128 s[48:51], s[16:17], 0x0
	s_add_u32 s14, s14, 48
	s_addc_u32 s15, s15, 0
	s_add_i32 s30, s30, 4
	s_add_u32 s16, s16, 16
	s_addc_u32 s17, s17, 0
	s_cmp_eq_u32 s28, s30
	s_waitcnt lgkmcnt(0)
	v_mul_hi_u32 v2, s37, v1
	s_delay_alu instid0(VALU_DEP_1) | instskip(NEXT) | instid1(VALU_DEP_1)
	v_add_nc_u32_e32 v2, v1, v2
	v_lshrrev_b32_e32 v2, s38, v2
	s_delay_alu instid0(VALU_DEP_1) | instskip(SKIP_1) | instid1(VALU_DEP_2)
	v_mul_hi_u32 v3, s40, v2
	v_mul_lo_u32 v7, v2, s36
	v_add_nc_u32_e32 v3, v2, v3
	s_delay_alu instid0(VALU_DEP_2) | instskip(NEXT) | instid1(VALU_DEP_2)
	v_sub_nc_u32_e32 v7, v1, v7
	v_lshrrev_b32_e32 v3, s41, v3
	s_delay_alu instid0(VALU_DEP_2) | instskip(NEXT) | instid1(VALU_DEP_2)
	v_mul_lo_u32 v7, v7, s48
	v_mul_hi_u32 v4, s43, v3
	v_mul_lo_u32 v8, v3, s39
	s_delay_alu instid0(VALU_DEP_2) | instskip(NEXT) | instid1(VALU_DEP_2)
	v_add_nc_u32_e32 v4, v3, v4
	v_sub_nc_u32_e32 v2, v2, v8
	s_delay_alu instid0(VALU_DEP_2) | instskip(NEXT) | instid1(VALU_DEP_2)
	v_lshrrev_b32_e32 v4, s44, v4
	v_mul_lo_u32 v2, v2, s49
	s_delay_alu instid0(VALU_DEP_2) | instskip(NEXT) | instid1(VALU_DEP_2)
	v_mul_hi_u32 v5, s46, v4
	v_add3_u32 v0, v7, v0, v2
	s_delay_alu instid0(VALU_DEP_2) | instskip(NEXT) | instid1(VALU_DEP_1)
	v_add_nc_u32_e32 v5, v4, v5
	v_lshrrev_b32_e32 v1, s47, v5
	v_mul_lo_u32 v5, v4, s42
	s_delay_alu instid0(VALU_DEP_2) | instskip(NEXT) | instid1(VALU_DEP_2)
	v_mul_lo_u32 v9, v1, s45
	v_sub_nc_u32_e32 v3, v3, v5
	s_delay_alu instid0(VALU_DEP_2) | instskip(NEXT) | instid1(VALU_DEP_2)
	v_sub_nc_u32_e32 v4, v4, v9
	v_mul_lo_u32 v3, v3, s50
	s_delay_alu instid0(VALU_DEP_2) | instskip(NEXT) | instid1(VALU_DEP_1)
	v_mul_lo_u32 v4, v4, s51
	v_add3_u32 v0, v3, v0, v4
	s_cbranch_scc0 .LBB5_164
	s_branch .LBB5_182
.LBB5_165:
                                        ; implicit-def: $vgpr0
	s_branch .LBB5_186
.LBB5_166:
	v_mov_b32_e32 v1, v6
.LBB5_167:
	s_and_b32 s29, s29, 3
	s_delay_alu instid0(SALU_CYCLE_1)
	s_cmp_eq_u32 s29, 0
	s_cbranch_scc1 .LBB5_170
; %bb.168:
	s_lshl_b32 s14, s28, 2
	s_mul_i32 s16, s28, 12
	s_add_u32 s14, s14, s0
	s_addc_u32 s15, s1, 0
	s_add_u32 s14, s14, 0xc4
	s_addc_u32 s15, s15, 0
	;; [unrolled: 2-line block ×3, first 2 shown]
	.p2align	6
.LBB5_169:                              ; =>This Inner Loop Header: Depth=1
	s_clause 0x1
	s_load_b64 s[30:31], s[16:17], 0x4
	s_load_b32 s28, s[16:17], 0xc
	s_add_u32 s16, s16, 12
	s_addc_u32 s17, s17, 0
	s_waitcnt lgkmcnt(0)
	v_mul_hi_u32 v2, s31, v1
	s_load_b32 s31, s[14:15], 0x0
	s_add_u32 s14, s14, 4
	s_addc_u32 s15, s15, 0
	s_add_i32 s29, s29, -1
	s_delay_alu instid0(SALU_CYCLE_1) | instskip(NEXT) | instid1(VALU_DEP_1)
	s_cmp_lg_u32 s29, 0
	v_add_nc_u32_e32 v2, v1, v2
	s_delay_alu instid0(VALU_DEP_1) | instskip(NEXT) | instid1(VALU_DEP_1)
	v_lshrrev_b32_e32 v4, s28, v2
	v_mul_lo_u32 v2, v4, s30
	s_delay_alu instid0(VALU_DEP_1) | instskip(SKIP_1) | instid1(VALU_DEP_1)
	v_sub_nc_u32_e32 v1, v1, v2
	s_waitcnt lgkmcnt(0)
	v_mad_u64_u32 v[2:3], null, v1, s31, v[0:1]
	s_delay_alu instid0(VALU_DEP_1)
	v_dual_mov_b32 v1, v4 :: v_dual_mov_b32 v0, v2
	s_cbranch_scc1 .LBB5_169
.LBB5_170:
	s_cbranch_execnz .LBB5_173
.LBB5_171:
	s_waitcnt lgkmcnt(0)
	v_mul_hi_u32 v0, s5, v6
	s_and_not1_b32 vcc_lo, exec_lo, s23
	s_delay_alu instid0(VALU_DEP_1) | instskip(NEXT) | instid1(VALU_DEP_1)
	v_add_nc_u32_e32 v0, v6, v0
	v_lshrrev_b32_e32 v1, s6, v0
	s_delay_alu instid0(VALU_DEP_1) | instskip(NEXT) | instid1(VALU_DEP_1)
	v_mul_lo_u32 v0, v1, s4
	v_sub_nc_u32_e32 v0, v6, v0
	s_delay_alu instid0(VALU_DEP_1)
	v_mul_lo_u32 v0, v0, s8
	s_cbranch_vccnz .LBB5_173
; %bb.172:
	v_mul_hi_u32 v2, s10, v1
	s_delay_alu instid0(VALU_DEP_1) | instskip(NEXT) | instid1(VALU_DEP_1)
	v_add_nc_u32_e32 v2, v1, v2
	v_lshrrev_b32_e32 v2, s11, v2
	s_delay_alu instid0(VALU_DEP_1) | instskip(NEXT) | instid1(VALU_DEP_1)
	v_mul_lo_u32 v2, v2, s7
	v_sub_nc_u32_e32 v3, v1, v2
	s_delay_alu instid0(VALU_DEP_1) | instskip(NEXT) | instid1(VALU_DEP_1)
	v_mad_u64_u32 v[1:2], null, v3, s9, v[0:1]
	v_mov_b32_e32 v0, v1
.LBB5_173:
	s_waitcnt lgkmcnt(0)
	v_dual_mov_b32 v1, s22 :: v_dual_add_nc_u32 v6, 0x80, v6
	global_store_b8 v0, v1, s[2:3]
	s_or_b32 exec_lo, exec_lo, s27
	s_delay_alu instid0(SALU_CYCLE_1)
	s_mov_b32 s27, exec_lo
	v_cmpx_gt_i32_e64 s24, v6
	s_cbranch_execnz .LBB5_160
.LBB5_174:
	s_or_b32 exec_lo, exec_lo, s27
	s_delay_alu instid0(SALU_CYCLE_1)
	s_mov_b32 s27, exec_lo
	v_cmpx_gt_i32_e64 s24, v6
	s_cbranch_execz .LBB5_189
.LBB5_175:
	s_and_not1_b32 vcc_lo, exec_lo, s20
	s_cbranch_vccnz .LBB5_180
; %bb.176:
	v_mov_b32_e32 v0, 0
	s_and_not1_b32 vcc_lo, exec_lo, s26
	s_cbranch_vccnz .LBB5_200
; %bb.177:
	s_add_i32 s29, s25, 1
	s_cmp_eq_u32 s19, 2
	s_mov_b32 s28, 0
	s_cbranch_scc1 .LBB5_196
; %bb.178:
	v_dual_mov_b32 v0, 0 :: v_dual_mov_b32 v1, v6
	s_and_b32 s28, s29, 28
	s_mov_b32 s30, 0
	s_mov_b64 s[14:15], s[0:1]
	s_mov_b64 s[16:17], s[12:13]
.LBB5_179:                              ; =>This Inner Loop Header: Depth=1
	s_clause 0x1
	s_load_b256 s[36:43], s[14:15], 0x4
	s_load_b128 s[44:47], s[14:15], 0x24
	s_load_b128 s[48:51], s[16:17], 0x0
	s_add_u32 s14, s14, 48
	s_addc_u32 s15, s15, 0
	s_add_i32 s30, s30, 4
	s_add_u32 s16, s16, 16
	s_addc_u32 s17, s17, 0
	s_cmp_eq_u32 s28, s30
	s_waitcnt lgkmcnt(0)
	v_mul_hi_u32 v2, s37, v1
	s_delay_alu instid0(VALU_DEP_1) | instskip(NEXT) | instid1(VALU_DEP_1)
	v_add_nc_u32_e32 v2, v1, v2
	v_lshrrev_b32_e32 v2, s38, v2
	s_delay_alu instid0(VALU_DEP_1) | instskip(SKIP_1) | instid1(VALU_DEP_2)
	v_mul_hi_u32 v3, s40, v2
	v_mul_lo_u32 v7, v2, s36
	v_add_nc_u32_e32 v3, v2, v3
	s_delay_alu instid0(VALU_DEP_2) | instskip(NEXT) | instid1(VALU_DEP_2)
	v_sub_nc_u32_e32 v7, v1, v7
	v_lshrrev_b32_e32 v3, s41, v3
	s_delay_alu instid0(VALU_DEP_2) | instskip(NEXT) | instid1(VALU_DEP_2)
	v_mul_lo_u32 v7, v7, s48
	v_mul_hi_u32 v4, s43, v3
	v_mul_lo_u32 v8, v3, s39
	s_delay_alu instid0(VALU_DEP_2) | instskip(NEXT) | instid1(VALU_DEP_2)
	v_add_nc_u32_e32 v4, v3, v4
	v_sub_nc_u32_e32 v2, v2, v8
	s_delay_alu instid0(VALU_DEP_2) | instskip(NEXT) | instid1(VALU_DEP_2)
	v_lshrrev_b32_e32 v4, s44, v4
	v_mul_lo_u32 v2, v2, s49
	s_delay_alu instid0(VALU_DEP_2) | instskip(NEXT) | instid1(VALU_DEP_2)
	v_mul_hi_u32 v5, s46, v4
	v_add3_u32 v0, v7, v0, v2
	s_delay_alu instid0(VALU_DEP_2) | instskip(NEXT) | instid1(VALU_DEP_1)
	v_add_nc_u32_e32 v5, v4, v5
	v_lshrrev_b32_e32 v1, s47, v5
	v_mul_lo_u32 v5, v4, s42
	s_delay_alu instid0(VALU_DEP_2) | instskip(NEXT) | instid1(VALU_DEP_2)
	v_mul_lo_u32 v9, v1, s45
	v_sub_nc_u32_e32 v3, v3, v5
	s_delay_alu instid0(VALU_DEP_2) | instskip(NEXT) | instid1(VALU_DEP_2)
	v_sub_nc_u32_e32 v4, v4, v9
	v_mul_lo_u32 v3, v3, s50
	s_delay_alu instid0(VALU_DEP_2) | instskip(NEXT) | instid1(VALU_DEP_1)
	v_mul_lo_u32 v4, v4, s51
	v_add3_u32 v0, v3, v0, v4
	s_cbranch_scc0 .LBB5_179
	s_branch .LBB5_197
.LBB5_180:
                                        ; implicit-def: $vgpr0
	s_branch .LBB5_201
.LBB5_181:
	v_mov_b32_e32 v1, v6
.LBB5_182:
	s_and_b32 s29, s29, 3
	s_delay_alu instid0(SALU_CYCLE_1)
	s_cmp_eq_u32 s29, 0
	s_cbranch_scc1 .LBB5_185
; %bb.183:
	s_lshl_b32 s14, s28, 2
	s_mul_i32 s16, s28, 12
	s_add_u32 s14, s14, s0
	s_addc_u32 s15, s1, 0
	s_add_u32 s14, s14, 0xc4
	s_addc_u32 s15, s15, 0
	;; [unrolled: 2-line block ×3, first 2 shown]
	.p2align	6
.LBB5_184:                              ; =>This Inner Loop Header: Depth=1
	s_clause 0x1
	s_load_b64 s[30:31], s[16:17], 0x4
	s_load_b32 s28, s[16:17], 0xc
	s_add_u32 s16, s16, 12
	s_addc_u32 s17, s17, 0
	s_waitcnt lgkmcnt(0)
	v_mul_hi_u32 v2, s31, v1
	s_load_b32 s31, s[14:15], 0x0
	s_add_u32 s14, s14, 4
	s_addc_u32 s15, s15, 0
	s_add_i32 s29, s29, -1
	s_delay_alu instid0(SALU_CYCLE_1) | instskip(NEXT) | instid1(VALU_DEP_1)
	s_cmp_lg_u32 s29, 0
	v_add_nc_u32_e32 v2, v1, v2
	s_delay_alu instid0(VALU_DEP_1) | instskip(NEXT) | instid1(VALU_DEP_1)
	v_lshrrev_b32_e32 v4, s28, v2
	v_mul_lo_u32 v2, v4, s30
	s_delay_alu instid0(VALU_DEP_1) | instskip(SKIP_1) | instid1(VALU_DEP_1)
	v_sub_nc_u32_e32 v1, v1, v2
	s_waitcnt lgkmcnt(0)
	v_mad_u64_u32 v[2:3], null, v1, s31, v[0:1]
	s_delay_alu instid0(VALU_DEP_1)
	v_dual_mov_b32 v1, v4 :: v_dual_mov_b32 v0, v2
	s_cbranch_scc1 .LBB5_184
.LBB5_185:
	s_cbranch_execnz .LBB5_188
.LBB5_186:
	s_waitcnt lgkmcnt(0)
	v_mul_hi_u32 v0, s5, v6
	s_and_not1_b32 vcc_lo, exec_lo, s23
	s_delay_alu instid0(VALU_DEP_1) | instskip(NEXT) | instid1(VALU_DEP_1)
	v_add_nc_u32_e32 v0, v6, v0
	v_lshrrev_b32_e32 v1, s6, v0
	s_delay_alu instid0(VALU_DEP_1) | instskip(NEXT) | instid1(VALU_DEP_1)
	v_mul_lo_u32 v0, v1, s4
	v_sub_nc_u32_e32 v0, v6, v0
	s_delay_alu instid0(VALU_DEP_1)
	v_mul_lo_u32 v0, v0, s8
	s_cbranch_vccnz .LBB5_188
; %bb.187:
	v_mul_hi_u32 v2, s10, v1
	s_delay_alu instid0(VALU_DEP_1) | instskip(NEXT) | instid1(VALU_DEP_1)
	v_add_nc_u32_e32 v2, v1, v2
	v_lshrrev_b32_e32 v2, s11, v2
	s_delay_alu instid0(VALU_DEP_1) | instskip(NEXT) | instid1(VALU_DEP_1)
	v_mul_lo_u32 v2, v2, s7
	v_sub_nc_u32_e32 v3, v1, v2
	s_delay_alu instid0(VALU_DEP_1) | instskip(NEXT) | instid1(VALU_DEP_1)
	v_mad_u64_u32 v[1:2], null, v3, s9, v[0:1]
	v_mov_b32_e32 v0, v1
.LBB5_188:
	s_waitcnt lgkmcnt(0)
	v_dual_mov_b32 v1, s22 :: v_dual_add_nc_u32 v6, 0x80, v6
	global_store_b8 v0, v1, s[2:3]
	s_or_b32 exec_lo, exec_lo, s27
	s_delay_alu instid0(SALU_CYCLE_1)
	s_mov_b32 s27, exec_lo
	v_cmpx_gt_i32_e64 s24, v6
	s_cbranch_execnz .LBB5_175
.LBB5_189:
	s_or_b32 exec_lo, exec_lo, s27
	s_delay_alu instid0(SALU_CYCLE_1)
	s_mov_b32 s27, exec_lo
	v_cmpx_gt_i32_e64 s24, v6
	s_cbranch_execz .LBB5_204
.LBB5_190:
	s_and_not1_b32 vcc_lo, exec_lo, s20
	s_cbranch_vccnz .LBB5_195
; %bb.191:
	v_mov_b32_e32 v0, 0
	s_and_not1_b32 vcc_lo, exec_lo, s26
	s_cbranch_vccnz .LBB5_211
; %bb.192:
	s_add_i32 s29, s25, 1
	s_cmp_eq_u32 s19, 2
	s_mov_b32 s28, 0
	s_cbranch_scc1 .LBB5_207
; %bb.193:
	v_dual_mov_b32 v0, 0 :: v_dual_mov_b32 v1, v6
	s_and_b32 s28, s29, 28
	s_mov_b32 s30, 0
	s_mov_b64 s[14:15], s[0:1]
	s_mov_b64 s[16:17], s[12:13]
.LBB5_194:                              ; =>This Inner Loop Header: Depth=1
	s_clause 0x1
	s_load_b256 s[36:43], s[14:15], 0x4
	s_load_b128 s[44:47], s[14:15], 0x24
	s_load_b128 s[48:51], s[16:17], 0x0
	s_add_u32 s14, s14, 48
	s_addc_u32 s15, s15, 0
	s_add_i32 s30, s30, 4
	s_add_u32 s16, s16, 16
	s_addc_u32 s17, s17, 0
	s_cmp_eq_u32 s28, s30
	s_waitcnt lgkmcnt(0)
	v_mul_hi_u32 v2, s37, v1
	s_delay_alu instid0(VALU_DEP_1) | instskip(NEXT) | instid1(VALU_DEP_1)
	v_add_nc_u32_e32 v2, v1, v2
	v_lshrrev_b32_e32 v2, s38, v2
	s_delay_alu instid0(VALU_DEP_1) | instskip(SKIP_1) | instid1(VALU_DEP_2)
	v_mul_hi_u32 v3, s40, v2
	v_mul_lo_u32 v7, v2, s36
	v_add_nc_u32_e32 v3, v2, v3
	s_delay_alu instid0(VALU_DEP_2) | instskip(NEXT) | instid1(VALU_DEP_2)
	v_sub_nc_u32_e32 v7, v1, v7
	v_lshrrev_b32_e32 v3, s41, v3
	s_delay_alu instid0(VALU_DEP_2) | instskip(NEXT) | instid1(VALU_DEP_2)
	v_mul_lo_u32 v7, v7, s48
	v_mul_hi_u32 v4, s43, v3
	v_mul_lo_u32 v8, v3, s39
	s_delay_alu instid0(VALU_DEP_2) | instskip(NEXT) | instid1(VALU_DEP_2)
	v_add_nc_u32_e32 v4, v3, v4
	v_sub_nc_u32_e32 v2, v2, v8
	s_delay_alu instid0(VALU_DEP_2) | instskip(NEXT) | instid1(VALU_DEP_2)
	v_lshrrev_b32_e32 v4, s44, v4
	v_mul_lo_u32 v2, v2, s49
	s_delay_alu instid0(VALU_DEP_2) | instskip(NEXT) | instid1(VALU_DEP_2)
	v_mul_hi_u32 v5, s46, v4
	v_add3_u32 v0, v7, v0, v2
	s_delay_alu instid0(VALU_DEP_2) | instskip(NEXT) | instid1(VALU_DEP_1)
	v_add_nc_u32_e32 v5, v4, v5
	v_lshrrev_b32_e32 v1, s47, v5
	v_mul_lo_u32 v5, v4, s42
	s_delay_alu instid0(VALU_DEP_2) | instskip(NEXT) | instid1(VALU_DEP_2)
	v_mul_lo_u32 v9, v1, s45
	v_sub_nc_u32_e32 v3, v3, v5
	s_delay_alu instid0(VALU_DEP_2) | instskip(NEXT) | instid1(VALU_DEP_2)
	v_sub_nc_u32_e32 v4, v4, v9
	v_mul_lo_u32 v3, v3, s50
	s_delay_alu instid0(VALU_DEP_2) | instskip(NEXT) | instid1(VALU_DEP_1)
	v_mul_lo_u32 v4, v4, s51
	v_add3_u32 v0, v3, v0, v4
	s_cbranch_scc0 .LBB5_194
	s_branch .LBB5_208
.LBB5_195:
                                        ; implicit-def: $vgpr0
	s_branch .LBB5_212
.LBB5_196:
	v_mov_b32_e32 v1, v6
.LBB5_197:
	s_and_b32 s29, s29, 3
	s_delay_alu instid0(SALU_CYCLE_1)
	s_cmp_eq_u32 s29, 0
	s_cbranch_scc1 .LBB5_200
; %bb.198:
	s_lshl_b32 s14, s28, 2
	s_mul_i32 s16, s28, 12
	s_add_u32 s14, s14, s0
	s_addc_u32 s15, s1, 0
	s_add_u32 s14, s14, 0xc4
	s_addc_u32 s15, s15, 0
	;; [unrolled: 2-line block ×3, first 2 shown]
	.p2align	6
.LBB5_199:                              ; =>This Inner Loop Header: Depth=1
	s_clause 0x1
	s_load_b64 s[30:31], s[16:17], 0x4
	s_load_b32 s28, s[16:17], 0xc
	s_add_u32 s16, s16, 12
	s_addc_u32 s17, s17, 0
	s_waitcnt lgkmcnt(0)
	v_mul_hi_u32 v2, s31, v1
	s_load_b32 s31, s[14:15], 0x0
	s_add_u32 s14, s14, 4
	s_addc_u32 s15, s15, 0
	s_add_i32 s29, s29, -1
	s_delay_alu instid0(SALU_CYCLE_1) | instskip(NEXT) | instid1(VALU_DEP_1)
	s_cmp_lg_u32 s29, 0
	v_add_nc_u32_e32 v2, v1, v2
	s_delay_alu instid0(VALU_DEP_1) | instskip(NEXT) | instid1(VALU_DEP_1)
	v_lshrrev_b32_e32 v4, s28, v2
	v_mul_lo_u32 v2, v4, s30
	s_delay_alu instid0(VALU_DEP_1) | instskip(SKIP_1) | instid1(VALU_DEP_1)
	v_sub_nc_u32_e32 v1, v1, v2
	s_waitcnt lgkmcnt(0)
	v_mad_u64_u32 v[2:3], null, v1, s31, v[0:1]
	s_delay_alu instid0(VALU_DEP_1)
	v_dual_mov_b32 v1, v4 :: v_dual_mov_b32 v0, v2
	s_cbranch_scc1 .LBB5_199
.LBB5_200:
	s_cbranch_execnz .LBB5_203
.LBB5_201:
	s_waitcnt lgkmcnt(0)
	v_mul_hi_u32 v0, s5, v6
	s_and_not1_b32 vcc_lo, exec_lo, s23
	s_delay_alu instid0(VALU_DEP_1) | instskip(NEXT) | instid1(VALU_DEP_1)
	v_add_nc_u32_e32 v0, v6, v0
	v_lshrrev_b32_e32 v1, s6, v0
	s_delay_alu instid0(VALU_DEP_1) | instskip(NEXT) | instid1(VALU_DEP_1)
	v_mul_lo_u32 v0, v1, s4
	v_sub_nc_u32_e32 v0, v6, v0
	s_delay_alu instid0(VALU_DEP_1)
	v_mul_lo_u32 v0, v0, s8
	s_cbranch_vccnz .LBB5_203
; %bb.202:
	v_mul_hi_u32 v2, s10, v1
	s_delay_alu instid0(VALU_DEP_1) | instskip(NEXT) | instid1(VALU_DEP_1)
	v_add_nc_u32_e32 v2, v1, v2
	v_lshrrev_b32_e32 v2, s11, v2
	s_delay_alu instid0(VALU_DEP_1) | instskip(NEXT) | instid1(VALU_DEP_1)
	v_mul_lo_u32 v2, v2, s7
	v_sub_nc_u32_e32 v3, v1, v2
	s_delay_alu instid0(VALU_DEP_1) | instskip(NEXT) | instid1(VALU_DEP_1)
	v_mad_u64_u32 v[1:2], null, v3, s9, v[0:1]
	v_mov_b32_e32 v0, v1
.LBB5_203:
	s_waitcnt lgkmcnt(0)
	v_dual_mov_b32 v1, s22 :: v_dual_add_nc_u32 v6, 0x80, v6
	global_store_b8 v0, v1, s[2:3]
	s_or_b32 exec_lo, exec_lo, s27
	s_delay_alu instid0(SALU_CYCLE_1)
	s_mov_b32 s27, exec_lo
	v_cmpx_gt_i32_e64 s24, v6
	s_cbranch_execnz .LBB5_190
.LBB5_204:
	s_or_b32 exec_lo, exec_lo, s27
	s_delay_alu instid0(SALU_CYCLE_1)
	s_mov_b32 s16, exec_lo
	v_cmpx_gt_i32_e64 s24, v6
	s_cbranch_execnz .LBB5_215
.LBB5_205:
	s_or_b32 exec_lo, exec_lo, s16
                                        ; implicit-def: $vgpr8
                                        ; implicit-def: $vgpr6
	s_waitcnt lgkmcnt(0)
	s_and_not1_saveexec_b32 s2, s21
	s_cbranch_execnz .LBB5_8
.LBB5_206:
	s_nop 0
	s_sendmsg sendmsg(MSG_DEALLOC_VGPRS)
	s_endpgm
.LBB5_207:
	v_mov_b32_e32 v1, v6
.LBB5_208:
	s_and_b32 s29, s29, 3
	s_delay_alu instid0(SALU_CYCLE_1)
	s_cmp_eq_u32 s29, 0
	s_cbranch_scc1 .LBB5_211
; %bb.209:
	s_lshl_b32 s14, s28, 2
	s_mul_i32 s16, s28, 12
	s_add_u32 s14, s14, s0
	s_addc_u32 s15, s1, 0
	s_add_u32 s14, s14, 0xc4
	s_addc_u32 s15, s15, 0
	;; [unrolled: 2-line block ×3, first 2 shown]
	.p2align	6
.LBB5_210:                              ; =>This Inner Loop Header: Depth=1
	s_clause 0x1
	s_load_b64 s[30:31], s[16:17], 0x4
	s_load_b32 s28, s[16:17], 0xc
	s_add_u32 s16, s16, 12
	s_addc_u32 s17, s17, 0
	s_waitcnt lgkmcnt(0)
	v_mul_hi_u32 v2, s31, v1
	s_load_b32 s31, s[14:15], 0x0
	s_add_u32 s14, s14, 4
	s_addc_u32 s15, s15, 0
	s_add_i32 s29, s29, -1
	s_delay_alu instid0(SALU_CYCLE_1) | instskip(NEXT) | instid1(VALU_DEP_1)
	s_cmp_lg_u32 s29, 0
	v_add_nc_u32_e32 v2, v1, v2
	s_delay_alu instid0(VALU_DEP_1) | instskip(NEXT) | instid1(VALU_DEP_1)
	v_lshrrev_b32_e32 v4, s28, v2
	v_mul_lo_u32 v2, v4, s30
	s_delay_alu instid0(VALU_DEP_1) | instskip(SKIP_1) | instid1(VALU_DEP_1)
	v_sub_nc_u32_e32 v1, v1, v2
	s_waitcnt lgkmcnt(0)
	v_mad_u64_u32 v[2:3], null, v1, s31, v[0:1]
	s_delay_alu instid0(VALU_DEP_1)
	v_dual_mov_b32 v1, v4 :: v_dual_mov_b32 v0, v2
	s_cbranch_scc1 .LBB5_210
.LBB5_211:
	s_cbranch_execnz .LBB5_214
.LBB5_212:
	s_waitcnt lgkmcnt(0)
	v_mul_hi_u32 v0, s5, v6
	s_and_not1_b32 vcc_lo, exec_lo, s23
	s_delay_alu instid0(VALU_DEP_1) | instskip(NEXT) | instid1(VALU_DEP_1)
	v_add_nc_u32_e32 v0, v6, v0
	v_lshrrev_b32_e32 v1, s6, v0
	s_delay_alu instid0(VALU_DEP_1) | instskip(NEXT) | instid1(VALU_DEP_1)
	v_mul_lo_u32 v0, v1, s4
	v_sub_nc_u32_e32 v0, v6, v0
	s_delay_alu instid0(VALU_DEP_1)
	v_mul_lo_u32 v0, v0, s8
	s_cbranch_vccnz .LBB5_214
; %bb.213:
	v_mul_hi_u32 v2, s10, v1
	s_delay_alu instid0(VALU_DEP_1) | instskip(NEXT) | instid1(VALU_DEP_1)
	v_add_nc_u32_e32 v2, v1, v2
	v_lshrrev_b32_e32 v2, s11, v2
	s_delay_alu instid0(VALU_DEP_1) | instskip(NEXT) | instid1(VALU_DEP_1)
	v_mul_lo_u32 v2, v2, s7
	v_sub_nc_u32_e32 v3, v1, v2
	s_delay_alu instid0(VALU_DEP_1) | instskip(NEXT) | instid1(VALU_DEP_1)
	v_mad_u64_u32 v[1:2], null, v3, s9, v[0:1]
	v_mov_b32_e32 v0, v1
.LBB5_214:
	s_waitcnt lgkmcnt(0)
	v_dual_mov_b32 v1, s22 :: v_dual_add_nc_u32 v6, 0x80, v6
	global_store_b8 v0, v1, s[2:3]
	s_or_b32 exec_lo, exec_lo, s27
	s_delay_alu instid0(SALU_CYCLE_1)
	s_mov_b32 s16, exec_lo
	v_cmpx_gt_i32_e64 s24, v6
	s_cbranch_execz .LBB5_205
.LBB5_215:
	s_and_not1_b32 vcc_lo, exec_lo, s20
	s_cbranch_vccnz .LBB5_220
; %bb.216:
	v_mov_b32_e32 v0, 0
	s_and_not1_b32 vcc_lo, exec_lo, s26
	s_cbranch_vccnz .LBB5_225
; %bb.217:
	s_add_i32 s25, s25, 1
	s_cmp_eq_u32 s19, 2
	s_mov_b32 s17, 0
	s_cbranch_scc1 .LBB5_221
; %bb.218:
	v_dual_mov_b32 v0, 0 :: v_dual_mov_b32 v1, v6
	s_and_b32 s17, s25, 28
	s_mov_b32 s24, 0
	s_mov_b64 s[14:15], s[0:1]
.LBB5_219:                              ; =>This Inner Loop Header: Depth=1
	s_clause 0x1
	s_load_b256 s[36:43], s[14:15], 0x4
	s_load_b128 s[28:31], s[14:15], 0x24
	s_load_b128 s[44:47], s[12:13], 0x0
	s_add_u32 s14, s14, 48
	s_addc_u32 s15, s15, 0
	s_add_i32 s24, s24, 4
	s_add_u32 s12, s12, 16
	s_addc_u32 s13, s13, 0
	s_cmp_eq_u32 s17, s24
	s_waitcnt lgkmcnt(0)
	v_mul_hi_u32 v2, s37, v1
	s_delay_alu instid0(VALU_DEP_1) | instskip(NEXT) | instid1(VALU_DEP_1)
	v_add_nc_u32_e32 v2, v1, v2
	v_lshrrev_b32_e32 v2, s38, v2
	s_delay_alu instid0(VALU_DEP_1) | instskip(SKIP_1) | instid1(VALU_DEP_2)
	v_mul_hi_u32 v3, s40, v2
	v_mul_lo_u32 v7, v2, s36
	v_add_nc_u32_e32 v3, v2, v3
	s_delay_alu instid0(VALU_DEP_2) | instskip(NEXT) | instid1(VALU_DEP_2)
	v_sub_nc_u32_e32 v7, v1, v7
	v_lshrrev_b32_e32 v3, s41, v3
	s_delay_alu instid0(VALU_DEP_2) | instskip(NEXT) | instid1(VALU_DEP_2)
	v_mul_lo_u32 v7, v7, s44
	v_mul_hi_u32 v4, s43, v3
	v_mul_lo_u32 v8, v3, s39
	s_delay_alu instid0(VALU_DEP_2) | instskip(NEXT) | instid1(VALU_DEP_2)
	v_add_nc_u32_e32 v4, v3, v4
	v_sub_nc_u32_e32 v2, v2, v8
	s_delay_alu instid0(VALU_DEP_2) | instskip(NEXT) | instid1(VALU_DEP_2)
	v_lshrrev_b32_e32 v4, s28, v4
	v_mul_lo_u32 v2, v2, s45
	s_delay_alu instid0(VALU_DEP_2) | instskip(NEXT) | instid1(VALU_DEP_2)
	v_mul_hi_u32 v5, s30, v4
	v_add3_u32 v0, v7, v0, v2
	s_delay_alu instid0(VALU_DEP_2) | instskip(NEXT) | instid1(VALU_DEP_1)
	v_add_nc_u32_e32 v5, v4, v5
	v_lshrrev_b32_e32 v1, s31, v5
	v_mul_lo_u32 v5, v4, s42
	s_delay_alu instid0(VALU_DEP_2) | instskip(NEXT) | instid1(VALU_DEP_2)
	v_mul_lo_u32 v9, v1, s29
	v_sub_nc_u32_e32 v3, v3, v5
	s_delay_alu instid0(VALU_DEP_2) | instskip(NEXT) | instid1(VALU_DEP_2)
	v_sub_nc_u32_e32 v4, v4, v9
	v_mul_lo_u32 v3, v3, s46
	s_delay_alu instid0(VALU_DEP_2) | instskip(NEXT) | instid1(VALU_DEP_1)
	v_mul_lo_u32 v4, v4, s47
	v_add3_u32 v0, v3, v0, v4
	s_cbranch_scc0 .LBB5_219
	s_branch .LBB5_222
.LBB5_220:
                                        ; implicit-def: $vgpr0
	s_branch .LBB5_226
.LBB5_221:
	v_mov_b32_e32 v1, v6
.LBB5_222:
	s_and_b32 s24, s25, 3
	s_delay_alu instid0(SALU_CYCLE_1)
	s_cmp_eq_u32 s24, 0
	s_cbranch_scc1 .LBB5_225
; %bb.223:
	s_lshl_b32 s12, s17, 2
	s_mul_i32 s14, s17, 12
	s_add_u32 s12, s12, s0
	s_addc_u32 s13, s1, 0
	s_add_u32 s12, s12, 0xc4
	s_addc_u32 s13, s13, 0
	;; [unrolled: 2-line block ×3, first 2 shown]
	.p2align	6
.LBB5_224:                              ; =>This Inner Loop Header: Depth=1
	s_clause 0x1
	s_load_b64 s[26:27], s[14:15], 0x4
	s_load_b32 s17, s[14:15], 0xc
	s_load_b32 s25, s[12:13], 0x0
	s_add_u32 s14, s14, 12
	s_addc_u32 s15, s15, 0
	s_add_u32 s12, s12, 4
	s_addc_u32 s13, s13, 0
	s_add_i32 s24, s24, -1
	s_delay_alu instid0(SALU_CYCLE_1) | instskip(SKIP_2) | instid1(VALU_DEP_1)
	s_cmp_lg_u32 s24, 0
	s_waitcnt lgkmcnt(0)
	v_mul_hi_u32 v2, s27, v1
	v_add_nc_u32_e32 v2, v1, v2
	s_delay_alu instid0(VALU_DEP_1) | instskip(NEXT) | instid1(VALU_DEP_1)
	v_lshrrev_b32_e32 v4, s17, v2
	v_mul_lo_u32 v2, v4, s26
	s_delay_alu instid0(VALU_DEP_1) | instskip(NEXT) | instid1(VALU_DEP_1)
	v_sub_nc_u32_e32 v1, v1, v2
	v_mad_u64_u32 v[2:3], null, v1, s25, v[0:1]
	s_delay_alu instid0(VALU_DEP_1)
	v_dual_mov_b32 v1, v4 :: v_dual_mov_b32 v0, v2
	s_cbranch_scc1 .LBB5_224
.LBB5_225:
	s_cbranch_execnz .LBB5_228
.LBB5_226:
	s_waitcnt lgkmcnt(0)
	v_mul_hi_u32 v0, s5, v6
	s_and_not1_b32 vcc_lo, exec_lo, s23
	s_delay_alu instid0(VALU_DEP_1) | instskip(NEXT) | instid1(VALU_DEP_1)
	v_add_nc_u32_e32 v0, v6, v0
	v_lshrrev_b32_e32 v1, s6, v0
	s_delay_alu instid0(VALU_DEP_1) | instskip(NEXT) | instid1(VALU_DEP_1)
	v_mul_lo_u32 v0, v1, s4
	v_sub_nc_u32_e32 v0, v6, v0
	s_delay_alu instid0(VALU_DEP_1)
	v_mul_lo_u32 v0, v0, s8
	s_cbranch_vccnz .LBB5_228
; %bb.227:
	v_mul_hi_u32 v2, s10, v1
	s_delay_alu instid0(VALU_DEP_1) | instskip(NEXT) | instid1(VALU_DEP_1)
	v_add_nc_u32_e32 v2, v1, v2
	v_lshrrev_b32_e32 v2, s11, v2
	s_delay_alu instid0(VALU_DEP_1) | instskip(NEXT) | instid1(VALU_DEP_1)
	v_mul_lo_u32 v2, v2, s7
	v_sub_nc_u32_e32 v3, v1, v2
	s_delay_alu instid0(VALU_DEP_1) | instskip(NEXT) | instid1(VALU_DEP_1)
	v_mad_u64_u32 v[1:2], null, v3, s9, v[0:1]
	v_mov_b32_e32 v0, v1
.LBB5_228:
	s_waitcnt lgkmcnt(0)
	v_mov_b32_e32 v1, s22
	global_store_b8 v0, v1, s[2:3]
	s_or_b32 exec_lo, exec_lo, s16
                                        ; implicit-def: $vgpr8
                                        ; implicit-def: $vgpr6
	s_and_not1_saveexec_b32 s2, s21
	s_cbranch_execz .LBB5_206
	s_branch .LBB5_8
	.section	.rodata,"a",@progbits
	.p2align	6, 0x0
	.amdhsa_kernel _ZN2at6native32elementwise_kernel_manual_unrollILi128ELi8EZNS0_22gpu_kernel_impl_nocastINS0_11FillFunctorIhEEEEvRNS_18TensorIteratorBaseERKT_EUlibE_EEviT1_
		.amdhsa_group_segment_fixed_size 0
		.amdhsa_private_segment_fixed_size 0
		.amdhsa_kernarg_size 288
		.amdhsa_user_sgpr_count 15
		.amdhsa_user_sgpr_dispatch_ptr 0
		.amdhsa_user_sgpr_queue_ptr 0
		.amdhsa_user_sgpr_kernarg_segment_ptr 1
		.amdhsa_user_sgpr_dispatch_id 0
		.amdhsa_user_sgpr_private_segment_size 0
		.amdhsa_wavefront_size32 1
		.amdhsa_uses_dynamic_stack 0
		.amdhsa_enable_private_segment 0
		.amdhsa_system_sgpr_workgroup_id_x 1
		.amdhsa_system_sgpr_workgroup_id_y 0
		.amdhsa_system_sgpr_workgroup_id_z 0
		.amdhsa_system_sgpr_workgroup_info 0
		.amdhsa_system_vgpr_workitem_id 0
		.amdhsa_next_free_vgpr 18
		.amdhsa_next_free_sgpr 52
		.amdhsa_reserve_vcc 1
		.amdhsa_float_round_mode_32 0
		.amdhsa_float_round_mode_16_64 0
		.amdhsa_float_denorm_mode_32 3
		.amdhsa_float_denorm_mode_16_64 3
		.amdhsa_dx10_clamp 1
		.amdhsa_ieee_mode 1
		.amdhsa_fp16_overflow 0
		.amdhsa_workgroup_processor_mode 1
		.amdhsa_memory_ordered 1
		.amdhsa_forward_progress 0
		.amdhsa_shared_vgpr_count 0
		.amdhsa_exception_fp_ieee_invalid_op 0
		.amdhsa_exception_fp_denorm_src 0
		.amdhsa_exception_fp_ieee_div_zero 0
		.amdhsa_exception_fp_ieee_overflow 0
		.amdhsa_exception_fp_ieee_underflow 0
		.amdhsa_exception_fp_ieee_inexact 0
		.amdhsa_exception_int_div_zero 0
	.end_amdhsa_kernel
	.section	.text._ZN2at6native32elementwise_kernel_manual_unrollILi128ELi8EZNS0_22gpu_kernel_impl_nocastINS0_11FillFunctorIhEEEEvRNS_18TensorIteratorBaseERKT_EUlibE_EEviT1_,"axG",@progbits,_ZN2at6native32elementwise_kernel_manual_unrollILi128ELi8EZNS0_22gpu_kernel_impl_nocastINS0_11FillFunctorIhEEEEvRNS_18TensorIteratorBaseERKT_EUlibE_EEviT1_,comdat
.Lfunc_end5:
	.size	_ZN2at6native32elementwise_kernel_manual_unrollILi128ELi8EZNS0_22gpu_kernel_impl_nocastINS0_11FillFunctorIhEEEEvRNS_18TensorIteratorBaseERKT_EUlibE_EEviT1_, .Lfunc_end5-_ZN2at6native32elementwise_kernel_manual_unrollILi128ELi8EZNS0_22gpu_kernel_impl_nocastINS0_11FillFunctorIhEEEEvRNS_18TensorIteratorBaseERKT_EUlibE_EEviT1_
                                        ; -- End function
	.section	.AMDGPU.csdata,"",@progbits
; Kernel info:
; codeLenInByte = 11652
; NumSgprs: 54
; NumVgprs: 18
; ScratchSize: 0
; MemoryBound: 0
; FloatMode: 240
; IeeeMode: 1
; LDSByteSize: 0 bytes/workgroup (compile time only)
; SGPRBlocks: 6
; VGPRBlocks: 2
; NumSGPRsForWavesPerEU: 54
; NumVGPRsForWavesPerEU: 18
; Occupancy: 16
; WaveLimiterHint : 1
; COMPUTE_PGM_RSRC2:SCRATCH_EN: 0
; COMPUTE_PGM_RSRC2:USER_SGPR: 15
; COMPUTE_PGM_RSRC2:TRAP_HANDLER: 0
; COMPUTE_PGM_RSRC2:TGID_X_EN: 1
; COMPUTE_PGM_RSRC2:TGID_Y_EN: 0
; COMPUTE_PGM_RSRC2:TGID_Z_EN: 0
; COMPUTE_PGM_RSRC2:TIDIG_COMP_CNT: 0
	.section	.text._ZN2at6native32elementwise_kernel_manual_unrollILi128ELi4EZNS0_15gpu_kernel_implINS0_11FillFunctorIhEEEEvRNS_18TensorIteratorBaseERKT_EUlibE_EEviT1_,"axG",@progbits,_ZN2at6native32elementwise_kernel_manual_unrollILi128ELi4EZNS0_15gpu_kernel_implINS0_11FillFunctorIhEEEEvRNS_18TensorIteratorBaseERKT_EUlibE_EEviT1_,comdat
	.protected	_ZN2at6native32elementwise_kernel_manual_unrollILi128ELi4EZNS0_15gpu_kernel_implINS0_11FillFunctorIhEEEEvRNS_18TensorIteratorBaseERKT_EUlibE_EEviT1_ ; -- Begin function _ZN2at6native32elementwise_kernel_manual_unrollILi128ELi4EZNS0_15gpu_kernel_implINS0_11FillFunctorIhEEEEvRNS_18TensorIteratorBaseERKT_EUlibE_EEviT1_
	.globl	_ZN2at6native32elementwise_kernel_manual_unrollILi128ELi4EZNS0_15gpu_kernel_implINS0_11FillFunctorIhEEEEvRNS_18TensorIteratorBaseERKT_EUlibE_EEviT1_
	.p2align	8
	.type	_ZN2at6native32elementwise_kernel_manual_unrollILi128ELi4EZNS0_15gpu_kernel_implINS0_11FillFunctorIhEEEEvRNS_18TensorIteratorBaseERKT_EUlibE_EEviT1_,@function
_ZN2at6native32elementwise_kernel_manual_unrollILi128ELi4EZNS0_15gpu_kernel_implINS0_11FillFunctorIhEEEEvRNS_18TensorIteratorBaseERKT_EUlibE_EEviT1_: ; @_ZN2at6native32elementwise_kernel_manual_unrollILi128ELi4EZNS0_15gpu_kernel_implINS0_11FillFunctorIhEEEEvRNS_18TensorIteratorBaseERKT_EUlibE_EEviT1_
; %bb.0:
	s_clause 0x1
	s_load_b128 s[16:19], s[0:1], 0x8
	s_load_b32 s20, s[0:1], 0x0
	v_lshl_or_b32 v24, s15, 9, v0
	s_mov_b32 s12, 0
	s_mov_b32 s1, 0
	s_mov_b32 s0, exec_lo
	s_delay_alu instid0(VALU_DEP_1) | instskip(SKIP_2) | instid1(VALU_DEP_2)
	v_or_b32_e32 v0, 0x180, v24
	s_waitcnt lgkmcnt(0)
	v_lshrrev_b16 v8, 8, s19
	v_cmpx_le_i32_e64 s20, v0
	s_xor_b32 s13, exec_lo, s0
	s_cbranch_execz .LBB6_151
; %bb.1:
	v_and_b32_e64 v9, 0xff, s19
	s_and_b32 s10, s19, 0xff
	s_mov_b32 s23, 0
	s_mov_b32 s24, -1
	s_mov_b32 s11, s23
	v_and_b32_e32 v0, 0xffff, v9
	s_mov_b32 s21, 0
	s_mov_b32 s22, exec_lo
	s_delay_alu instid0(VALU_DEP_1) | instskip(SKIP_1) | instid1(VALU_DEP_2)
	v_cvt_f32_ubyte0_e32 v4, v0
	v_cvt_f64_u32_e32 v[0:1], v0
	v_lshrrev_b32_e32 v2, 23, v4
	v_and_b32_e32 v5, 0x3fffff, v4
	v_and_b32_e32 v3, 0x400000, v4
	v_bfe_u32 v6, v4, 20, 1
	v_add_f32_e32 v22, 0x46000000, v4
	v_bfe_u32 v7, v4, 21, 1
	v_or_b32_e32 v5, v2, v5
	v_cmp_ne_u32_e32 vcc_lo, 0, v3
	v_add_nc_u32_e32 v3, v4, v6
	v_cmp_eq_u32_e64 s8, 0xff, v2
	v_dual_add_f32 v15, 0x42800000, v4 :: v_dual_add_nc_u32 v6, v4, v7
	v_cmp_ne_u32_e64 s1, 0, v5
	s_delay_alu instid0(VALU_DEP_4)
	v_add_nc_u32_e32 v5, 0x487ffff, v3
	v_add_nc_u32_e32 v3, 0x407ffff, v3
	v_readfirstlane_b32 s2, v22
	v_readfirstlane_b32 s3, v15
	s_and_b32 s1, vcc_lo, s1
	v_lshrrev_b32_e32 v23, 20, v5
	v_cndmask_b32_e64 v10, 0, 1, s1
	v_bfe_u32 v5, v4, 16, 1
	s_and_b32 s2, s2, 0xff
	v_add_nc_u32_e32 v7, 0x88fffff, v6
	s_cmp_lg_u32 s2, 0
	v_add_nc_u32_e32 v25, v2, v10
	v_and_b32_e32 v2, 0xff00000, v3
	v_lshrrev_b32_e32 v3, 20, v3
	v_cvt_f16_u16_e32 v10, v9
	s_cselect_b32 s15, -1, 0
	s_and_b32 s1, s3, 0xff
	v_cmp_ne_u32_e32 vcc_lo, 0x7f00000, v2
	v_add_nc_u32_e32 v2, 0x80fffff, v6
	v_add_f32_e32 v16, 0x43000000, v4
	v_cmp_gt_u32_e64 s7, 0x43800000, v4
	v_cmp_lt_u32_e64 s6, 0x3bffffff, v4
	v_dual_cndmask_b32 v18, 0x7e, v3 :: v_dual_add_nc_u32 v3, v4, v5
	v_mov_b32_e32 v5, 0x7f
	v_cmp_lt_u32_e32 vcc_lo, 0x7f800000, v4
	v_lshrrev_b32_e32 v14, 21, v2
	v_cmp_lt_u32_e64 s0, 0x477fffff, v4
	v_add_nc_u32_e32 v2, 0x7fff, v3
	v_cmp_gt_u32_e64 s4, 0x47800000, v4
	v_cndmask_b32_e32 v20, 0x7e, v5, vcc_lo
	v_cndmask_b32_e32 v17, 0x7c, v5, vcc_lo
	v_cmp_ne_u16_e32 vcc_lo, 0, v9
	v_cmp_lt_u32_e64 s5, 0x37ffffff, v4
	v_lshrrev_b32_e32 v21, 21, v7
	s_cmp_lg_u32 s1, 0
	v_cmp_lt_u32_e64 s2, 0x43efffff, v4
	v_cmp_gt_u32_e64 s3, 0x3c800000, v4
	v_add_f32_e32 v19, 0x46800000, v4
	v_cmp_gt_u32_e64 s1, 0x38800000, v4
	v_lshrrev_b32_e32 v13, 16, v2
	v_cndmask_b32_e64 v12, 0, 1, vcc_lo
	v_and_b32_e32 v11, 0xffff, v10
	s_cselect_b32 s14, -1, 0
	v_cmpx_gt_i32_e64 s20, v24
	s_cbranch_execz .LBB6_100
; %bb.2:
	v_mul_lo_u32 v2, v24, s18
	v_cmp_gt_i16_e32 vcc_lo, 11, v8
	s_delay_alu instid0(VALU_DEP_2) | instskip(SKIP_1) | instid1(VALU_DEP_1)
	v_ashrrev_i32_e32 v3, 31, v2
	v_add_co_u32 v6, s9, s16, v2
	v_add_co_ci_u32_e64 v7, s9, s17, v3, s9
	s_cbranch_vccnz .LBB6_9
; %bb.3:
	v_cmp_lt_i16_e32 vcc_lo, 25, v8
	s_cbranch_vccz .LBB6_12
; %bb.4:
	v_cmp_lt_i16_e32 vcc_lo, 28, v8
	s_cbranch_vccz .LBB6_13
	;; [unrolled: 3-line block ×4, first 2 shown]
; %bb.7:
	v_cmp_eq_u16_e32 vcc_lo, 46, v8
	s_mov_b32 s24, 0
	s_mov_b32 s9, -1
	s_cbranch_vccz .LBB6_16
; %bb.8:
	s_mov_b32 s21, -1
	s_mov_b32 s9, 0
	global_store_b32 v[6:7], v13, off
	s_branch .LBB6_16
.LBB6_9:
	s_mov_b32 s9, 0
	s_and_b32 vcc_lo, exec_lo, s24
	s_cbranch_vccnz .LBB6_60
.LBB6_10:
	s_and_not1_b32 vcc_lo, exec_lo, s21
	s_cbranch_vccnz .LBB6_98
.LBB6_11:
	v_add_nc_u32_e32 v24, 0x80, v24
	s_mov_b32 s24, -1
	s_branch .LBB6_99
.LBB6_12:
	s_mov_b32 s9, 0
	s_and_b32 vcc_lo, exec_lo, s24
	s_cbranch_vccnz .LBB6_38
	s_branch .LBB6_59
.LBB6_13:
	s_mov_b32 s9, 0
	s_branch .LBB6_24
.LBB6_14:
	s_mov_b32 s9, 0
	s_branch .LBB6_20
.LBB6_15:
	s_mov_b32 s9, 0
.LBB6_16:
	s_and_b32 vcc_lo, exec_lo, s24
	s_cbranch_vccz .LBB6_19
; %bb.17:
	v_cmp_eq_u16_e32 vcc_lo, 44, v8
	s_mov_b32 s9, -1
	s_cbranch_vccz .LBB6_19
; %bb.18:
	v_cndmask_b32_e64 v2, v25, 0xff, s8
	s_mov_b32 s21, -1
	s_mov_b32 s9, 0
	s_mov_b32 s24, 0
	global_store_b8 v[6:7], v2, off
	s_branch .LBB6_20
.LBB6_19:
	s_mov_b32 s24, 0
.LBB6_20:
	s_delay_alu instid0(SALU_CYCLE_1)
	s_and_b32 vcc_lo, exec_lo, s24
	s_cbranch_vccz .LBB6_23
; %bb.21:
	v_cmp_eq_u16_e32 vcc_lo, 29, v8
	s_mov_b32 s9, -1
	s_cbranch_vccz .LBB6_23
; %bb.22:
	v_dual_mov_b32 v2, s10 :: v_dual_mov_b32 v3, s11
	s_mov_b32 s21, -1
	s_mov_b32 s9, 0
	s_mov_b32 s24, 0
	global_store_b64 v[6:7], v[2:3], off
	s_branch .LBB6_24
.LBB6_23:
	s_mov_b32 s24, 0
.LBB6_24:
	s_delay_alu instid0(SALU_CYCLE_1)
	s_and_b32 vcc_lo, exec_lo, s24
	s_cbranch_vccz .LBB6_37
; %bb.25:
	v_cmp_gt_i16_e32 vcc_lo, 27, v8
	s_mov_b32 s21, -1
	s_cbranch_vccnz .LBB6_31
; %bb.26:
	v_cmp_lt_i16_e32 vcc_lo, 27, v8
	s_cbranch_vccz .LBB6_28
; %bb.27:
	v_mov_b32_e32 v2, s10
	s_mov_b32 s21, 0
	global_store_b32 v[6:7], v2, off
.LBB6_28:
	s_and_not1_b32 vcc_lo, exec_lo, s21
	s_cbranch_vccnz .LBB6_30
; %bb.29:
	global_store_b16 v[6:7], v9, off
.LBB6_30:
	s_mov_b32 s21, 0
.LBB6_31:
	s_delay_alu instid0(SALU_CYCLE_1)
	s_and_not1_b32 vcc_lo, exec_lo, s21
	s_cbranch_vccnz .LBB6_36
; %bb.32:
	v_mov_b32_e32 v2, 0x80
	s_and_not1_b32 vcc_lo, exec_lo, s7
	s_cbranch_vccnz .LBB6_35
; %bb.33:
	v_mov_b32_e32 v2, 0
	s_or_b32 s21, s6, s15
	s_delay_alu instid0(SALU_CYCLE_1)
	s_and_not1_b32 vcc_lo, exec_lo, s21
	s_cbranch_vccnz .LBB6_35
; %bb.34:
	v_cndmask_b32_e64 v2, v22, v23, s6
.LBB6_35:
	global_store_b8 v[6:7], v2, off
.LBB6_36:
	s_mov_b32 s21, -1
.LBB6_37:
	s_branch .LBB6_59
.LBB6_38:
	v_cmp_lt_i16_e32 vcc_lo, 22, v8
	s_mov_b32 s24, -1
	s_cbranch_vccz .LBB6_51
; %bb.39:
	v_cmp_gt_i16_e32 vcc_lo, 24, v8
	s_mov_b32 s21, -1
	s_cbranch_vccnz .LBB6_48
; %bb.40:
	v_cmp_lt_i16_e32 vcc_lo, 24, v8
	s_cbranch_vccz .LBB6_45
; %bb.41:
	v_mov_b32_e32 v2, 0x80
	s_and_not1_b32 vcc_lo, exec_lo, s4
	s_cbranch_vccnz .LBB6_44
; %bb.42:
	v_mov_b32_e32 v2, 0
	s_or_b32 s21, s5, s14
	s_delay_alu instid0(SALU_CYCLE_1)
	s_and_not1_b32 vcc_lo, exec_lo, s21
	s_cbranch_vccnz .LBB6_44
; %bb.43:
	v_cndmask_b32_e64 v2, v15, v21, s5
.LBB6_44:
	s_mov_b32 s21, 0
	global_store_b8 v[6:7], v2, off
.LBB6_45:
	s_and_b32 vcc_lo, exec_lo, s21
	s_cbranch_vccz .LBB6_47
; %bb.46:
	v_cndmask_b32_e64 v2, v18, v19, s3
	s_delay_alu instid0(VALU_DEP_1)
	v_cndmask_b32_e64 v2, v2, v20, s2
	global_store_b8 v[6:7], v2, off
.LBB6_47:
	s_mov_b32 s21, 0
.LBB6_48:
	s_delay_alu instid0(SALU_CYCLE_1)
	s_and_not1_b32 vcc_lo, exec_lo, s21
	s_cbranch_vccnz .LBB6_50
; %bb.49:
	v_cndmask_b32_e64 v2, v14, v16, s1
	s_delay_alu instid0(VALU_DEP_1)
	v_cndmask_b32_e64 v2, v2, v17, s0
	global_store_b8 v[6:7], v2, off
.LBB6_50:
	s_mov_b32 s24, 0
	s_mov_b32 s21, -1
.LBB6_51:
	s_and_not1_b32 vcc_lo, exec_lo, s24
	s_cbranch_vccnz .LBB6_59
; %bb.52:
	v_cmp_lt_i16_e32 vcc_lo, 14, v8
	s_mov_b32 s24, -1
	s_cbranch_vccz .LBB6_56
; %bb.53:
	v_cmp_eq_u16_e32 vcc_lo, 15, v8
	s_mov_b32 s9, -1
	s_cbranch_vccz .LBB6_55
; %bb.54:
	s_mov_b32 s21, -1
	s_mov_b32 s9, 0
	global_store_b16 v[6:7], v13, off
.LBB6_55:
	s_mov_b32 s24, 0
.LBB6_56:
	s_delay_alu instid0(SALU_CYCLE_1)
	s_and_b32 vcc_lo, exec_lo, s24
	s_cbranch_vccz .LBB6_59
; %bb.57:
	v_cmp_eq_u16_e32 vcc_lo, 11, v8
	s_mov_b32 s9, -1
	s_cbranch_vccz .LBB6_59
; %bb.58:
	s_mov_b32 s21, -1
	s_mov_b32 s9, 0
	global_store_b8 v[6:7], v12, off
.LBB6_59:
	s_branch .LBB6_10
.LBB6_60:
	v_cmp_gt_i16_e32 vcc_lo, 5, v8
	s_mov_b32 s21, -1
	s_cbranch_vccnz .LBB6_81
; %bb.61:
	v_cmp_gt_i16_e32 vcc_lo, 8, v8
	s_cbranch_vccnz .LBB6_71
; %bb.62:
	v_cmp_gt_i16_e32 vcc_lo, 9, v8
	s_cbranch_vccnz .LBB6_68
; %bb.63:
	v_cmp_lt_i16_e32 vcc_lo, 9, v8
	s_cbranch_vccz .LBB6_65
; %bb.64:
	v_mov_b32_e32 v2, 0
	s_mov_b32 s21, 0
	s_delay_alu instid0(VALU_DEP_1)
	v_mov_b32_e32 v3, v2
	global_store_b128 v[6:7], v[0:3], off
.LBB6_65:
	s_and_not1_b32 vcc_lo, exec_lo, s21
	s_cbranch_vccnz .LBB6_67
; %bb.66:
	v_mov_b32_e32 v5, 0
	global_store_b64 v[6:7], v[4:5], off
.LBB6_67:
	s_mov_b32 s21, 0
.LBB6_68:
	s_delay_alu instid0(SALU_CYCLE_1)
	s_and_not1_b32 vcc_lo, exec_lo, s21
	s_cbranch_vccnz .LBB6_70
; %bb.69:
	global_store_b32 v[6:7], v11, off
.LBB6_70:
	s_mov_b32 s21, 0
.LBB6_71:
	s_delay_alu instid0(SALU_CYCLE_1)
	s_and_not1_b32 vcc_lo, exec_lo, s21
	s_cbranch_vccnz .LBB6_80
; %bb.72:
	v_cmp_gt_i16_e32 vcc_lo, 6, v8
	s_mov_b32 s21, -1
	s_cbranch_vccnz .LBB6_78
; %bb.73:
	v_cmp_lt_i16_e32 vcc_lo, 6, v8
	s_cbranch_vccz .LBB6_75
; %bb.74:
	s_mov_b32 s21, 0
	global_store_b64 v[6:7], v[0:1], off
.LBB6_75:
	s_and_not1_b32 vcc_lo, exec_lo, s21
	s_cbranch_vccnz .LBB6_77
; %bb.76:
	global_store_b32 v[6:7], v4, off
.LBB6_77:
	s_mov_b32 s21, 0
.LBB6_78:
	s_delay_alu instid0(SALU_CYCLE_1)
	s_and_not1_b32 vcc_lo, exec_lo, s21
	s_cbranch_vccnz .LBB6_80
; %bb.79:
	global_store_b16 v[6:7], v10, off
.LBB6_80:
	s_mov_b32 s21, 0
.LBB6_81:
	s_delay_alu instid0(SALU_CYCLE_1)
	s_and_not1_b32 vcc_lo, exec_lo, s21
	s_cbranch_vccnz .LBB6_97
; %bb.82:
	v_cmp_gt_i16_e32 vcc_lo, 2, v8
	s_mov_b32 s21, -1
	s_cbranch_vccnz .LBB6_92
; %bb.83:
	v_cmp_gt_i16_e32 vcc_lo, 3, v8
	s_cbranch_vccnz .LBB6_89
; %bb.84:
	v_cmp_lt_i16_e32 vcc_lo, 3, v8
	s_cbranch_vccz .LBB6_86
; %bb.85:
	v_dual_mov_b32 v2, s10 :: v_dual_mov_b32 v3, s11
	s_mov_b32 s21, 0
	global_store_b64 v[6:7], v[2:3], off
.LBB6_86:
	s_and_not1_b32 vcc_lo, exec_lo, s21
	s_cbranch_vccnz .LBB6_88
; %bb.87:
	v_mov_b32_e32 v2, s10
	global_store_b32 v[6:7], v2, off
.LBB6_88:
	s_mov_b32 s21, 0
.LBB6_89:
	s_delay_alu instid0(SALU_CYCLE_1)
	s_and_not1_b32 vcc_lo, exec_lo, s21
	s_cbranch_vccnz .LBB6_91
; %bb.90:
	global_store_b16 v[6:7], v9, off
.LBB6_91:
	s_mov_b32 s21, 0
.LBB6_92:
	s_delay_alu instid0(SALU_CYCLE_1)
	s_and_not1_b32 vcc_lo, exec_lo, s21
	s_cbranch_vccnz .LBB6_97
; %bb.93:
	v_cmp_lt_i16_e32 vcc_lo, 0, v8
	s_mov_b32 s21, -1
	s_cbranch_vccz .LBB6_95
; %bb.94:
	v_mov_b32_e32 v2, s19
	s_mov_b32 s21, 0
	global_store_b8 v[6:7], v2, off
.LBB6_95:
	s_and_not1_b32 vcc_lo, exec_lo, s21
	s_cbranch_vccnz .LBB6_97
; %bb.96:
	v_mov_b32_e32 v2, s19
	global_store_b8 v[6:7], v2, off
.LBB6_97:
	s_branch .LBB6_11
.LBB6_98:
	s_mov_b32 s24, 0
                                        ; implicit-def: $vgpr24
.LBB6_99:
	s_and_b32 s21, s9, exec_lo
	s_or_not1_b32 s24, s24, exec_lo
.LBB6_100:
	s_or_b32 exec_lo, exec_lo, s22
	s_mov_b32 s9, 0
                                        ; implicit-def: $vgpr6_vgpr7
	s_and_saveexec_b32 s22, s24
	s_cbranch_execz .LBB6_109
; %bb.101:
	s_mov_b32 s9, -1
	s_mov_b32 s23, s21
	s_mov_b32 s24, exec_lo
	v_cmpx_gt_i32_e64 s20, v24
	s_cbranch_execz .LBB6_326
; %bb.102:
	v_mul_lo_u32 v2, v24, s18
	v_cmp_gt_i16_e32 vcc_lo, 11, v8
	s_delay_alu instid0(VALU_DEP_2) | instskip(SKIP_1) | instid1(VALU_DEP_1)
	v_ashrrev_i32_e32 v3, 31, v2
	v_add_co_u32 v6, s9, s16, v2
	v_add_co_ci_u32_e64 v7, s9, s17, v3, s9
	s_cbranch_vccnz .LBB6_219
; %bb.103:
	v_cmp_lt_i16_e32 vcc_lo, 25, v8
	s_cbranch_vccz .LBB6_222
; %bb.104:
	v_cmp_lt_i16_e32 vcc_lo, 28, v8
	s_cbranch_vccz .LBB6_223
	;; [unrolled: 3-line block ×4, first 2 shown]
; %bb.107:
	v_cmp_eq_u16_e32 vcc_lo, 46, v8
	s_mov_b32 s25, 0
	s_mov_b32 s9, -1
	s_mov_b32 s23, 0
	s_cbranch_vccz .LBB6_241
; %bb.108:
	s_mov_b32 s23, -1
	s_mov_b32 s9, 0
	global_store_b32 v[6:7], v13, off
	s_branch .LBB6_241
.LBB6_109:
	s_or_b32 exec_lo, exec_lo, s22
	s_mov_b32 s0, 0
	s_and_saveexec_b32 s1, s21
	s_cbranch_execnz .LBB6_791
.LBB6_110:
	s_or_b32 exec_lo, exec_lo, s1
	s_and_saveexec_b32 s1, s23
	s_delay_alu instid0(SALU_CYCLE_1)
	s_xor_b32 s1, exec_lo, s1
	s_cbranch_execz .LBB6_112
.LBB6_111:
	global_store_b8 v[6:7], v12, off
.LBB6_112:
	s_or_b32 exec_lo, exec_lo, s1
	s_and_saveexec_b32 s1, s9
	s_delay_alu instid0(SALU_CYCLE_1)
	s_xor_b32 s1, exec_lo, s1
	s_cbranch_execz .LBB6_150
; %bb.113:
	v_cmp_gt_i16_e32 vcc_lo, 5, v8
	s_mov_b32 s2, -1
	s_cbranch_vccnz .LBB6_134
; %bb.114:
	v_cmp_gt_i16_e32 vcc_lo, 8, v8
	s_cbranch_vccnz .LBB6_124
; %bb.115:
	v_cmp_gt_i16_e32 vcc_lo, 9, v8
	s_cbranch_vccnz .LBB6_121
; %bb.116:
	v_cmp_lt_i16_e32 vcc_lo, 9, v8
	s_cbranch_vccz .LBB6_118
; %bb.117:
	v_mov_b32_e32 v2, 0
	s_mov_b32 s2, 0
	s_delay_alu instid0(VALU_DEP_1)
	v_mov_b32_e32 v3, v2
	global_store_b128 v[6:7], v[0:3], off
.LBB6_118:
	s_and_not1_b32 vcc_lo, exec_lo, s2
	s_cbranch_vccnz .LBB6_120
; %bb.119:
	v_mov_b32_e32 v5, 0
	global_store_b64 v[6:7], v[4:5], off
.LBB6_120:
	s_mov_b32 s2, 0
.LBB6_121:
	s_delay_alu instid0(SALU_CYCLE_1)
	s_and_not1_b32 vcc_lo, exec_lo, s2
	s_cbranch_vccnz .LBB6_123
; %bb.122:
	global_store_b32 v[6:7], v11, off
.LBB6_123:
	s_mov_b32 s2, 0
.LBB6_124:
	s_delay_alu instid0(SALU_CYCLE_1)
	s_and_not1_b32 vcc_lo, exec_lo, s2
	s_cbranch_vccnz .LBB6_133
; %bb.125:
	v_cmp_gt_i16_e32 vcc_lo, 6, v8
	s_mov_b32 s2, -1
	s_cbranch_vccnz .LBB6_131
; %bb.126:
	v_cmp_lt_i16_e32 vcc_lo, 6, v8
	s_cbranch_vccz .LBB6_128
; %bb.127:
	s_mov_b32 s2, 0
	global_store_b64 v[6:7], v[0:1], off
.LBB6_128:
	s_and_not1_b32 vcc_lo, exec_lo, s2
	s_cbranch_vccnz .LBB6_130
; %bb.129:
	global_store_b32 v[6:7], v4, off
.LBB6_130:
	s_mov_b32 s2, 0
.LBB6_131:
	s_delay_alu instid0(SALU_CYCLE_1)
	s_and_not1_b32 vcc_lo, exec_lo, s2
	s_cbranch_vccnz .LBB6_133
; %bb.132:
	global_store_b16 v[6:7], v10, off
.LBB6_133:
	s_mov_b32 s2, 0
.LBB6_134:
	s_delay_alu instid0(SALU_CYCLE_1)
	s_and_not1_b32 vcc_lo, exec_lo, s2
	s_cbranch_vccnz .LBB6_150
; %bb.135:
	v_cmp_gt_i16_e32 vcc_lo, 2, v8
	s_mov_b32 s2, -1
	s_cbranch_vccnz .LBB6_145
; %bb.136:
	v_cmp_gt_i16_e32 vcc_lo, 3, v8
	s_cbranch_vccnz .LBB6_142
; %bb.137:
	v_cmp_lt_i16_e32 vcc_lo, 3, v8
	s_cbranch_vccz .LBB6_139
; %bb.138:
	v_dual_mov_b32 v0, s10 :: v_dual_mov_b32 v1, s11
	s_mov_b32 s2, 0
	global_store_b64 v[6:7], v[0:1], off
.LBB6_139:
	s_and_not1_b32 vcc_lo, exec_lo, s2
	s_cbranch_vccnz .LBB6_141
; %bb.140:
	v_mov_b32_e32 v0, s10
	global_store_b32 v[6:7], v0, off
.LBB6_141:
	s_mov_b32 s2, 0
.LBB6_142:
	s_delay_alu instid0(SALU_CYCLE_1)
	s_and_not1_b32 vcc_lo, exec_lo, s2
	s_cbranch_vccnz .LBB6_144
; %bb.143:
	global_store_b16 v[6:7], v9, off
.LBB6_144:
	s_mov_b32 s2, 0
.LBB6_145:
	s_delay_alu instid0(SALU_CYCLE_1)
	s_and_not1_b32 vcc_lo, exec_lo, s2
	s_cbranch_vccnz .LBB6_150
; %bb.146:
	v_cmp_lt_i16_e32 vcc_lo, 0, v8
	s_mov_b32 s2, -1
	s_cbranch_vccz .LBB6_148
; %bb.147:
	v_mov_b32_e32 v0, s19
	s_mov_b32 s2, 0
	global_store_b8 v[6:7], v0, off
.LBB6_148:
	s_and_not1_b32 vcc_lo, exec_lo, s2
	s_cbranch_vccnz .LBB6_150
; %bb.149:
	v_mov_b32_e32 v0, s19
	global_store_b8 v[6:7], v0, off
.LBB6_150:
	s_or_b32 exec_lo, exec_lo, s1
	s_delay_alu instid0(SALU_CYCLE_1)
	s_and_b32 s1, s0, exec_lo
                                        ; implicit-def: $vgpr8
                                        ; implicit-def: $vgpr24
.LBB6_151:
	s_or_saveexec_b32 s2, s13
	s_mov_b32 s0, 0
                                        ; implicit-def: $vgpr0_vgpr1
	s_xor_b32 exec_lo, exec_lo, s2
	s_cbranch_execz .LBB6_685
; %bb.152:
	v_mul_lo_u32 v2, s18, v24
	v_cmp_gt_i16_e32 vcc_lo, 11, v8
	s_delay_alu instid0(VALU_DEP_2) | instskip(SKIP_1) | instid1(VALU_DEP_1)
	v_ashrrev_i32_e32 v1, 31, v2
	v_add_co_u32 v0, s0, s16, v2
	v_add_co_ci_u32_e64 v1, s0, s17, v1, s0
	s_cbranch_vccnz .LBB6_180
; %bb.153:
	v_cmp_lt_i16_e32 vcc_lo, 25, v8
	s_mov_b32 s3, -1
	s_mov_b32 s4, 0
	s_mov_b32 s5, 0
	;; [unrolled: 1-line block ×3, first 2 shown]
	s_cbranch_vccz .LBB6_233
; %bb.154:
	v_cmp_lt_i16_e32 vcc_lo, 28, v8
	s_cbranch_vccz .LBB6_169
; %bb.155:
	v_cmp_lt_i16_e32 vcc_lo, 43, v8
	;; [unrolled: 3-line block ×3, first 2 shown]
	s_cbranch_vccz .LBB6_159
; %bb.157:
	v_cmp_eq_u16_e32 vcc_lo, 46, v8
	s_mov_b32 s0, -1
	s_mov_b32 s3, 0
	s_cbranch_vccz .LBB6_159
; %bb.158:
	v_cvt_f32_ubyte0_e32 v3, s19
	s_mov_b32 s0, 0
	s_mov_b32 s5, -1
	s_delay_alu instid0(VALU_DEP_1) | instskip(NEXT) | instid1(VALU_DEP_1)
	v_bfe_u32 v4, v3, 16, 1
	v_add_nc_u32_e32 v3, v3, v4
	s_delay_alu instid0(VALU_DEP_1) | instskip(NEXT) | instid1(VALU_DEP_1)
	v_add_nc_u32_e32 v3, 0x7fff, v3
	v_lshrrev_b32_e32 v3, 16, v3
	global_store_b32 v[0:1], v3, off
.LBB6_159:
	s_and_b32 vcc_lo, exec_lo, s3
	s_cbranch_vccz .LBB6_164
; %bb.160:
	v_cmp_eq_u16_e32 vcc_lo, 44, v8
	s_mov_b32 s0, -1
	s_cbranch_vccz .LBB6_164
; %bb.161:
	v_cvt_f32_ubyte0_e32 v3, s19
	s_delay_alu instid0(VALU_DEP_1) | instskip(SKIP_1) | instid1(VALU_DEP_2)
	v_readfirstlane_b32 s3, v3
	v_mov_b32_e32 v3, 0xff
	s_lshr_b32 s0, s3, 23
	s_delay_alu instid0(SALU_CYCLE_1)
	s_cmpk_eq_i32 s0, 0xff
	s_cbranch_scc1 .LBB6_163
; %bb.162:
	s_bitcmp1_b32 s3, 22
	s_cselect_b32 s5, -1, 0
	s_and_b32 s3, s3, 0x3fffff
	s_delay_alu instid0(SALU_CYCLE_1) | instskip(NEXT) | instid1(SALU_CYCLE_1)
	s_or_b32 s3, s0, s3
	s_cmp_lg_u32 s3, 0
	s_cselect_b32 s3, -1, 0
	s_delay_alu instid0(SALU_CYCLE_1) | instskip(NEXT) | instid1(SALU_CYCLE_1)
	s_and_b32 s3, s5, s3
	v_cndmask_b32_e64 v3, 0, 1, s3
	s_delay_alu instid0(VALU_DEP_1)
	v_add_nc_u32_e32 v3, s0, v3
.LBB6_163:
	s_mov_b32 s0, 0
	s_mov_b32 s5, -1
	global_store_b8 v[0:1], v3, off
.LBB6_164:
	s_mov_b32 s3, 0
.LBB6_165:
	s_delay_alu instid0(SALU_CYCLE_1)
	s_and_b32 vcc_lo, exec_lo, s3
	s_cbranch_vccz .LBB6_168
; %bb.166:
	v_cmp_eq_u16_e32 vcc_lo, 29, v8
	s_mov_b32 s0, -1
	s_cbranch_vccz .LBB6_168
; %bb.167:
	s_and_b32 s0, s19, 0xff
	s_mov_b32 s5, -1
	v_dual_mov_b32 v3, s0 :: v_dual_mov_b32 v4, 0
	s_mov_b32 s0, 0
	global_store_b64 v[0:1], v[3:4], off
.LBB6_168:
	s_mov_b32 s3, 0
.LBB6_169:
	s_delay_alu instid0(SALU_CYCLE_1)
	s_and_b32 vcc_lo, exec_lo, s3
	s_cbranch_vccz .LBB6_232
; %bb.170:
	v_cmp_gt_i16_e32 vcc_lo, 27, v8
	s_mov_b32 s3, -1
	s_cbranch_vccnz .LBB6_176
; %bb.171:
	v_cmp_lt_i16_e32 vcc_lo, 27, v8
	s_cbranch_vccz .LBB6_173
; %bb.172:
	s_and_b32 s3, s19, 0xff
	s_delay_alu instid0(SALU_CYCLE_1)
	v_mov_b32_e32 v3, s3
	s_mov_b32 s3, 0
	global_store_b32 v[0:1], v3, off
.LBB6_173:
	s_and_not1_b32 vcc_lo, exec_lo, s3
	s_cbranch_vccnz .LBB6_175
; %bb.174:
	v_and_b32_e64 v3, 0xff, s19
	global_store_b16 v[0:1], v3, off
.LBB6_175:
	s_mov_b32 s3, 0
.LBB6_176:
	s_delay_alu instid0(SALU_CYCLE_1)
	s_and_not1_b32 vcc_lo, exec_lo, s3
	s_cbranch_vccnz .LBB6_231
; %bb.177:
	v_cvt_f32_ubyte0_e32 v3, s19
	v_mov_b32_e32 v5, 0x80
	s_delay_alu instid0(VALU_DEP_2)
	v_cmp_lt_u32_e32 vcc_lo, 0x437fffff, v3
	v_readfirstlane_b32 s3, v3
	s_cbranch_vccnz .LBB6_230
; %bb.178:
	s_delay_alu instid0(VALU_DEP_1)
	s_cmp_gt_u32 s3, 0x3bffffff
	s_cbranch_scc0 .LBB6_225
; %bb.179:
	s_bfe_u32 s5, s3, 0x10014
	s_delay_alu instid0(SALU_CYCLE_1) | instskip(SKIP_2) | instid1(SALU_CYCLE_1)
	s_add_i32 s3, s3, s5
	s_mov_b32 s5, 0
	s_add_i32 s3, s3, 0x487ffff
	s_lshr_b32 s6, s3, 20
	s_mov_b32 s3, -1
	s_branch .LBB6_226
.LBB6_180:
	s_mov_b32 s5, 0
	s_mov_b32 s3, s1
	s_cbranch_execz .LBB6_382
; %bb.181:
	v_cmp_gt_i16_e32 vcc_lo, 5, v8
	s_mov_b32 s0, -1
	s_cbranch_vccnz .LBB6_202
; %bb.182:
	v_cmp_gt_i16_e32 vcc_lo, 8, v8
	s_cbranch_vccnz .LBB6_192
; %bb.183:
	v_cmp_gt_i16_e32 vcc_lo, 9, v8
	s_cbranch_vccnz .LBB6_189
; %bb.184:
	v_cmp_lt_i16_e32 vcc_lo, 9, v8
	s_cbranch_vccz .LBB6_186
; %bb.185:
	v_and_b32_e64 v3, 0xff, s19
	v_mov_b32_e32 v5, 0
	s_mov_b32 s0, 0
	s_delay_alu instid0(VALU_DEP_1) | instskip(NEXT) | instid1(VALU_DEP_1)
	v_dual_mov_b32 v6, v5 :: v_dual_and_b32 v3, 0xffff, v3
	v_cvt_f64_u32_e32 v[3:4], v3
	global_store_b128 v[0:1], v[3:6], off
.LBB6_186:
	s_and_not1_b32 vcc_lo, exec_lo, s0
	s_cbranch_vccnz .LBB6_188
; %bb.187:
	v_cvt_f32_ubyte0_e32 v3, s19
	v_mov_b32_e32 v4, 0
	global_store_b64 v[0:1], v[3:4], off
.LBB6_188:
	s_mov_b32 s0, 0
.LBB6_189:
	s_delay_alu instid0(SALU_CYCLE_1)
	s_and_not1_b32 vcc_lo, exec_lo, s0
	s_cbranch_vccnz .LBB6_191
; %bb.190:
	v_and_b32_e64 v3, 0xff, s19
	s_delay_alu instid0(VALU_DEP_1) | instskip(NEXT) | instid1(VALU_DEP_1)
	v_cvt_f16_u16_e32 v3, v3
	v_and_b32_e32 v3, 0xffff, v3
	global_store_b32 v[0:1], v3, off
.LBB6_191:
	s_mov_b32 s0, 0
.LBB6_192:
	s_delay_alu instid0(SALU_CYCLE_1)
	s_and_not1_b32 vcc_lo, exec_lo, s0
	s_cbranch_vccnz .LBB6_201
; %bb.193:
	v_cmp_gt_i16_e32 vcc_lo, 6, v8
	s_mov_b32 s0, -1
	s_cbranch_vccnz .LBB6_199
; %bb.194:
	v_cmp_lt_i16_e32 vcc_lo, 6, v8
	s_cbranch_vccz .LBB6_196
; %bb.195:
	v_and_b32_e64 v3, 0xff, s19
	s_mov_b32 s0, 0
	s_delay_alu instid0(VALU_DEP_1) | instskip(NEXT) | instid1(VALU_DEP_1)
	v_and_b32_e32 v3, 0xffff, v3
	v_cvt_f64_u32_e32 v[3:4], v3
	global_store_b64 v[0:1], v[3:4], off
.LBB6_196:
	s_and_not1_b32 vcc_lo, exec_lo, s0
	s_cbranch_vccnz .LBB6_198
; %bb.197:
	v_cvt_f32_ubyte0_e32 v3, s19
	global_store_b32 v[0:1], v3, off
.LBB6_198:
	s_mov_b32 s0, 0
.LBB6_199:
	s_delay_alu instid0(SALU_CYCLE_1)
	s_and_not1_b32 vcc_lo, exec_lo, s0
	s_cbranch_vccnz .LBB6_201
; %bb.200:
	v_and_b32_e64 v3, 0xff, s19
	s_delay_alu instid0(VALU_DEP_1)
	v_cvt_f16_u16_e32 v3, v3
	global_store_b16 v[0:1], v3, off
.LBB6_201:
	s_mov_b32 s0, 0
.LBB6_202:
	s_delay_alu instid0(SALU_CYCLE_1)
	s_and_not1_b32 vcc_lo, exec_lo, s0
	s_cbranch_vccnz .LBB6_218
; %bb.203:
	v_cmp_gt_i16_e32 vcc_lo, 2, v8
	s_mov_b32 s0, -1
	s_cbranch_vccnz .LBB6_213
; %bb.204:
	v_cmp_gt_i16_e32 vcc_lo, 3, v8
	s_cbranch_vccnz .LBB6_210
; %bb.205:
	v_cmp_lt_i16_e32 vcc_lo, 3, v8
	s_cbranch_vccz .LBB6_207
; %bb.206:
	s_and_b32 s0, s19, 0xff
	s_delay_alu instid0(SALU_CYCLE_1)
	v_dual_mov_b32 v4, 0 :: v_dual_mov_b32 v3, s0
	s_mov_b32 s0, 0
	global_store_b64 v[0:1], v[3:4], off
.LBB6_207:
	s_and_not1_b32 vcc_lo, exec_lo, s0
	s_cbranch_vccnz .LBB6_209
; %bb.208:
	s_and_b32 s0, s19, 0xff
	s_delay_alu instid0(SALU_CYCLE_1)
	v_mov_b32_e32 v3, s0
	global_store_b32 v[0:1], v3, off
.LBB6_209:
	s_mov_b32 s0, 0
.LBB6_210:
	s_delay_alu instid0(SALU_CYCLE_1)
	s_and_not1_b32 vcc_lo, exec_lo, s0
	s_cbranch_vccnz .LBB6_212
; %bb.211:
	v_and_b32_e64 v3, 0xff, s19
	global_store_b16 v[0:1], v3, off
.LBB6_212:
	s_mov_b32 s0, 0
.LBB6_213:
	s_delay_alu instid0(SALU_CYCLE_1)
	s_and_not1_b32 vcc_lo, exec_lo, s0
	s_cbranch_vccnz .LBB6_218
; %bb.214:
	v_cmp_lt_i16_e32 vcc_lo, 0, v8
	s_mov_b32 s0, -1
	s_cbranch_vccz .LBB6_216
; %bb.215:
	v_mov_b32_e32 v3, s19
	s_mov_b32 s0, 0
	global_store_b8 v[0:1], v3, off
.LBB6_216:
	s_and_not1_b32 vcc_lo, exec_lo, s0
	s_cbranch_vccnz .LBB6_218
; %bb.217:
	v_mov_b32_e32 v3, s19
	global_store_b8 v[0:1], v3, off
.LBB6_218:
	s_branch .LBB6_383
.LBB6_219:
	s_mov_b32 s23, 0
	s_mov_b32 s9, s21
	s_cbranch_execnz .LBB6_286
.LBB6_220:
	s_and_not1_b32 vcc_lo, exec_lo, s23
	s_cbranch_vccnz .LBB6_324
.LBB6_221:
	v_add_nc_u32_e32 v24, 0x80, v24
	s_mov_b32 s25, -1
	s_branch .LBB6_325
.LBB6_222:
	s_mov_b32 s25, -1
	s_mov_b32 s23, 0
	s_mov_b32 s9, s21
	s_branch .LBB6_263
.LBB6_223:
	s_mov_b32 s25, -1
	s_mov_b32 s23, 0
	s_mov_b32 s9, s21
	s_branch .LBB6_249
.LBB6_224:
	s_mov_b32 s25, -1
	s_mov_b32 s23, 0
	s_mov_b32 s9, s21
	s_branch .LBB6_245
.LBB6_225:
	s_mov_b32 s5, -1
	s_mov_b32 s3, 0
                                        ; implicit-def: $sgpr6
.LBB6_226:
	v_mov_b32_e32 v4, s6
	s_and_not1_b32 vcc_lo, exec_lo, s5
                                        ; implicit-def: $sgpr5
	s_cbranch_vccnz .LBB6_228
; %bb.227:
	v_add_f32_e32 v3, 0x46000000, v3
	s_mov_b32 s5, 0
	s_delay_alu instid0(VALU_DEP_1) | instskip(NEXT) | instid1(VALU_DEP_1)
	v_and_b32_e32 v4, 0xff, v3
	v_cmp_ne_u32_e64 s3, 0, v4
.LBB6_228:
	v_mov_b32_e32 v5, s5
	s_delay_alu instid0(VALU_DEP_2)
	s_and_not1_b32 vcc_lo, exec_lo, s3
	s_cbranch_vccnz .LBB6_230
; %bb.229:
	v_mov_b32_e32 v5, v4
.LBB6_230:
	global_store_b8 v[0:1], v5, off
.LBB6_231:
	s_mov_b32 s5, -1
.LBB6_232:
	s_mov_b32 s3, 0
.LBB6_233:
	s_delay_alu instid0(SALU_CYCLE_1)
	s_and_b32 vcc_lo, exec_lo, s3
	s_cbranch_vccz .LBB6_378
; %bb.234:
	v_cmp_lt_i16_e32 vcc_lo, 22, v8
	s_mov_b32 s3, -1
	s_cbranch_vccz .LBB6_371
; %bb.235:
	v_cmp_gt_i16_e32 vcc_lo, 24, v8
	s_cbranch_vccnz .LBB6_358
; %bb.236:
	v_cmp_lt_i16_e32 vcc_lo, 24, v8
	s_cbranch_vccz .LBB6_345
; %bb.237:
	v_cvt_f32_ubyte0_e32 v3, s19
	v_mov_b32_e32 v5, 0x80
	s_delay_alu instid0(VALU_DEP_2)
	v_cmp_lt_u32_e32 vcc_lo, 0x477fffff, v3
	v_readfirstlane_b32 s3, v3
	s_cbranch_vccnz .LBB6_344
; %bb.238:
	s_delay_alu instid0(VALU_DEP_1)
	s_cmp_gt_u32 s3, 0x37ffffff
	s_cbranch_scc0 .LBB6_339
; %bb.239:
	s_bfe_u32 s4, s3, 0x10015
	s_delay_alu instid0(SALU_CYCLE_1) | instskip(SKIP_2) | instid1(SALU_CYCLE_1)
	s_add_i32 s3, s3, s4
	s_mov_b32 s4, 0
	s_add_i32 s3, s3, 0x88fffff
	s_lshr_b32 s5, s3, 21
	s_mov_b32 s3, -1
	s_branch .LBB6_340
.LBB6_240:
	s_mov_b32 s25, -1
	s_mov_b32 s23, 0
	s_mov_b32 s9, s21
.LBB6_241:
	s_and_b32 vcc_lo, exec_lo, s25
	s_cbranch_vccz .LBB6_244
; %bb.242:
	v_cmp_eq_u16_e32 vcc_lo, 44, v8
	s_mov_b32 s9, -1
	s_cbranch_vccz .LBB6_244
; %bb.243:
	v_cndmask_b32_e64 v2, v25, 0xff, s8
	s_mov_b32 s23, -1
	s_mov_b32 s9, 0
	global_store_b8 v[6:7], v2, off
.LBB6_244:
	s_mov_b32 s25, 0
.LBB6_245:
	s_delay_alu instid0(SALU_CYCLE_1)
	s_and_b32 vcc_lo, exec_lo, s25
	s_cbranch_vccz .LBB6_248
; %bb.246:
	v_cmp_eq_u16_e32 vcc_lo, 29, v8
	s_mov_b32 s9, -1
	s_cbranch_vccz .LBB6_248
; %bb.247:
	v_dual_mov_b32 v2, s10 :: v_dual_mov_b32 v3, s11
	s_mov_b32 s23, -1
	s_mov_b32 s9, 0
	s_mov_b32 s25, 0
	global_store_b64 v[6:7], v[2:3], off
	s_branch .LBB6_249
.LBB6_248:
	s_mov_b32 s25, 0
.LBB6_249:
	s_delay_alu instid0(SALU_CYCLE_1)
	s_and_b32 vcc_lo, exec_lo, s25
	s_cbranch_vccz .LBB6_262
; %bb.250:
	v_cmp_gt_i16_e32 vcc_lo, 27, v8
	s_mov_b32 s23, -1
	s_cbranch_vccnz .LBB6_256
; %bb.251:
	v_cmp_lt_i16_e32 vcc_lo, 27, v8
	s_cbranch_vccz .LBB6_253
; %bb.252:
	v_mov_b32_e32 v2, s10
	s_mov_b32 s23, 0
	global_store_b32 v[6:7], v2, off
.LBB6_253:
	s_and_not1_b32 vcc_lo, exec_lo, s23
	s_cbranch_vccnz .LBB6_255
; %bb.254:
	global_store_b16 v[6:7], v9, off
.LBB6_255:
	s_mov_b32 s23, 0
.LBB6_256:
	s_delay_alu instid0(SALU_CYCLE_1)
	s_and_not1_b32 vcc_lo, exec_lo, s23
	s_cbranch_vccnz .LBB6_261
; %bb.257:
	v_mov_b32_e32 v2, 0x80
	s_and_not1_b32 vcc_lo, exec_lo, s7
	s_cbranch_vccnz .LBB6_260
; %bb.258:
	v_mov_b32_e32 v2, 0
	s_or_b32 s23, s6, s15
	s_delay_alu instid0(SALU_CYCLE_1)
	s_and_not1_b32 vcc_lo, exec_lo, s23
	s_cbranch_vccnz .LBB6_260
; %bb.259:
	v_cndmask_b32_e64 v2, v22, v23, s6
.LBB6_260:
	global_store_b8 v[6:7], v2, off
.LBB6_261:
	s_mov_b32 s23, -1
.LBB6_262:
	s_mov_b32 s25, 0
.LBB6_263:
	s_delay_alu instid0(SALU_CYCLE_1)
	s_and_b32 vcc_lo, exec_lo, s25
	s_cbranch_vccz .LBB6_285
; %bb.264:
	v_cmp_lt_i16_e32 vcc_lo, 22, v8
	s_mov_b32 s25, -1
	s_cbranch_vccz .LBB6_277
; %bb.265:
	v_cmp_gt_i16_e32 vcc_lo, 24, v8
	s_mov_b32 s23, -1
	s_cbranch_vccnz .LBB6_274
; %bb.266:
	v_cmp_lt_i16_e32 vcc_lo, 24, v8
	s_cbranch_vccz .LBB6_271
; %bb.267:
	v_mov_b32_e32 v2, 0x80
	s_and_not1_b32 vcc_lo, exec_lo, s4
	s_cbranch_vccnz .LBB6_270
; %bb.268:
	v_mov_b32_e32 v2, 0
	s_or_b32 s23, s5, s14
	s_delay_alu instid0(SALU_CYCLE_1)
	s_and_not1_b32 vcc_lo, exec_lo, s23
	s_cbranch_vccnz .LBB6_270
; %bb.269:
	v_cndmask_b32_e64 v2, v15, v21, s5
.LBB6_270:
	s_mov_b32 s23, 0
	global_store_b8 v[6:7], v2, off
.LBB6_271:
	s_and_b32 vcc_lo, exec_lo, s23
	s_cbranch_vccz .LBB6_273
; %bb.272:
	v_cndmask_b32_e64 v2, v18, v19, s3
	s_delay_alu instid0(VALU_DEP_1)
	v_cndmask_b32_e64 v2, v2, v20, s2
	global_store_b8 v[6:7], v2, off
.LBB6_273:
	s_mov_b32 s23, 0
.LBB6_274:
	s_delay_alu instid0(SALU_CYCLE_1)
	s_and_not1_b32 vcc_lo, exec_lo, s23
	s_cbranch_vccnz .LBB6_276
; %bb.275:
	v_cndmask_b32_e64 v2, v14, v16, s1
	s_delay_alu instid0(VALU_DEP_1)
	v_cndmask_b32_e64 v2, v2, v17, s0
	global_store_b8 v[6:7], v2, off
.LBB6_276:
	s_mov_b32 s25, 0
	s_mov_b32 s23, -1
.LBB6_277:
	s_and_not1_b32 vcc_lo, exec_lo, s25
	s_cbranch_vccnz .LBB6_285
; %bb.278:
	v_cmp_lt_i16_e32 vcc_lo, 14, v8
	s_mov_b32 s25, -1
	s_cbranch_vccz .LBB6_282
; %bb.279:
	v_cmp_eq_u16_e32 vcc_lo, 15, v8
	s_mov_b32 s9, -1
	s_cbranch_vccz .LBB6_281
; %bb.280:
	s_mov_b32 s23, -1
	s_mov_b32 s9, 0
	global_store_b16 v[6:7], v13, off
.LBB6_281:
	s_mov_b32 s25, 0
.LBB6_282:
	s_delay_alu instid0(SALU_CYCLE_1)
	s_and_b32 vcc_lo, exec_lo, s25
	s_cbranch_vccz .LBB6_285
; %bb.283:
	v_cmp_eq_u16_e32 vcc_lo, 11, v8
	s_mov_b32 s9, -1
	s_cbranch_vccz .LBB6_285
; %bb.284:
	s_mov_b32 s23, -1
	s_mov_b32 s9, 0
	global_store_b8 v[6:7], v12, off
.LBB6_285:
	s_branch .LBB6_220
.LBB6_286:
	v_cmp_gt_i16_e32 vcc_lo, 5, v8
	s_mov_b32 s23, -1
	s_cbranch_vccnz .LBB6_307
; %bb.287:
	v_cmp_gt_i16_e32 vcc_lo, 8, v8
	s_cbranch_vccnz .LBB6_297
; %bb.288:
	v_cmp_gt_i16_e32 vcc_lo, 9, v8
	s_cbranch_vccnz .LBB6_294
; %bb.289:
	v_cmp_lt_i16_e32 vcc_lo, 9, v8
	s_cbranch_vccz .LBB6_291
; %bb.290:
	v_mov_b32_e32 v2, 0
	s_mov_b32 s23, 0
	s_delay_alu instid0(VALU_DEP_1)
	v_mov_b32_e32 v3, v2
	global_store_b128 v[6:7], v[0:3], off
.LBB6_291:
	s_and_not1_b32 vcc_lo, exec_lo, s23
	s_cbranch_vccnz .LBB6_293
; %bb.292:
	v_mov_b32_e32 v5, 0
	global_store_b64 v[6:7], v[4:5], off
.LBB6_293:
	s_mov_b32 s23, 0
.LBB6_294:
	s_delay_alu instid0(SALU_CYCLE_1)
	s_and_not1_b32 vcc_lo, exec_lo, s23
	s_cbranch_vccnz .LBB6_296
; %bb.295:
	global_store_b32 v[6:7], v11, off
.LBB6_296:
	s_mov_b32 s23, 0
.LBB6_297:
	s_delay_alu instid0(SALU_CYCLE_1)
	s_and_not1_b32 vcc_lo, exec_lo, s23
	s_cbranch_vccnz .LBB6_306
; %bb.298:
	v_cmp_gt_i16_e32 vcc_lo, 6, v8
	s_mov_b32 s23, -1
	s_cbranch_vccnz .LBB6_304
; %bb.299:
	v_cmp_lt_i16_e32 vcc_lo, 6, v8
	s_cbranch_vccz .LBB6_301
; %bb.300:
	s_mov_b32 s23, 0
	global_store_b64 v[6:7], v[0:1], off
.LBB6_301:
	s_and_not1_b32 vcc_lo, exec_lo, s23
	s_cbranch_vccnz .LBB6_303
; %bb.302:
	global_store_b32 v[6:7], v4, off
.LBB6_303:
	s_mov_b32 s23, 0
.LBB6_304:
	s_delay_alu instid0(SALU_CYCLE_1)
	s_and_not1_b32 vcc_lo, exec_lo, s23
	s_cbranch_vccnz .LBB6_306
; %bb.305:
	global_store_b16 v[6:7], v10, off
.LBB6_306:
	s_mov_b32 s23, 0
.LBB6_307:
	s_delay_alu instid0(SALU_CYCLE_1)
	s_and_not1_b32 vcc_lo, exec_lo, s23
	s_cbranch_vccnz .LBB6_323
; %bb.308:
	v_cmp_gt_i16_e32 vcc_lo, 2, v8
	s_mov_b32 s23, -1
	s_cbranch_vccnz .LBB6_318
; %bb.309:
	v_cmp_gt_i16_e32 vcc_lo, 3, v8
	s_cbranch_vccnz .LBB6_315
; %bb.310:
	v_cmp_lt_i16_e32 vcc_lo, 3, v8
	s_cbranch_vccz .LBB6_312
; %bb.311:
	v_dual_mov_b32 v2, s10 :: v_dual_mov_b32 v3, s11
	s_mov_b32 s23, 0
	global_store_b64 v[6:7], v[2:3], off
.LBB6_312:
	s_and_not1_b32 vcc_lo, exec_lo, s23
	s_cbranch_vccnz .LBB6_314
; %bb.313:
	v_mov_b32_e32 v2, s10
	global_store_b32 v[6:7], v2, off
.LBB6_314:
	s_mov_b32 s23, 0
.LBB6_315:
	s_delay_alu instid0(SALU_CYCLE_1)
	s_and_not1_b32 vcc_lo, exec_lo, s23
	s_cbranch_vccnz .LBB6_317
; %bb.316:
	global_store_b16 v[6:7], v9, off
.LBB6_317:
	s_mov_b32 s23, 0
.LBB6_318:
	s_delay_alu instid0(SALU_CYCLE_1)
	s_and_not1_b32 vcc_lo, exec_lo, s23
	s_cbranch_vccnz .LBB6_323
; %bb.319:
	v_cmp_lt_i16_e32 vcc_lo, 0, v8
	s_mov_b32 s23, -1
	s_cbranch_vccz .LBB6_321
; %bb.320:
	v_mov_b32_e32 v2, s19
	s_mov_b32 s23, 0
	global_store_b8 v[6:7], v2, off
.LBB6_321:
	s_and_not1_b32 vcc_lo, exec_lo, s23
	s_cbranch_vccnz .LBB6_323
; %bb.322:
	v_mov_b32_e32 v2, s19
	global_store_b8 v[6:7], v2, off
.LBB6_323:
	s_branch .LBB6_221
.LBB6_324:
	s_mov_b32 s25, 0
                                        ; implicit-def: $vgpr24
.LBB6_325:
	s_and_not1_b32 s23, s21, exec_lo
	s_and_b32 s9, s9, exec_lo
	s_delay_alu instid0(SALU_CYCLE_1)
	s_or_b32 s23, s23, s9
	s_or_not1_b32 s9, s25, exec_lo
.LBB6_326:
	s_or_b32 exec_lo, exec_lo, s24
	s_mov_b32 s25, 0
	s_mov_b32 s27, 0
                                        ; implicit-def: $vgpr6_vgpr7
	s_and_saveexec_b32 s24, s9
	s_cbranch_execz .LBB6_790
; %bb.327:
	s_mov_b32 s28, -1
	s_mov_b32 s26, s23
	s_mov_b32 s25, exec_lo
	v_cmpx_gt_i32_e64 s20, v24
	s_cbranch_execz .LBB6_558
; %bb.328:
	v_mul_lo_u32 v2, v24, s18
	v_cmp_gt_i16_e32 vcc_lo, 11, v8
	s_delay_alu instid0(VALU_DEP_2) | instskip(SKIP_1) | instid1(VALU_DEP_1)
	v_ashrrev_i32_e32 v3, 31, v2
	v_add_co_u32 v6, s9, s16, v2
	v_add_co_ci_u32_e64 v7, s9, s17, v3, s9
	s_cbranch_vccnz .LBB6_335
; %bb.329:
	v_cmp_lt_i16_e32 vcc_lo, 25, v8
	s_cbranch_vccz .LBB6_336
; %bb.330:
	v_cmp_lt_i16_e32 vcc_lo, 28, v8
	s_cbranch_vccz .LBB6_337
	;; [unrolled: 3-line block ×4, first 2 shown]
; %bb.333:
	v_cmp_eq_u16_e32 vcc_lo, 46, v8
	s_mov_b32 s9, -1
	s_mov_b32 s26, 0
	s_cbranch_vccz .LBB6_470
; %bb.334:
	s_mov_b32 s26, -1
	s_mov_b32 s9, 0
	global_store_b32 v[6:7], v13, off
	s_branch .LBB6_470
.LBB6_335:
	s_mov_b32 s27, -1
	s_mov_b32 s26, 0
	s_mov_b32 s9, s23
	s_branch .LBB6_515
.LBB6_336:
	s_mov_b32 s27, -1
	s_mov_b32 s26, 0
	s_mov_b32 s9, s23
	s_branch .LBB6_492
.LBB6_337:
	s_mov_b32 s27, -1
	s_mov_b32 s26, 0
	s_mov_b32 s9, s23
	s_branch .LBB6_478
.LBB6_338:
	s_mov_b32 s27, -1
	s_mov_b32 s26, 0
	s_mov_b32 s9, s23
	s_branch .LBB6_474
.LBB6_339:
	s_mov_b32 s4, -1
	s_mov_b32 s3, 0
                                        ; implicit-def: $sgpr5
.LBB6_340:
	v_mov_b32_e32 v4, s5
	s_and_not1_b32 vcc_lo, exec_lo, s4
                                        ; implicit-def: $sgpr4
	s_cbranch_vccnz .LBB6_342
; %bb.341:
	v_add_f32_e32 v3, 0x42800000, v3
	s_mov_b32 s4, 0
	s_delay_alu instid0(VALU_DEP_1) | instskip(NEXT) | instid1(VALU_DEP_1)
	v_and_b32_e32 v4, 0xff, v3
	v_cmp_ne_u32_e64 s3, 0, v4
.LBB6_342:
	v_mov_b32_e32 v5, s4
	s_delay_alu instid0(VALU_DEP_2)
	s_and_not1_b32 vcc_lo, exec_lo, s3
	s_cbranch_vccnz .LBB6_344
; %bb.343:
	v_mov_b32_e32 v5, v4
.LBB6_344:
	s_mov_b32 s3, 0
	global_store_b8 v[0:1], v5, off
.LBB6_345:
	s_and_b32 vcc_lo, exec_lo, s3
	s_cbranch_vccz .LBB6_357
; %bb.346:
	v_cvt_f32_ubyte0_e32 v3, s19
	s_delay_alu instid0(VALU_DEP_1)
	v_cmp_gt_u32_e32 vcc_lo, 0x43f00000, v3
	v_readfirstlane_b32 s3, v3
	s_cbranch_vccz .LBB6_349
; %bb.347:
	s_delay_alu instid0(VALU_DEP_1)
	s_cmp_gt_u32 s3, 0x3c7fffff
	s_cbranch_scc0 .LBB6_350
; %bb.348:
	s_bfe_u32 s4, s3, 0x10014
	s_delay_alu instid0(SALU_CYCLE_1) | instskip(NEXT) | instid1(SALU_CYCLE_1)
	s_add_i32 s4, s3, s4
	s_add_i32 s4, s4, 0x407ffff
	s_delay_alu instid0(SALU_CYCLE_1)
	s_and_b32 s5, s4, 0xff00000
	s_lshr_b32 s4, s4, 20
	s_cmp_lg_u32 s5, 0x7f00000
	s_cselect_b32 s5, s4, 0x7e
	s_mov_b32 s4, 0
	s_branch .LBB6_351
.LBB6_349:
	s_mov_b32 s4, -1
                                        ; implicit-def: $vgpr4
	s_branch .LBB6_354
.LBB6_350:
	s_mov_b32 s4, -1
                                        ; implicit-def: $sgpr5
.LBB6_351:
	v_mov_b32_e32 v4, s5
	s_and_not1_b32 vcc_lo, exec_lo, s4
	s_cbranch_vccnz .LBB6_353
; %bb.352:
	v_add_f32_e32 v4, 0x46800000, v3
.LBB6_353:
	s_mov_b32 s4, 0
.LBB6_354:
	s_delay_alu instid0(SALU_CYCLE_1)
	s_and_not1_b32 vcc_lo, exec_lo, s4
	s_cbranch_vccnz .LBB6_356
; %bb.355:
	s_cmp_gt_u32 s3, 0x7f800000
	s_movk_i32 s3, 0x7f
	s_delay_alu instid0(SALU_CYCLE_1) | instskip(NEXT) | instid1(SALU_CYCLE_1)
	s_cselect_b32 s3, s3, 0x7e
	v_mov_b32_e32 v4, s3
.LBB6_356:
	global_store_b8 v[0:1], v4, off
.LBB6_357:
	s_mov_b32 s3, 0
.LBB6_358:
	s_delay_alu instid0(SALU_CYCLE_1)
	s_and_not1_b32 vcc_lo, exec_lo, s3
	s_cbranch_vccnz .LBB6_370
; %bb.359:
	v_cvt_f32_ubyte0_e32 v3, s19
	s_delay_alu instid0(VALU_DEP_1)
	v_cmp_gt_u32_e32 vcc_lo, 0x47800000, v3
	v_readfirstlane_b32 s3, v3
	s_cbranch_vccz .LBB6_362
; %bb.360:
	s_delay_alu instid0(VALU_DEP_1)
	s_cmp_gt_u32 s3, 0x387fffff
	s_cbranch_scc0 .LBB6_363
; %bb.361:
	s_bfe_u32 s4, s3, 0x10015
	s_delay_alu instid0(SALU_CYCLE_1) | instskip(NEXT) | instid1(SALU_CYCLE_1)
	s_add_i32 s4, s3, s4
	s_add_i32 s4, s4, 0x80fffff
	s_delay_alu instid0(SALU_CYCLE_1)
	s_lshr_b32 s5, s4, 21
	s_mov_b32 s4, 0
	s_branch .LBB6_364
.LBB6_362:
	s_mov_b32 s4, -1
                                        ; implicit-def: $vgpr4
	s_branch .LBB6_367
.LBB6_363:
	s_mov_b32 s4, -1
                                        ; implicit-def: $sgpr5
.LBB6_364:
	v_mov_b32_e32 v4, s5
	s_and_not1_b32 vcc_lo, exec_lo, s4
	s_cbranch_vccnz .LBB6_366
; %bb.365:
	v_add_f32_e32 v4, 0x43000000, v3
.LBB6_366:
	s_mov_b32 s4, 0
.LBB6_367:
	s_delay_alu instid0(SALU_CYCLE_1)
	s_and_not1_b32 vcc_lo, exec_lo, s4
	s_cbranch_vccnz .LBB6_369
; %bb.368:
	s_cmp_gt_u32 s3, 0x7f800000
	s_movk_i32 s3, 0x7f
	s_delay_alu instid0(SALU_CYCLE_1) | instskip(NEXT) | instid1(SALU_CYCLE_1)
	s_cselect_b32 s3, s3, 0x7c
	v_mov_b32_e32 v4, s3
.LBB6_369:
	global_store_b8 v[0:1], v4, off
.LBB6_370:
	s_mov_b32 s3, 0
	s_mov_b32 s5, -1
.LBB6_371:
	s_and_not1_b32 vcc_lo, exec_lo, s3
	s_mov_b32 s4, 0
	s_cbranch_vccnz .LBB6_378
; %bb.372:
	v_cmp_lt_i16_e32 vcc_lo, 14, v8
	s_mov_b32 s3, -1
	s_cbranch_vccz .LBB6_376
; %bb.373:
	v_cmp_eq_u16_e32 vcc_lo, 15, v8
	s_mov_b32 s0, -1
	s_cbranch_vccz .LBB6_375
; %bb.374:
	v_cvt_f32_ubyte0_e32 v3, s19
	s_mov_b32 s0, 0
	s_mov_b32 s5, -1
	s_delay_alu instid0(VALU_DEP_1) | instskip(NEXT) | instid1(VALU_DEP_1)
	v_bfe_u32 v4, v3, 16, 1
	v_add_nc_u32_e32 v3, v3, v4
	s_delay_alu instid0(VALU_DEP_1)
	v_add_nc_u32_e32 v3, 0x7fff, v3
	global_store_d16_hi_b16 v[0:1], v3, off
.LBB6_375:
	s_mov_b32 s3, 0
.LBB6_376:
	s_delay_alu instid0(SALU_CYCLE_1)
	s_and_b32 vcc_lo, exec_lo, s3
	s_cbranch_vccz .LBB6_378
; %bb.377:
	v_cmp_ne_u16_e64 s0, 11, v8
	s_mov_b32 s4, -1
.LBB6_378:
	s_delay_alu instid0(VALU_DEP_1)
	s_and_b32 vcc_lo, exec_lo, s0
	s_mov_b32 s3, s1
	s_cbranch_vccnz .LBB6_450
; %bb.379:
	s_and_not1_b32 vcc_lo, exec_lo, s4
	s_cbranch_vccnz .LBB6_381
.LBB6_380:
	v_and_b32_e64 v3, 0xff, s19
	s_mov_b32 s5, -1
	s_delay_alu instid0(VALU_DEP_1)
	v_cmp_ne_u16_e32 vcc_lo, 0, v3
	v_cndmask_b32_e64 v3, 0, 1, vcc_lo
	global_store_b8 v[0:1], v3, off
.LBB6_381:
.LBB6_382:
	s_and_not1_b32 vcc_lo, exec_lo, s5
	s_cbranch_vccnz .LBB6_683
.LBB6_383:
	s_lshl_b32 s4, s18, 7
	v_cmp_gt_i16_e32 vcc_lo, 11, v8
	v_add_nc_u32_e32 v2, s4, v2
	s_delay_alu instid0(VALU_DEP_1) | instskip(SKIP_1) | instid1(VALU_DEP_1)
	v_ashrrev_i32_e32 v1, 31, v2
	v_add_co_u32 v0, s0, s16, v2
	v_add_co_ci_u32_e64 v1, s0, s17, v1, s0
	s_cbranch_vccnz .LBB6_411
; %bb.384:
	v_cmp_lt_i16_e32 vcc_lo, 25, v8
	s_mov_b32 s7, -1
	s_mov_b32 s5, 0
	s_mov_b32 s6, 0
	;; [unrolled: 1-line block ×3, first 2 shown]
	s_cbranch_vccz .LBB6_462
; %bb.385:
	v_cmp_lt_i16_e32 vcc_lo, 28, v8
	s_cbranch_vccz .LBB6_400
; %bb.386:
	v_cmp_lt_i16_e32 vcc_lo, 43, v8
	;; [unrolled: 3-line block ×3, first 2 shown]
	s_cbranch_vccz .LBB6_390
; %bb.388:
	v_cmp_eq_u16_e32 vcc_lo, 46, v8
	s_mov_b32 s0, -1
	s_mov_b32 s7, 0
	s_cbranch_vccz .LBB6_390
; %bb.389:
	v_cvt_f32_ubyte0_e32 v3, s19
	s_mov_b32 s0, 0
	s_mov_b32 s6, -1
	s_delay_alu instid0(VALU_DEP_1) | instskip(NEXT) | instid1(VALU_DEP_1)
	v_bfe_u32 v4, v3, 16, 1
	v_add_nc_u32_e32 v3, v3, v4
	s_delay_alu instid0(VALU_DEP_1) | instskip(NEXT) | instid1(VALU_DEP_1)
	v_add_nc_u32_e32 v3, 0x7fff, v3
	v_lshrrev_b32_e32 v3, 16, v3
	global_store_b32 v[0:1], v3, off
.LBB6_390:
	s_and_b32 vcc_lo, exec_lo, s7
	s_cbranch_vccz .LBB6_395
; %bb.391:
	v_cmp_eq_u16_e32 vcc_lo, 44, v8
	s_mov_b32 s0, -1
	s_cbranch_vccz .LBB6_395
; %bb.392:
	v_cvt_f32_ubyte0_e32 v3, s19
	s_delay_alu instid0(VALU_DEP_1) | instskip(SKIP_1) | instid1(VALU_DEP_2)
	v_readfirstlane_b32 s6, v3
	v_mov_b32_e32 v3, 0xff
	s_lshr_b32 s0, s6, 23
	s_delay_alu instid0(SALU_CYCLE_1)
	s_cmpk_eq_i32 s0, 0xff
	s_cbranch_scc1 .LBB6_394
; %bb.393:
	s_bitcmp1_b32 s6, 22
	s_cselect_b32 s7, -1, 0
	s_and_b32 s6, s6, 0x3fffff
	s_delay_alu instid0(SALU_CYCLE_1) | instskip(NEXT) | instid1(SALU_CYCLE_1)
	s_or_b32 s6, s0, s6
	s_cmp_lg_u32 s6, 0
	s_cselect_b32 s6, -1, 0
	s_delay_alu instid0(SALU_CYCLE_1) | instskip(NEXT) | instid1(SALU_CYCLE_1)
	s_and_b32 s6, s7, s6
	v_cndmask_b32_e64 v3, 0, 1, s6
	s_delay_alu instid0(VALU_DEP_1)
	v_add_nc_u32_e32 v3, s0, v3
.LBB6_394:
	s_mov_b32 s0, 0
	s_mov_b32 s6, -1
	global_store_b8 v[0:1], v3, off
.LBB6_395:
	s_mov_b32 s7, 0
.LBB6_396:
	s_delay_alu instid0(SALU_CYCLE_1)
	s_and_b32 vcc_lo, exec_lo, s7
	s_cbranch_vccz .LBB6_399
; %bb.397:
	v_cmp_eq_u16_e32 vcc_lo, 29, v8
	s_mov_b32 s0, -1
	s_cbranch_vccz .LBB6_399
; %bb.398:
	s_and_b32 s0, s19, 0xff
	s_mov_b32 s6, -1
	v_dual_mov_b32 v3, s0 :: v_dual_mov_b32 v4, 0
	s_mov_b32 s0, 0
	global_store_b64 v[0:1], v[3:4], off
.LBB6_399:
	s_mov_b32 s7, 0
.LBB6_400:
	s_delay_alu instid0(SALU_CYCLE_1)
	s_and_b32 vcc_lo, exec_lo, s7
	s_cbranch_vccz .LBB6_461
; %bb.401:
	v_cmp_gt_i16_e32 vcc_lo, 27, v8
	s_mov_b32 s6, -1
	s_cbranch_vccnz .LBB6_407
; %bb.402:
	v_cmp_lt_i16_e32 vcc_lo, 27, v8
	s_cbranch_vccz .LBB6_404
; %bb.403:
	s_and_b32 s6, s19, 0xff
	s_delay_alu instid0(SALU_CYCLE_1)
	v_mov_b32_e32 v3, s6
	s_mov_b32 s6, 0
	global_store_b32 v[0:1], v3, off
.LBB6_404:
	s_and_not1_b32 vcc_lo, exec_lo, s6
	s_cbranch_vccnz .LBB6_406
; %bb.405:
	v_and_b32_e64 v3, 0xff, s19
	global_store_b16 v[0:1], v3, off
.LBB6_406:
	s_mov_b32 s6, 0
.LBB6_407:
	s_delay_alu instid0(SALU_CYCLE_1)
	s_and_not1_b32 vcc_lo, exec_lo, s6
	s_cbranch_vccnz .LBB6_460
; %bb.408:
	v_cvt_f32_ubyte0_e32 v3, s19
	v_mov_b32_e32 v5, 0x80
	s_delay_alu instid0(VALU_DEP_2)
	v_cmp_lt_u32_e32 vcc_lo, 0x437fffff, v3
	v_readfirstlane_b32 s6, v3
	s_cbranch_vccnz .LBB6_459
; %bb.409:
	s_delay_alu instid0(VALU_DEP_1)
	s_cmp_gt_u32 s6, 0x3bffffff
	s_cbranch_scc0 .LBB6_454
; %bb.410:
	s_bfe_u32 s7, s6, 0x10014
	s_delay_alu instid0(SALU_CYCLE_1) | instskip(SKIP_2) | instid1(SALU_CYCLE_1)
	s_add_i32 s6, s6, s7
	s_mov_b32 s7, 0
	s_add_i32 s6, s6, 0x487ffff
	s_lshr_b32 s8, s6, 20
	s_mov_b32 s6, -1
	s_branch .LBB6_455
.LBB6_411:
	s_mov_b32 s6, 0
	s_cbranch_execz .LBB6_615
; %bb.412:
	v_cmp_gt_i16_e32 vcc_lo, 5, v8
	s_mov_b32 s0, -1
	s_cbranch_vccnz .LBB6_433
; %bb.413:
	v_cmp_gt_i16_e32 vcc_lo, 8, v8
	s_cbranch_vccnz .LBB6_423
; %bb.414:
	v_cmp_gt_i16_e32 vcc_lo, 9, v8
	s_cbranch_vccnz .LBB6_420
; %bb.415:
	v_cmp_lt_i16_e32 vcc_lo, 9, v8
	s_cbranch_vccz .LBB6_417
; %bb.416:
	v_and_b32_e64 v3, 0xff, s19
	v_mov_b32_e32 v5, 0
	s_mov_b32 s0, 0
	s_delay_alu instid0(VALU_DEP_1) | instskip(NEXT) | instid1(VALU_DEP_1)
	v_dual_mov_b32 v6, v5 :: v_dual_and_b32 v3, 0xffff, v3
	v_cvt_f64_u32_e32 v[3:4], v3
	global_store_b128 v[0:1], v[3:6], off
.LBB6_417:
	s_and_not1_b32 vcc_lo, exec_lo, s0
	s_cbranch_vccnz .LBB6_419
; %bb.418:
	v_cvt_f32_ubyte0_e32 v3, s19
	v_mov_b32_e32 v4, 0
	global_store_b64 v[0:1], v[3:4], off
.LBB6_419:
	s_mov_b32 s0, 0
.LBB6_420:
	s_delay_alu instid0(SALU_CYCLE_1)
	s_and_not1_b32 vcc_lo, exec_lo, s0
	s_cbranch_vccnz .LBB6_422
; %bb.421:
	v_and_b32_e64 v3, 0xff, s19
	s_delay_alu instid0(VALU_DEP_1) | instskip(NEXT) | instid1(VALU_DEP_1)
	v_cvt_f16_u16_e32 v3, v3
	v_and_b32_e32 v3, 0xffff, v3
	global_store_b32 v[0:1], v3, off
.LBB6_422:
	s_mov_b32 s0, 0
.LBB6_423:
	s_delay_alu instid0(SALU_CYCLE_1)
	s_and_not1_b32 vcc_lo, exec_lo, s0
	s_cbranch_vccnz .LBB6_432
; %bb.424:
	v_cmp_gt_i16_e32 vcc_lo, 6, v8
	s_mov_b32 s0, -1
	s_cbranch_vccnz .LBB6_430
; %bb.425:
	v_cmp_lt_i16_e32 vcc_lo, 6, v8
	s_cbranch_vccz .LBB6_427
; %bb.426:
	v_and_b32_e64 v3, 0xff, s19
	s_mov_b32 s0, 0
	s_delay_alu instid0(VALU_DEP_1) | instskip(NEXT) | instid1(VALU_DEP_1)
	v_and_b32_e32 v3, 0xffff, v3
	v_cvt_f64_u32_e32 v[3:4], v3
	global_store_b64 v[0:1], v[3:4], off
.LBB6_427:
	s_and_not1_b32 vcc_lo, exec_lo, s0
	s_cbranch_vccnz .LBB6_429
; %bb.428:
	v_cvt_f32_ubyte0_e32 v3, s19
	global_store_b32 v[0:1], v3, off
.LBB6_429:
	s_mov_b32 s0, 0
.LBB6_430:
	s_delay_alu instid0(SALU_CYCLE_1)
	s_and_not1_b32 vcc_lo, exec_lo, s0
	s_cbranch_vccnz .LBB6_432
; %bb.431:
	v_and_b32_e64 v3, 0xff, s19
	s_delay_alu instid0(VALU_DEP_1)
	v_cvt_f16_u16_e32 v3, v3
	global_store_b16 v[0:1], v3, off
.LBB6_432:
	s_mov_b32 s0, 0
.LBB6_433:
	s_delay_alu instid0(SALU_CYCLE_1)
	s_and_not1_b32 vcc_lo, exec_lo, s0
	s_cbranch_vccnz .LBB6_449
; %bb.434:
	v_cmp_gt_i16_e32 vcc_lo, 2, v8
	s_mov_b32 s0, -1
	s_cbranch_vccnz .LBB6_444
; %bb.435:
	v_cmp_gt_i16_e32 vcc_lo, 3, v8
	s_cbranch_vccnz .LBB6_441
; %bb.436:
	v_cmp_lt_i16_e32 vcc_lo, 3, v8
	s_cbranch_vccz .LBB6_438
; %bb.437:
	s_and_b32 s0, s19, 0xff
	s_delay_alu instid0(SALU_CYCLE_1)
	v_dual_mov_b32 v4, 0 :: v_dual_mov_b32 v3, s0
	s_mov_b32 s0, 0
	global_store_b64 v[0:1], v[3:4], off
.LBB6_438:
	s_and_not1_b32 vcc_lo, exec_lo, s0
	s_cbranch_vccnz .LBB6_440
; %bb.439:
	s_and_b32 s0, s19, 0xff
	s_delay_alu instid0(SALU_CYCLE_1)
	v_mov_b32_e32 v3, s0
	global_store_b32 v[0:1], v3, off
.LBB6_440:
	s_mov_b32 s0, 0
.LBB6_441:
	s_delay_alu instid0(SALU_CYCLE_1)
	s_and_not1_b32 vcc_lo, exec_lo, s0
	s_cbranch_vccnz .LBB6_443
; %bb.442:
	v_and_b32_e64 v3, 0xff, s19
	global_store_b16 v[0:1], v3, off
.LBB6_443:
	s_mov_b32 s0, 0
.LBB6_444:
	s_delay_alu instid0(SALU_CYCLE_1)
	s_and_not1_b32 vcc_lo, exec_lo, s0
	s_cbranch_vccnz .LBB6_449
; %bb.445:
	v_cmp_lt_i16_e32 vcc_lo, 0, v8
	s_mov_b32 s0, -1
	s_cbranch_vccz .LBB6_447
; %bb.446:
	v_mov_b32_e32 v3, s19
	s_mov_b32 s0, 0
	global_store_b8 v[0:1], v3, off
.LBB6_447:
	s_and_not1_b32 vcc_lo, exec_lo, s0
	s_cbranch_vccnz .LBB6_449
; %bb.448:
	v_mov_b32_e32 v3, s19
	global_store_b8 v[0:1], v3, off
.LBB6_449:
	s_branch .LBB6_616
.LBB6_450:
	s_cbranch_execnz .LBB6_452
; %bb.451:
	s_or_b32 s3, s1, exec_lo
	s_cbranch_execz .LBB6_380
	s_branch .LBB6_381
.LBB6_452:
	s_trap 2
	s_sendmsg_rtn_b32 s0, sendmsg(MSG_RTN_GET_DOORBELL)
	s_mov_b32 ttmp2, m0
	s_waitcnt lgkmcnt(0)
	s_and_b32 s0, s0, 0x3ff
	s_delay_alu instid0(SALU_CYCLE_1) | instskip(NEXT) | instid1(SALU_CYCLE_1)
	s_bitset1_b32 s0, 10
	s_mov_b32 m0, s0
	s_sendmsg sendmsg(MSG_INTERRUPT)
	s_mov_b32 m0, ttmp2
.LBB6_453:                              ; =>This Inner Loop Header: Depth=1
	s_sethalt 5
	s_branch .LBB6_453
.LBB6_454:
	s_mov_b32 s7, -1
	s_mov_b32 s6, 0
                                        ; implicit-def: $sgpr8
.LBB6_455:
	v_mov_b32_e32 v4, s8
	s_and_not1_b32 vcc_lo, exec_lo, s7
                                        ; implicit-def: $sgpr7
	s_cbranch_vccnz .LBB6_457
; %bb.456:
	v_add_f32_e32 v3, 0x46000000, v3
	s_mov_b32 s7, 0
	s_delay_alu instid0(VALU_DEP_1) | instskip(NEXT) | instid1(VALU_DEP_1)
	v_and_b32_e32 v4, 0xff, v3
	v_cmp_ne_u32_e64 s6, 0, v4
.LBB6_457:
	v_mov_b32_e32 v5, s7
	s_delay_alu instid0(VALU_DEP_2)
	s_and_not1_b32 vcc_lo, exec_lo, s6
	s_cbranch_vccnz .LBB6_459
; %bb.458:
	v_mov_b32_e32 v5, v4
.LBB6_459:
	global_store_b8 v[0:1], v5, off
.LBB6_460:
	s_mov_b32 s6, -1
.LBB6_461:
	s_mov_b32 s7, 0
.LBB6_462:
	s_delay_alu instid0(SALU_CYCLE_1)
	s_and_b32 vcc_lo, exec_lo, s7
	s_cbranch_vccz .LBB6_611
; %bb.463:
	v_cmp_lt_i16_e32 vcc_lo, 22, v8
	s_mov_b32 s5, -1
	s_cbranch_vccz .LBB6_604
; %bb.464:
	v_cmp_gt_i16_e32 vcc_lo, 24, v8
	s_cbranch_vccnz .LBB6_591
; %bb.465:
	v_cmp_lt_i16_e32 vcc_lo, 24, v8
	s_cbranch_vccz .LBB6_578
; %bb.466:
	v_cvt_f32_ubyte0_e32 v3, s19
	v_mov_b32_e32 v5, 0x80
	s_delay_alu instid0(VALU_DEP_2)
	v_cmp_lt_u32_e32 vcc_lo, 0x477fffff, v3
	v_readfirstlane_b32 s5, v3
	s_cbranch_vccnz .LBB6_577
; %bb.467:
	s_delay_alu instid0(VALU_DEP_1)
	s_cmp_gt_u32 s5, 0x37ffffff
	s_cbranch_scc0 .LBB6_572
; %bb.468:
	s_bfe_u32 s6, s5, 0x10015
	s_delay_alu instid0(SALU_CYCLE_1) | instskip(SKIP_2) | instid1(SALU_CYCLE_1)
	s_add_i32 s5, s5, s6
	s_mov_b32 s6, 0
	s_add_i32 s5, s5, 0x88fffff
	s_lshr_b32 s7, s5, 21
	s_mov_b32 s5, -1
	s_branch .LBB6_573
.LBB6_469:
	s_mov_b32 s27, -1
	s_mov_b32 s26, 0
	s_mov_b32 s9, s23
.LBB6_470:
	s_and_b32 vcc_lo, exec_lo, s27
	s_cbranch_vccz .LBB6_473
; %bb.471:
	v_cmp_eq_u16_e32 vcc_lo, 44, v8
	s_mov_b32 s9, -1
	s_cbranch_vccz .LBB6_473
; %bb.472:
	v_cndmask_b32_e64 v2, v25, 0xff, s8
	s_mov_b32 s26, -1
	s_mov_b32 s9, 0
	global_store_b8 v[6:7], v2, off
.LBB6_473:
	s_mov_b32 s27, 0
.LBB6_474:
	s_delay_alu instid0(SALU_CYCLE_1)
	s_and_b32 vcc_lo, exec_lo, s27
	s_cbranch_vccz .LBB6_477
; %bb.475:
	v_cmp_eq_u16_e32 vcc_lo, 29, v8
	s_mov_b32 s9, -1
	s_cbranch_vccz .LBB6_477
; %bb.476:
	v_dual_mov_b32 v2, s10 :: v_dual_mov_b32 v3, s11
	s_mov_b32 s26, -1
	s_mov_b32 s9, 0
	s_mov_b32 s27, 0
	global_store_b64 v[6:7], v[2:3], off
	s_branch .LBB6_478
.LBB6_477:
	s_mov_b32 s27, 0
.LBB6_478:
	s_delay_alu instid0(SALU_CYCLE_1)
	s_and_b32 vcc_lo, exec_lo, s27
	s_cbranch_vccz .LBB6_491
; %bb.479:
	v_cmp_gt_i16_e32 vcc_lo, 27, v8
	s_mov_b32 s26, -1
	s_cbranch_vccnz .LBB6_485
; %bb.480:
	v_cmp_lt_i16_e32 vcc_lo, 27, v8
	s_cbranch_vccz .LBB6_482
; %bb.481:
	v_mov_b32_e32 v2, s10
	s_mov_b32 s26, 0
	global_store_b32 v[6:7], v2, off
.LBB6_482:
	s_and_not1_b32 vcc_lo, exec_lo, s26
	s_cbranch_vccnz .LBB6_484
; %bb.483:
	global_store_b16 v[6:7], v9, off
.LBB6_484:
	s_mov_b32 s26, 0
.LBB6_485:
	s_delay_alu instid0(SALU_CYCLE_1)
	s_and_not1_b32 vcc_lo, exec_lo, s26
	s_cbranch_vccnz .LBB6_490
; %bb.486:
	v_mov_b32_e32 v2, 0x80
	s_and_not1_b32 vcc_lo, exec_lo, s7
	s_cbranch_vccnz .LBB6_489
; %bb.487:
	v_mov_b32_e32 v2, 0
	s_or_b32 s26, s6, s15
	s_delay_alu instid0(SALU_CYCLE_1)
	s_and_not1_b32 vcc_lo, exec_lo, s26
	s_cbranch_vccnz .LBB6_489
; %bb.488:
	v_cndmask_b32_e64 v2, v22, v23, s6
.LBB6_489:
	global_store_b8 v[6:7], v2, off
.LBB6_490:
	s_mov_b32 s26, -1
.LBB6_491:
	s_mov_b32 s27, 0
.LBB6_492:
	s_delay_alu instid0(SALU_CYCLE_1)
	s_and_b32 vcc_lo, exec_lo, s27
	s_cbranch_vccz .LBB6_514
; %bb.493:
	v_cmp_lt_i16_e32 vcc_lo, 22, v8
	s_mov_b32 s27, -1
	s_cbranch_vccz .LBB6_506
; %bb.494:
	v_cmp_gt_i16_e32 vcc_lo, 24, v8
	s_mov_b32 s26, -1
	s_cbranch_vccnz .LBB6_503
; %bb.495:
	v_cmp_lt_i16_e32 vcc_lo, 24, v8
	s_cbranch_vccz .LBB6_500
; %bb.496:
	v_mov_b32_e32 v2, 0x80
	s_and_not1_b32 vcc_lo, exec_lo, s4
	s_cbranch_vccnz .LBB6_499
; %bb.497:
	v_mov_b32_e32 v2, 0
	s_or_b32 s26, s5, s14
	s_delay_alu instid0(SALU_CYCLE_1)
	s_and_not1_b32 vcc_lo, exec_lo, s26
	s_cbranch_vccnz .LBB6_499
; %bb.498:
	v_cndmask_b32_e64 v2, v15, v21, s5
.LBB6_499:
	s_mov_b32 s26, 0
	global_store_b8 v[6:7], v2, off
.LBB6_500:
	s_and_b32 vcc_lo, exec_lo, s26
	s_cbranch_vccz .LBB6_502
; %bb.501:
	v_cndmask_b32_e64 v2, v18, v19, s3
	s_delay_alu instid0(VALU_DEP_1)
	v_cndmask_b32_e64 v2, v2, v20, s2
	global_store_b8 v[6:7], v2, off
.LBB6_502:
	s_mov_b32 s26, 0
.LBB6_503:
	s_delay_alu instid0(SALU_CYCLE_1)
	s_and_not1_b32 vcc_lo, exec_lo, s26
	s_cbranch_vccnz .LBB6_505
; %bb.504:
	v_cndmask_b32_e64 v2, v14, v16, s1
	s_delay_alu instid0(VALU_DEP_1)
	v_cndmask_b32_e64 v2, v2, v17, s0
	global_store_b8 v[6:7], v2, off
.LBB6_505:
	s_mov_b32 s27, 0
	s_mov_b32 s26, -1
.LBB6_506:
	s_and_not1_b32 vcc_lo, exec_lo, s27
	s_cbranch_vccnz .LBB6_514
; %bb.507:
	v_cmp_lt_i16_e32 vcc_lo, 14, v8
	s_mov_b32 s27, -1
	s_cbranch_vccz .LBB6_511
; %bb.508:
	v_cmp_eq_u16_e32 vcc_lo, 15, v8
	s_mov_b32 s9, -1
	s_cbranch_vccz .LBB6_510
; %bb.509:
	s_mov_b32 s26, -1
	s_mov_b32 s9, 0
	global_store_b16 v[6:7], v13, off
.LBB6_510:
	s_mov_b32 s27, 0
.LBB6_511:
	s_delay_alu instid0(SALU_CYCLE_1)
	s_and_b32 vcc_lo, exec_lo, s27
	s_cbranch_vccz .LBB6_514
; %bb.512:
	v_cmp_eq_u16_e32 vcc_lo, 11, v8
	s_mov_b32 s9, -1
	s_cbranch_vccz .LBB6_514
; %bb.513:
	s_mov_b32 s26, -1
	s_mov_b32 s9, 0
	global_store_b8 v[6:7], v12, off
.LBB6_514:
	s_mov_b32 s27, 0
.LBB6_515:
	s_delay_alu instid0(SALU_CYCLE_1)
	s_and_b32 vcc_lo, exec_lo, s27
	s_cbranch_vccz .LBB6_554
; %bb.516:
	v_cmp_gt_i16_e32 vcc_lo, 5, v8
	s_mov_b32 s26, -1
	s_cbranch_vccnz .LBB6_537
; %bb.517:
	v_cmp_gt_i16_e32 vcc_lo, 8, v8
	s_cbranch_vccnz .LBB6_527
; %bb.518:
	v_cmp_gt_i16_e32 vcc_lo, 9, v8
	s_cbranch_vccnz .LBB6_524
; %bb.519:
	v_cmp_lt_i16_e32 vcc_lo, 9, v8
	s_cbranch_vccz .LBB6_521
; %bb.520:
	v_mov_b32_e32 v2, 0
	s_mov_b32 s26, 0
	s_delay_alu instid0(VALU_DEP_1)
	v_mov_b32_e32 v3, v2
	global_store_b128 v[6:7], v[0:3], off
.LBB6_521:
	s_and_not1_b32 vcc_lo, exec_lo, s26
	s_cbranch_vccnz .LBB6_523
; %bb.522:
	v_mov_b32_e32 v5, 0
	global_store_b64 v[6:7], v[4:5], off
.LBB6_523:
	s_mov_b32 s26, 0
.LBB6_524:
	s_delay_alu instid0(SALU_CYCLE_1)
	s_and_not1_b32 vcc_lo, exec_lo, s26
	s_cbranch_vccnz .LBB6_526
; %bb.525:
	global_store_b32 v[6:7], v11, off
.LBB6_526:
	s_mov_b32 s26, 0
.LBB6_527:
	s_delay_alu instid0(SALU_CYCLE_1)
	s_and_not1_b32 vcc_lo, exec_lo, s26
	s_cbranch_vccnz .LBB6_536
; %bb.528:
	v_cmp_gt_i16_e32 vcc_lo, 6, v8
	s_mov_b32 s26, -1
	s_cbranch_vccnz .LBB6_534
; %bb.529:
	v_cmp_lt_i16_e32 vcc_lo, 6, v8
	s_cbranch_vccz .LBB6_531
; %bb.530:
	s_mov_b32 s26, 0
	global_store_b64 v[6:7], v[0:1], off
.LBB6_531:
	s_and_not1_b32 vcc_lo, exec_lo, s26
	s_cbranch_vccnz .LBB6_533
; %bb.532:
	global_store_b32 v[6:7], v4, off
.LBB6_533:
	s_mov_b32 s26, 0
.LBB6_534:
	s_delay_alu instid0(SALU_CYCLE_1)
	s_and_not1_b32 vcc_lo, exec_lo, s26
	s_cbranch_vccnz .LBB6_536
; %bb.535:
	global_store_b16 v[6:7], v10, off
.LBB6_536:
	s_mov_b32 s26, 0
.LBB6_537:
	s_delay_alu instid0(SALU_CYCLE_1)
	s_and_not1_b32 vcc_lo, exec_lo, s26
	s_cbranch_vccnz .LBB6_553
; %bb.538:
	v_cmp_gt_i16_e32 vcc_lo, 2, v8
	s_mov_b32 s26, -1
	s_cbranch_vccnz .LBB6_548
; %bb.539:
	v_cmp_gt_i16_e32 vcc_lo, 3, v8
	s_cbranch_vccnz .LBB6_545
; %bb.540:
	v_cmp_lt_i16_e32 vcc_lo, 3, v8
	s_cbranch_vccz .LBB6_542
; %bb.541:
	v_dual_mov_b32 v2, s10 :: v_dual_mov_b32 v3, s11
	s_mov_b32 s26, 0
	global_store_b64 v[6:7], v[2:3], off
.LBB6_542:
	s_and_not1_b32 vcc_lo, exec_lo, s26
	s_cbranch_vccnz .LBB6_544
; %bb.543:
	v_mov_b32_e32 v2, s10
	global_store_b32 v[6:7], v2, off
.LBB6_544:
	s_mov_b32 s26, 0
.LBB6_545:
	s_delay_alu instid0(SALU_CYCLE_1)
	s_and_not1_b32 vcc_lo, exec_lo, s26
	s_cbranch_vccnz .LBB6_547
; %bb.546:
	global_store_b16 v[6:7], v9, off
.LBB6_547:
	s_mov_b32 s26, 0
.LBB6_548:
	s_delay_alu instid0(SALU_CYCLE_1)
	s_and_not1_b32 vcc_lo, exec_lo, s26
	s_cbranch_vccnz .LBB6_553
; %bb.549:
	v_cmp_lt_i16_e32 vcc_lo, 0, v8
	s_mov_b32 s26, -1
	s_cbranch_vccz .LBB6_551
; %bb.550:
	v_mov_b32_e32 v2, s19
	s_mov_b32 s26, 0
	global_store_b8 v[6:7], v2, off
.LBB6_551:
	s_and_not1_b32 vcc_lo, exec_lo, s26
	s_cbranch_vccnz .LBB6_553
; %bb.552:
	v_mov_b32_e32 v2, s19
	global_store_b8 v[6:7], v2, off
.LBB6_553:
	s_mov_b32 s26, -1
.LBB6_554:
	s_delay_alu instid0(SALU_CYCLE_1)
	s_and_not1_b32 vcc_lo, exec_lo, s26
	s_cbranch_vccnz .LBB6_556
; %bb.555:
	v_add_nc_u32_e32 v24, 0x80, v24
	s_mov_b32 s27, -1
	s_branch .LBB6_557
.LBB6_556:
	s_mov_b32 s27, 0
                                        ; implicit-def: $vgpr24
.LBB6_557:
	s_and_not1_b32 s26, s23, exec_lo
	s_and_b32 s9, s9, exec_lo
	s_or_not1_b32 s28, s27, exec_lo
	s_or_b32 s26, s26, s9
.LBB6_558:
	s_or_b32 exec_lo, exec_lo, s25
	s_mov_b32 s9, 0
	s_mov_b32 s27, 0
                                        ; implicit-def: $vgpr6_vgpr7
	s_and_saveexec_b32 s25, s28
	s_cbranch_execz .LBB6_789
; %bb.559:
	v_cmp_gt_i32_e32 vcc_lo, s20, v24
	s_mov_b32 s28, s26
                                        ; implicit-def: $vgpr6_vgpr7
	s_and_saveexec_b32 s20, vcc_lo
	s_cbranch_execz .LBB6_788
; %bb.560:
	v_mul_lo_u32 v2, v24, s18
	v_cmp_gt_i16_e32 vcc_lo, 11, v8
	s_delay_alu instid0(VALU_DEP_2) | instskip(SKIP_1) | instid1(VALU_DEP_1)
	v_ashrrev_i32_e32 v3, 31, v2
	v_add_co_u32 v6, s9, s16, v2
	v_add_co_ci_u32_e64 v7, s9, s17, v3, s9
	s_cbranch_vccnz .LBB6_571
; %bb.561:
	v_cmp_lt_i16_e32 vcc_lo, 25, v8
	s_mov_b32 s27, -1
	s_mov_b32 s9, s26
	s_cbranch_vccz .LBB6_765
; %bb.562:
	v_cmp_lt_i16_e32 vcc_lo, 28, v8
	s_mov_b32 s9, s26
	s_cbranch_vccz .LBB6_752
; %bb.563:
	v_cmp_lt_i16_e32 vcc_lo, 43, v8
	;; [unrolled: 4-line block ×3, first 2 shown]
	s_mov_b32 s9, s26
	s_cbranch_vccz .LBB6_568
; %bb.565:
	v_cmp_eq_u16_e32 vcc_lo, 46, v8
	s_mov_b32 s9, -1
	s_cbranch_vccz .LBB6_567
; %bb.566:
	s_mov_b32 s9, 0
	global_store_b32 v[6:7], v13, off
.LBB6_567:
	s_mov_b32 s27, 0
.LBB6_568:
	s_delay_alu instid0(SALU_CYCLE_1)
	s_and_b32 vcc_lo, exec_lo, s27
	s_cbranch_vccz .LBB6_747
; %bb.569:
	v_cmp_eq_u16_e32 vcc_lo, 44, v8
	s_mov_b32 s9, -1
	s_cbranch_vccz .LBB6_747
; %bb.570:
	v_cndmask_b32_e64 v2, v25, 0xff, s8
	s_mov_b32 s9, 0
	s_mov_b32 s27, 0
	global_store_b8 v[6:7], v2, off
	s_branch .LBB6_748
.LBB6_571:
	s_mov_b32 s0, 0
	s_mov_b32 s6, -1
	s_mov_b32 s9, s26
	s_branch .LBB6_787
.LBB6_572:
	s_mov_b32 s6, -1
	s_mov_b32 s5, 0
                                        ; implicit-def: $sgpr7
.LBB6_573:
	v_mov_b32_e32 v4, s7
	s_and_not1_b32 vcc_lo, exec_lo, s6
                                        ; implicit-def: $sgpr6
	s_cbranch_vccnz .LBB6_575
; %bb.574:
	v_add_f32_e32 v3, 0x42800000, v3
	s_mov_b32 s6, 0
	s_delay_alu instid0(VALU_DEP_1) | instskip(NEXT) | instid1(VALU_DEP_1)
	v_and_b32_e32 v4, 0xff, v3
	v_cmp_ne_u32_e64 s5, 0, v4
.LBB6_575:
	v_mov_b32_e32 v5, s6
	s_delay_alu instid0(VALU_DEP_2)
	s_and_not1_b32 vcc_lo, exec_lo, s5
	s_cbranch_vccnz .LBB6_577
; %bb.576:
	v_mov_b32_e32 v5, v4
.LBB6_577:
	s_mov_b32 s5, 0
	global_store_b8 v[0:1], v5, off
.LBB6_578:
	s_and_b32 vcc_lo, exec_lo, s5
	s_cbranch_vccz .LBB6_590
; %bb.579:
	v_cvt_f32_ubyte0_e32 v3, s19
	s_delay_alu instid0(VALU_DEP_1)
	v_cmp_gt_u32_e32 vcc_lo, 0x43f00000, v3
	v_readfirstlane_b32 s5, v3
	s_cbranch_vccz .LBB6_582
; %bb.580:
	s_delay_alu instid0(VALU_DEP_1)
	s_cmp_gt_u32 s5, 0x3c7fffff
	s_cbranch_scc0 .LBB6_583
; %bb.581:
	s_bfe_u32 s6, s5, 0x10014
	s_delay_alu instid0(SALU_CYCLE_1) | instskip(NEXT) | instid1(SALU_CYCLE_1)
	s_add_i32 s6, s5, s6
	s_add_i32 s6, s6, 0x407ffff
	s_delay_alu instid0(SALU_CYCLE_1)
	s_and_b32 s7, s6, 0xff00000
	s_lshr_b32 s6, s6, 20
	s_cmp_lg_u32 s7, 0x7f00000
	s_cselect_b32 s7, s6, 0x7e
	s_mov_b32 s6, 0
	s_branch .LBB6_584
.LBB6_582:
	s_mov_b32 s6, -1
                                        ; implicit-def: $vgpr4
	s_branch .LBB6_587
.LBB6_583:
	s_mov_b32 s6, -1
                                        ; implicit-def: $sgpr7
.LBB6_584:
	v_mov_b32_e32 v4, s7
	s_and_not1_b32 vcc_lo, exec_lo, s6
	s_cbranch_vccnz .LBB6_586
; %bb.585:
	v_add_f32_e32 v4, 0x46800000, v3
.LBB6_586:
	s_mov_b32 s6, 0
.LBB6_587:
	s_delay_alu instid0(SALU_CYCLE_1)
	s_and_not1_b32 vcc_lo, exec_lo, s6
	s_cbranch_vccnz .LBB6_589
; %bb.588:
	s_cmp_gt_u32 s5, 0x7f800000
	s_movk_i32 s5, 0x7f
	s_delay_alu instid0(SALU_CYCLE_1) | instskip(NEXT) | instid1(SALU_CYCLE_1)
	s_cselect_b32 s5, s5, 0x7e
	v_mov_b32_e32 v4, s5
.LBB6_589:
	global_store_b8 v[0:1], v4, off
.LBB6_590:
	s_mov_b32 s5, 0
.LBB6_591:
	s_delay_alu instid0(SALU_CYCLE_1)
	s_and_not1_b32 vcc_lo, exec_lo, s5
	s_cbranch_vccnz .LBB6_603
; %bb.592:
	v_cvt_f32_ubyte0_e32 v3, s19
	s_delay_alu instid0(VALU_DEP_1)
	v_cmp_gt_u32_e32 vcc_lo, 0x47800000, v3
	v_readfirstlane_b32 s5, v3
	s_cbranch_vccz .LBB6_595
; %bb.593:
	s_delay_alu instid0(VALU_DEP_1)
	s_cmp_gt_u32 s5, 0x387fffff
	s_cbranch_scc0 .LBB6_596
; %bb.594:
	s_bfe_u32 s6, s5, 0x10015
	s_delay_alu instid0(SALU_CYCLE_1) | instskip(NEXT) | instid1(SALU_CYCLE_1)
	s_add_i32 s6, s5, s6
	s_add_i32 s6, s6, 0x80fffff
	s_delay_alu instid0(SALU_CYCLE_1)
	s_lshr_b32 s7, s6, 21
	s_mov_b32 s6, 0
	s_branch .LBB6_597
.LBB6_595:
	s_mov_b32 s6, -1
                                        ; implicit-def: $vgpr4
	s_branch .LBB6_600
.LBB6_596:
	s_mov_b32 s6, -1
                                        ; implicit-def: $sgpr7
.LBB6_597:
	v_mov_b32_e32 v4, s7
	s_and_not1_b32 vcc_lo, exec_lo, s6
	s_cbranch_vccnz .LBB6_599
; %bb.598:
	v_add_f32_e32 v4, 0x43000000, v3
.LBB6_599:
	s_mov_b32 s6, 0
.LBB6_600:
	s_delay_alu instid0(SALU_CYCLE_1)
	s_and_not1_b32 vcc_lo, exec_lo, s6
	s_cbranch_vccnz .LBB6_602
; %bb.601:
	s_cmp_gt_u32 s5, 0x7f800000
	s_movk_i32 s5, 0x7f
	s_delay_alu instid0(SALU_CYCLE_1) | instskip(NEXT) | instid1(SALU_CYCLE_1)
	s_cselect_b32 s5, s5, 0x7c
	v_mov_b32_e32 v4, s5
.LBB6_602:
	global_store_b8 v[0:1], v4, off
.LBB6_603:
	s_mov_b32 s5, 0
	s_mov_b32 s6, -1
.LBB6_604:
	s_and_not1_b32 vcc_lo, exec_lo, s5
	s_mov_b32 s5, 0
	s_cbranch_vccnz .LBB6_611
; %bb.605:
	v_cmp_lt_i16_e32 vcc_lo, 14, v8
	s_mov_b32 s5, -1
	s_cbranch_vccz .LBB6_609
; %bb.606:
	v_cmp_eq_u16_e32 vcc_lo, 15, v8
	s_mov_b32 s0, -1
	s_cbranch_vccz .LBB6_608
; %bb.607:
	v_cvt_f32_ubyte0_e32 v3, s19
	s_mov_b32 s0, 0
	s_mov_b32 s6, -1
	s_delay_alu instid0(VALU_DEP_1) | instskip(NEXT) | instid1(VALU_DEP_1)
	v_bfe_u32 v4, v3, 16, 1
	v_add_nc_u32_e32 v3, v3, v4
	s_delay_alu instid0(VALU_DEP_1)
	v_add_nc_u32_e32 v3, 0x7fff, v3
	global_store_d16_hi_b16 v[0:1], v3, off
.LBB6_608:
	s_mov_b32 s5, 0
.LBB6_609:
	s_delay_alu instid0(SALU_CYCLE_1)
	s_and_b32 vcc_lo, exec_lo, s5
	s_mov_b32 s5, 0
	s_cbranch_vccz .LBB6_611
; %bb.610:
	v_cmp_ne_u16_e64 s0, 11, v8
	s_mov_b32 s5, -1
.LBB6_611:
	s_delay_alu instid0(VALU_DEP_1)
	s_and_b32 vcc_lo, exec_lo, s0
	s_cbranch_vccnz .LBB6_728
; %bb.612:
	s_and_not1_b32 vcc_lo, exec_lo, s5
	s_cbranch_vccnz .LBB6_614
.LBB6_613:
	v_and_b32_e64 v3, 0xff, s19
	s_mov_b32 s6, -1
	s_delay_alu instid0(VALU_DEP_1)
	v_cmp_ne_u16_e32 vcc_lo, 0, v3
	v_cndmask_b32_e64 v3, 0, 1, vcc_lo
	global_store_b8 v[0:1], v3, off
.LBB6_614:
.LBB6_615:
	s_and_not1_b32 vcc_lo, exec_lo, s6
	s_cbranch_vccnz .LBB6_683
.LBB6_616:
	v_add_nc_u32_e32 v2, s4, v2
	v_cmp_gt_i16_e32 vcc_lo, 11, v8
	s_delay_alu instid0(VALU_DEP_2) | instskip(SKIP_1) | instid1(VALU_DEP_1)
	v_ashrrev_i32_e32 v1, 31, v2
	v_add_co_u32 v0, s0, s16, v2
	v_add_co_ci_u32_e64 v1, s0, s17, v1, s0
	s_cbranch_vccnz .LBB6_644
; %bb.617:
	v_cmp_lt_i16_e32 vcc_lo, 25, v8
	s_mov_b32 s7, -1
	s_mov_b32 s5, 0
	s_mov_b32 s6, 0
	;; [unrolled: 1-line block ×3, first 2 shown]
	s_cbranch_vccz .LBB6_740
; %bb.618:
	v_cmp_lt_i16_e32 vcc_lo, 28, v8
	s_cbranch_vccz .LBB6_633
; %bb.619:
	v_cmp_lt_i16_e32 vcc_lo, 43, v8
	;; [unrolled: 3-line block ×3, first 2 shown]
	s_cbranch_vccz .LBB6_623
; %bb.621:
	v_cmp_eq_u16_e32 vcc_lo, 46, v8
	s_mov_b32 s0, -1
	s_mov_b32 s7, 0
	s_cbranch_vccz .LBB6_623
; %bb.622:
	v_cvt_f32_ubyte0_e32 v3, s19
	s_mov_b32 s0, 0
	s_mov_b32 s6, -1
	s_delay_alu instid0(VALU_DEP_1) | instskip(NEXT) | instid1(VALU_DEP_1)
	v_bfe_u32 v4, v3, 16, 1
	v_add_nc_u32_e32 v3, v3, v4
	s_delay_alu instid0(VALU_DEP_1) | instskip(NEXT) | instid1(VALU_DEP_1)
	v_add_nc_u32_e32 v3, 0x7fff, v3
	v_lshrrev_b32_e32 v3, 16, v3
	global_store_b32 v[0:1], v3, off
.LBB6_623:
	s_and_b32 vcc_lo, exec_lo, s7
	s_cbranch_vccz .LBB6_628
; %bb.624:
	v_cmp_eq_u16_e32 vcc_lo, 44, v8
	s_mov_b32 s0, -1
	s_cbranch_vccz .LBB6_628
; %bb.625:
	v_cvt_f32_ubyte0_e32 v3, s19
	s_delay_alu instid0(VALU_DEP_1) | instskip(SKIP_1) | instid1(VALU_DEP_2)
	v_readfirstlane_b32 s6, v3
	v_mov_b32_e32 v3, 0xff
	s_lshr_b32 s0, s6, 23
	s_delay_alu instid0(SALU_CYCLE_1)
	s_cmpk_eq_i32 s0, 0xff
	s_cbranch_scc1 .LBB6_627
; %bb.626:
	s_bitcmp1_b32 s6, 22
	s_cselect_b32 s7, -1, 0
	s_and_b32 s6, s6, 0x3fffff
	s_delay_alu instid0(SALU_CYCLE_1) | instskip(NEXT) | instid1(SALU_CYCLE_1)
	s_or_b32 s6, s0, s6
	s_cmp_lg_u32 s6, 0
	s_cselect_b32 s6, -1, 0
	s_delay_alu instid0(SALU_CYCLE_1) | instskip(NEXT) | instid1(SALU_CYCLE_1)
	s_and_b32 s6, s7, s6
	v_cndmask_b32_e64 v3, 0, 1, s6
	s_delay_alu instid0(VALU_DEP_1)
	v_add_nc_u32_e32 v3, s0, v3
.LBB6_627:
	s_mov_b32 s0, 0
	s_mov_b32 s6, -1
	global_store_b8 v[0:1], v3, off
.LBB6_628:
	s_mov_b32 s7, 0
.LBB6_629:
	s_delay_alu instid0(SALU_CYCLE_1)
	s_and_b32 vcc_lo, exec_lo, s7
	s_cbranch_vccz .LBB6_632
; %bb.630:
	v_cmp_eq_u16_e32 vcc_lo, 29, v8
	s_mov_b32 s0, -1
	s_cbranch_vccz .LBB6_632
; %bb.631:
	s_and_b32 s0, s19, 0xff
	s_mov_b32 s6, -1
	v_dual_mov_b32 v3, s0 :: v_dual_mov_b32 v4, 0
	s_mov_b32 s0, 0
	global_store_b64 v[0:1], v[3:4], off
.LBB6_632:
	s_mov_b32 s7, 0
.LBB6_633:
	s_delay_alu instid0(SALU_CYCLE_1)
	s_and_b32 vcc_lo, exec_lo, s7
	s_cbranch_vccz .LBB6_739
; %bb.634:
	v_cmp_gt_i16_e32 vcc_lo, 27, v8
	s_mov_b32 s6, -1
	s_cbranch_vccnz .LBB6_640
; %bb.635:
	v_cmp_lt_i16_e32 vcc_lo, 27, v8
	s_cbranch_vccz .LBB6_637
; %bb.636:
	s_and_b32 s6, s19, 0xff
	s_delay_alu instid0(SALU_CYCLE_1)
	v_mov_b32_e32 v3, s6
	s_mov_b32 s6, 0
	global_store_b32 v[0:1], v3, off
.LBB6_637:
	s_and_not1_b32 vcc_lo, exec_lo, s6
	s_cbranch_vccnz .LBB6_639
; %bb.638:
	v_and_b32_e64 v3, 0xff, s19
	global_store_b16 v[0:1], v3, off
.LBB6_639:
	s_mov_b32 s6, 0
.LBB6_640:
	s_delay_alu instid0(SALU_CYCLE_1)
	s_and_not1_b32 vcc_lo, exec_lo, s6
	s_cbranch_vccnz .LBB6_738
; %bb.641:
	v_cvt_f32_ubyte0_e32 v3, s19
	v_mov_b32_e32 v5, 0x80
	s_delay_alu instid0(VALU_DEP_2)
	v_cmp_lt_u32_e32 vcc_lo, 0x437fffff, v3
	v_readfirstlane_b32 s6, v3
	s_cbranch_vccnz .LBB6_737
; %bb.642:
	s_delay_alu instid0(VALU_DEP_1)
	s_cmp_gt_u32 s6, 0x3bffffff
	s_cbranch_scc0 .LBB6_732
; %bb.643:
	s_bfe_u32 s7, s6, 0x10014
	s_delay_alu instid0(SALU_CYCLE_1) | instskip(SKIP_2) | instid1(SALU_CYCLE_1)
	s_add_i32 s6, s6, s7
	s_mov_b32 s7, 0
	s_add_i32 s6, s6, 0x487ffff
	s_lshr_b32 s8, s6, 20
	s_mov_b32 s6, -1
	s_branch .LBB6_733
.LBB6_644:
	s_mov_b32 s6, 0
	s_cbranch_execz .LBB6_838
; %bb.645:
	v_cmp_gt_i16_e32 vcc_lo, 5, v8
	s_mov_b32 s0, -1
	s_cbranch_vccnz .LBB6_666
; %bb.646:
	v_cmp_gt_i16_e32 vcc_lo, 8, v8
	s_cbranch_vccnz .LBB6_656
; %bb.647:
	v_cmp_gt_i16_e32 vcc_lo, 9, v8
	s_cbranch_vccnz .LBB6_653
; %bb.648:
	v_cmp_lt_i16_e32 vcc_lo, 9, v8
	s_cbranch_vccz .LBB6_650
; %bb.649:
	v_and_b32_e64 v3, 0xff, s19
	v_mov_b32_e32 v5, 0
	s_mov_b32 s0, 0
	s_delay_alu instid0(VALU_DEP_1) | instskip(NEXT) | instid1(VALU_DEP_1)
	v_dual_mov_b32 v6, v5 :: v_dual_and_b32 v3, 0xffff, v3
	v_cvt_f64_u32_e32 v[3:4], v3
	global_store_b128 v[0:1], v[3:6], off
.LBB6_650:
	s_and_not1_b32 vcc_lo, exec_lo, s0
	s_cbranch_vccnz .LBB6_652
; %bb.651:
	v_cvt_f32_ubyte0_e32 v3, s19
	v_mov_b32_e32 v4, 0
	global_store_b64 v[0:1], v[3:4], off
.LBB6_652:
	s_mov_b32 s0, 0
.LBB6_653:
	s_delay_alu instid0(SALU_CYCLE_1)
	s_and_not1_b32 vcc_lo, exec_lo, s0
	s_cbranch_vccnz .LBB6_655
; %bb.654:
	v_and_b32_e64 v3, 0xff, s19
	s_delay_alu instid0(VALU_DEP_1) | instskip(NEXT) | instid1(VALU_DEP_1)
	v_cvt_f16_u16_e32 v3, v3
	v_and_b32_e32 v3, 0xffff, v3
	global_store_b32 v[0:1], v3, off
.LBB6_655:
	s_mov_b32 s0, 0
.LBB6_656:
	s_delay_alu instid0(SALU_CYCLE_1)
	s_and_not1_b32 vcc_lo, exec_lo, s0
	s_cbranch_vccnz .LBB6_665
; %bb.657:
	v_cmp_gt_i16_e32 vcc_lo, 6, v8
	s_mov_b32 s0, -1
	s_cbranch_vccnz .LBB6_663
; %bb.658:
	v_cmp_lt_i16_e32 vcc_lo, 6, v8
	s_cbranch_vccz .LBB6_660
; %bb.659:
	v_and_b32_e64 v3, 0xff, s19
	s_mov_b32 s0, 0
	s_delay_alu instid0(VALU_DEP_1) | instskip(NEXT) | instid1(VALU_DEP_1)
	v_and_b32_e32 v3, 0xffff, v3
	v_cvt_f64_u32_e32 v[3:4], v3
	global_store_b64 v[0:1], v[3:4], off
.LBB6_660:
	s_and_not1_b32 vcc_lo, exec_lo, s0
	s_cbranch_vccnz .LBB6_662
; %bb.661:
	v_cvt_f32_ubyte0_e32 v3, s19
	global_store_b32 v[0:1], v3, off
.LBB6_662:
	s_mov_b32 s0, 0
.LBB6_663:
	s_delay_alu instid0(SALU_CYCLE_1)
	s_and_not1_b32 vcc_lo, exec_lo, s0
	s_cbranch_vccnz .LBB6_665
; %bb.664:
	v_and_b32_e64 v3, 0xff, s19
	s_delay_alu instid0(VALU_DEP_1)
	v_cvt_f16_u16_e32 v3, v3
	global_store_b16 v[0:1], v3, off
.LBB6_665:
	s_mov_b32 s0, 0
.LBB6_666:
	s_delay_alu instid0(SALU_CYCLE_1)
	s_and_not1_b32 vcc_lo, exec_lo, s0
	s_cbranch_vccnz .LBB6_682
; %bb.667:
	v_cmp_gt_i16_e32 vcc_lo, 2, v8
	s_mov_b32 s0, -1
	s_cbranch_vccnz .LBB6_677
; %bb.668:
	v_cmp_gt_i16_e32 vcc_lo, 3, v8
	s_cbranch_vccnz .LBB6_674
; %bb.669:
	v_cmp_lt_i16_e32 vcc_lo, 3, v8
	s_cbranch_vccz .LBB6_671
; %bb.670:
	s_and_b32 s0, s19, 0xff
	s_delay_alu instid0(SALU_CYCLE_1)
	v_dual_mov_b32 v4, 0 :: v_dual_mov_b32 v3, s0
	s_mov_b32 s0, 0
	global_store_b64 v[0:1], v[3:4], off
.LBB6_671:
	s_and_not1_b32 vcc_lo, exec_lo, s0
	s_cbranch_vccnz .LBB6_673
; %bb.672:
	s_and_b32 s0, s19, 0xff
	s_delay_alu instid0(SALU_CYCLE_1)
	v_mov_b32_e32 v3, s0
	global_store_b32 v[0:1], v3, off
.LBB6_673:
	s_mov_b32 s0, 0
.LBB6_674:
	s_delay_alu instid0(SALU_CYCLE_1)
	s_and_not1_b32 vcc_lo, exec_lo, s0
	s_cbranch_vccnz .LBB6_676
; %bb.675:
	v_and_b32_e64 v3, 0xff, s19
	global_store_b16 v[0:1], v3, off
.LBB6_676:
	s_mov_b32 s0, 0
.LBB6_677:
	s_delay_alu instid0(SALU_CYCLE_1)
	s_and_not1_b32 vcc_lo, exec_lo, s0
	s_cbranch_vccnz .LBB6_682
; %bb.678:
	v_cmp_lt_i16_e32 vcc_lo, 0, v8
	s_mov_b32 s0, -1
	s_cbranch_vccz .LBB6_680
; %bb.679:
	v_mov_b32_e32 v3, s19
	s_mov_b32 s0, 0
	global_store_b8 v[0:1], v3, off
.LBB6_680:
	s_and_not1_b32 vcc_lo, exec_lo, s0
	s_cbranch_vccnz .LBB6_682
; %bb.681:
	v_mov_b32_e32 v3, s19
	global_store_b8 v[0:1], v3, off
.LBB6_682:
	s_branch .LBB6_839
.LBB6_683:
	s_mov_b32 s0, 0
	s_mov_b32 s4, 0
                                        ; implicit-def: $vgpr8
                                        ; implicit-def: $vgpr0_vgpr1
.LBB6_684:
	s_and_not1_b32 s1, s1, exec_lo
	s_and_b32 s3, s3, exec_lo
	s_and_b32 s0, s0, exec_lo
	;; [unrolled: 1-line block ×3, first 2 shown]
	s_or_b32 s1, s1, s3
.LBB6_685:
	s_or_b32 exec_lo, exec_lo, s2
	s_and_saveexec_b32 s2, s1
	s_cbranch_execz .LBB6_688
; %bb.686:
	; divergent unreachable
	s_or_b32 exec_lo, exec_lo, s2
	s_and_saveexec_b32 s1, s12
	s_delay_alu instid0(SALU_CYCLE_1)
	s_xor_b32 s1, exec_lo, s1
	s_cbranch_execnz .LBB6_689
.LBB6_687:
	s_or_b32 exec_lo, exec_lo, s1
	s_and_saveexec_b32 s1, s0
	s_cbranch_execnz .LBB6_690
	s_branch .LBB6_727
.LBB6_688:
	s_or_b32 exec_lo, exec_lo, s2
	s_and_saveexec_b32 s1, s12
	s_delay_alu instid0(SALU_CYCLE_1)
	s_xor_b32 s1, exec_lo, s1
	s_cbranch_execz .LBB6_687
.LBB6_689:
	v_and_b32_e64 v2, 0xff, s19
	s_delay_alu instid0(VALU_DEP_1)
	v_cmp_ne_u16_e32 vcc_lo, 0, v2
	v_cndmask_b32_e64 v2, 0, 1, vcc_lo
	global_store_b8 v[0:1], v2, off
	s_or_b32 exec_lo, exec_lo, s1
	s_and_saveexec_b32 s1, s0
	s_cbranch_execz .LBB6_727
.LBB6_690:
	v_cmp_gt_i16_e32 vcc_lo, 5, v8
	s_mov_b32 s0, -1
	s_cbranch_vccnz .LBB6_711
; %bb.691:
	v_cmp_gt_i16_e32 vcc_lo, 8, v8
	s_cbranch_vccnz .LBB6_701
; %bb.692:
	v_cmp_gt_i16_e32 vcc_lo, 9, v8
	s_cbranch_vccnz .LBB6_698
; %bb.693:
	v_cmp_lt_i16_e32 vcc_lo, 9, v8
	s_cbranch_vccz .LBB6_695
; %bb.694:
	v_and_b32_e64 v2, 0xff, s19
	v_mov_b32_e32 v4, 0
	s_mov_b32 s0, 0
	s_delay_alu instid0(VALU_DEP_1) | instskip(NEXT) | instid1(VALU_DEP_1)
	v_dual_mov_b32 v5, v4 :: v_dual_and_b32 v2, 0xffff, v2
	v_cvt_f64_u32_e32 v[2:3], v2
	global_store_b128 v[0:1], v[2:5], off
.LBB6_695:
	s_and_not1_b32 vcc_lo, exec_lo, s0
	s_cbranch_vccnz .LBB6_697
; %bb.696:
	v_cvt_f32_ubyte0_e32 v2, s19
	v_mov_b32_e32 v3, 0
	global_store_b64 v[0:1], v[2:3], off
.LBB6_697:
	s_mov_b32 s0, 0
.LBB6_698:
	s_delay_alu instid0(SALU_CYCLE_1)
	s_and_not1_b32 vcc_lo, exec_lo, s0
	s_cbranch_vccnz .LBB6_700
; %bb.699:
	v_and_b32_e64 v2, 0xff, s19
	s_delay_alu instid0(VALU_DEP_1) | instskip(NEXT) | instid1(VALU_DEP_1)
	v_cvt_f16_u16_e32 v2, v2
	v_and_b32_e32 v2, 0xffff, v2
	global_store_b32 v[0:1], v2, off
.LBB6_700:
	s_mov_b32 s0, 0
.LBB6_701:
	s_delay_alu instid0(SALU_CYCLE_1)
	s_and_not1_b32 vcc_lo, exec_lo, s0
	s_cbranch_vccnz .LBB6_710
; %bb.702:
	v_cmp_gt_i16_e32 vcc_lo, 6, v8
	s_mov_b32 s0, -1
	s_cbranch_vccnz .LBB6_708
; %bb.703:
	v_cmp_lt_i16_e32 vcc_lo, 6, v8
	s_cbranch_vccz .LBB6_705
; %bb.704:
	v_and_b32_e64 v2, 0xff, s19
	s_mov_b32 s0, 0
	s_delay_alu instid0(VALU_DEP_1) | instskip(NEXT) | instid1(VALU_DEP_1)
	v_and_b32_e32 v2, 0xffff, v2
	v_cvt_f64_u32_e32 v[2:3], v2
	global_store_b64 v[0:1], v[2:3], off
.LBB6_705:
	s_and_not1_b32 vcc_lo, exec_lo, s0
	s_cbranch_vccnz .LBB6_707
; %bb.706:
	v_cvt_f32_ubyte0_e32 v2, s19
	global_store_b32 v[0:1], v2, off
.LBB6_707:
	s_mov_b32 s0, 0
.LBB6_708:
	s_delay_alu instid0(SALU_CYCLE_1)
	s_and_not1_b32 vcc_lo, exec_lo, s0
	s_cbranch_vccnz .LBB6_710
; %bb.709:
	v_and_b32_e64 v2, 0xff, s19
	s_delay_alu instid0(VALU_DEP_1)
	v_cvt_f16_u16_e32 v2, v2
	global_store_b16 v[0:1], v2, off
.LBB6_710:
	s_mov_b32 s0, 0
.LBB6_711:
	s_delay_alu instid0(SALU_CYCLE_1)
	s_and_not1_b32 vcc_lo, exec_lo, s0
	s_cbranch_vccnz .LBB6_727
; %bb.712:
	v_cmp_gt_i16_e32 vcc_lo, 2, v8
	s_mov_b32 s0, -1
	s_cbranch_vccnz .LBB6_722
; %bb.713:
	v_cmp_gt_i16_e32 vcc_lo, 3, v8
	s_cbranch_vccnz .LBB6_719
; %bb.714:
	v_cmp_lt_i16_e32 vcc_lo, 3, v8
	s_cbranch_vccz .LBB6_716
; %bb.715:
	s_and_b32 s0, s19, 0xff
	s_delay_alu instid0(SALU_CYCLE_1)
	v_dual_mov_b32 v3, 0 :: v_dual_mov_b32 v2, s0
	s_mov_b32 s0, 0
	global_store_b64 v[0:1], v[2:3], off
.LBB6_716:
	s_and_not1_b32 vcc_lo, exec_lo, s0
	s_cbranch_vccnz .LBB6_718
; %bb.717:
	s_and_b32 s0, s19, 0xff
	s_delay_alu instid0(SALU_CYCLE_1)
	v_mov_b32_e32 v2, s0
	global_store_b32 v[0:1], v2, off
.LBB6_718:
	s_mov_b32 s0, 0
.LBB6_719:
	s_delay_alu instid0(SALU_CYCLE_1)
	s_and_not1_b32 vcc_lo, exec_lo, s0
	s_cbranch_vccnz .LBB6_721
; %bb.720:
	v_and_b32_e64 v2, 0xff, s19
	global_store_b16 v[0:1], v2, off
.LBB6_721:
	s_mov_b32 s0, 0
.LBB6_722:
	s_delay_alu instid0(SALU_CYCLE_1)
	s_and_not1_b32 vcc_lo, exec_lo, s0
	s_cbranch_vccnz .LBB6_727
; %bb.723:
	v_cmp_lt_i16_e32 vcc_lo, 0, v8
	s_mov_b32 s0, -1
	s_cbranch_vccz .LBB6_725
; %bb.724:
	v_mov_b32_e32 v2, s19
	s_mov_b32 s0, 0
	global_store_b8 v[0:1], v2, off
.LBB6_725:
	s_and_not1_b32 vcc_lo, exec_lo, s0
	s_cbranch_vccnz .LBB6_727
; %bb.726:
	v_mov_b32_e32 v2, s19
	global_store_b8 v[0:1], v2, off
	s_nop 0
	s_sendmsg sendmsg(MSG_DEALLOC_VGPRS)
	s_endpgm
.LBB6_727:
	s_nop 0
	s_sendmsg sendmsg(MSG_DEALLOC_VGPRS)
	s_endpgm
.LBB6_728:
	s_cbranch_execnz .LBB6_730
; %bb.729:
	s_or_b32 s3, s3, exec_lo
	s_cbranch_execz .LBB6_613
	s_branch .LBB6_614
.LBB6_730:
	s_trap 2
	s_sendmsg_rtn_b32 s0, sendmsg(MSG_RTN_GET_DOORBELL)
	s_mov_b32 ttmp2, m0
	s_waitcnt lgkmcnt(0)
	s_and_b32 s0, s0, 0x3ff
	s_delay_alu instid0(SALU_CYCLE_1) | instskip(NEXT) | instid1(SALU_CYCLE_1)
	s_bitset1_b32 s0, 10
	s_mov_b32 m0, s0
	s_sendmsg sendmsg(MSG_INTERRUPT)
	s_mov_b32 m0, ttmp2
.LBB6_731:                              ; =>This Inner Loop Header: Depth=1
	s_sethalt 5
	s_branch .LBB6_731
.LBB6_732:
	s_mov_b32 s7, -1
	s_mov_b32 s6, 0
                                        ; implicit-def: $sgpr8
.LBB6_733:
	v_mov_b32_e32 v4, s8
	s_and_not1_b32 vcc_lo, exec_lo, s7
                                        ; implicit-def: $sgpr7
	s_cbranch_vccnz .LBB6_735
; %bb.734:
	v_add_f32_e32 v3, 0x46000000, v3
	s_mov_b32 s7, 0
	s_delay_alu instid0(VALU_DEP_1) | instskip(NEXT) | instid1(VALU_DEP_1)
	v_and_b32_e32 v4, 0xff, v3
	v_cmp_ne_u32_e64 s6, 0, v4
.LBB6_735:
	v_mov_b32_e32 v5, s7
	s_delay_alu instid0(VALU_DEP_2)
	s_and_not1_b32 vcc_lo, exec_lo, s6
	s_cbranch_vccnz .LBB6_737
; %bb.736:
	v_mov_b32_e32 v5, v4
.LBB6_737:
	global_store_b8 v[0:1], v5, off
.LBB6_738:
	s_mov_b32 s6, -1
.LBB6_739:
	s_mov_b32 s7, 0
.LBB6_740:
	s_delay_alu instid0(SALU_CYCLE_1)
	s_and_b32 vcc_lo, exec_lo, s7
	s_cbranch_vccz .LBB6_834
; %bb.741:
	v_cmp_lt_i16_e32 vcc_lo, 22, v8
	s_mov_b32 s5, -1
	s_cbranch_vccz .LBB6_827
; %bb.742:
	v_cmp_gt_i16_e32 vcc_lo, 24, v8
	s_cbranch_vccnz .LBB6_814
; %bb.743:
	v_cmp_lt_i16_e32 vcc_lo, 24, v8
	s_cbranch_vccz .LBB6_801
; %bb.744:
	v_cvt_f32_ubyte0_e32 v3, s19
	v_mov_b32_e32 v5, 0x80
	s_delay_alu instid0(VALU_DEP_2)
	v_cmp_lt_u32_e32 vcc_lo, 0x477fffff, v3
	v_readfirstlane_b32 s5, v3
	s_cbranch_vccnz .LBB6_800
; %bb.745:
	s_delay_alu instid0(VALU_DEP_1)
	s_cmp_gt_u32 s5, 0x37ffffff
	s_cbranch_scc0 .LBB6_795
; %bb.746:
	s_bfe_u32 s6, s5, 0x10015
	s_delay_alu instid0(SALU_CYCLE_1) | instskip(SKIP_2) | instid1(SALU_CYCLE_1)
	s_add_i32 s5, s5, s6
	s_mov_b32 s6, 0
	s_add_i32 s5, s5, 0x88fffff
	s_lshr_b32 s7, s5, 21
	s_mov_b32 s5, -1
	s_branch .LBB6_796
.LBB6_747:
	s_mov_b32 s27, 0
.LBB6_748:
	s_delay_alu instid0(SALU_CYCLE_1)
	s_and_b32 vcc_lo, exec_lo, s27
	s_cbranch_vccz .LBB6_751
; %bb.749:
	v_cmp_eq_u16_e32 vcc_lo, 29, v8
	s_mov_b32 s9, -1
	s_cbranch_vccz .LBB6_751
; %bb.750:
	v_dual_mov_b32 v2, s10 :: v_dual_mov_b32 v3, s11
	s_mov_b32 s9, 0
	s_mov_b32 s27, 0
	global_store_b64 v[6:7], v[2:3], off
	s_branch .LBB6_752
.LBB6_751:
	s_mov_b32 s27, 0
.LBB6_752:
	s_delay_alu instid0(SALU_CYCLE_1)
	s_and_b32 vcc_lo, exec_lo, s27
	s_cbranch_vccz .LBB6_764
; %bb.753:
	v_cmp_gt_i16_e32 vcc_lo, 27, v8
	s_mov_b32 s8, -1
	s_cbranch_vccnz .LBB6_759
; %bb.754:
	v_cmp_lt_i16_e32 vcc_lo, 27, v8
	s_cbranch_vccz .LBB6_756
; %bb.755:
	v_mov_b32_e32 v2, s10
	s_mov_b32 s8, 0
	global_store_b32 v[6:7], v2, off
.LBB6_756:
	s_and_not1_b32 vcc_lo, exec_lo, s8
	s_cbranch_vccnz .LBB6_758
; %bb.757:
	global_store_b16 v[6:7], v9, off
.LBB6_758:
	s_mov_b32 s8, 0
.LBB6_759:
	s_delay_alu instid0(SALU_CYCLE_1)
	s_and_not1_b32 vcc_lo, exec_lo, s8
	s_cbranch_vccnz .LBB6_764
; %bb.760:
	v_mov_b32_e32 v2, 0x80
	s_and_not1_b32 vcc_lo, exec_lo, s7
	s_cbranch_vccnz .LBB6_763
; %bb.761:
	v_mov_b32_e32 v2, 0
	s_or_b32 s7, s6, s15
	s_delay_alu instid0(SALU_CYCLE_1)
	s_and_not1_b32 vcc_lo, exec_lo, s7
	s_cbranch_vccnz .LBB6_763
; %bb.762:
	v_cndmask_b32_e64 v2, v22, v23, s6
.LBB6_763:
	global_store_b8 v[6:7], v2, off
.LBB6_764:
	s_mov_b32 s27, 0
.LBB6_765:
	s_delay_alu instid0(SALU_CYCLE_1)
	s_and_b32 vcc_lo, exec_lo, s27
	s_mov_b32 s6, 0
	s_cbranch_vccz .LBB6_786
; %bb.766:
	v_cmp_lt_i16_e32 vcc_lo, 22, v8
	s_mov_b32 s7, -1
	s_cbranch_vccz .LBB6_779
; %bb.767:
	v_cmp_gt_i16_e32 vcc_lo, 24, v8
	s_cbranch_vccnz .LBB6_776
; %bb.768:
	v_cmp_lt_i16_e32 vcc_lo, 24, v8
	s_cbranch_vccz .LBB6_773
; %bb.769:
	v_mov_b32_e32 v2, 0x80
	s_and_not1_b32 vcc_lo, exec_lo, s4
	s_cbranch_vccnz .LBB6_772
; %bb.770:
	v_mov_b32_e32 v2, 0
	s_or_b32 s4, s5, s14
	s_delay_alu instid0(SALU_CYCLE_1)
	s_and_not1_b32 vcc_lo, exec_lo, s4
	s_cbranch_vccnz .LBB6_772
; %bb.771:
	v_cndmask_b32_e64 v2, v15, v21, s5
.LBB6_772:
	s_mov_b32 s7, 0
	global_store_b8 v[6:7], v2, off
.LBB6_773:
	s_and_b32 vcc_lo, exec_lo, s7
	s_cbranch_vccz .LBB6_775
; %bb.774:
	v_cndmask_b32_e64 v2, v18, v19, s3
	s_delay_alu instid0(VALU_DEP_1)
	v_cndmask_b32_e64 v2, v2, v20, s2
	global_store_b8 v[6:7], v2, off
.LBB6_775:
	s_mov_b32 s7, 0
.LBB6_776:
	s_delay_alu instid0(SALU_CYCLE_1)
	s_and_not1_b32 vcc_lo, exec_lo, s7
	s_cbranch_vccnz .LBB6_778
; %bb.777:
	v_cndmask_b32_e64 v2, v14, v16, s1
	s_delay_alu instid0(VALU_DEP_1)
	v_cndmask_b32_e64 v2, v2, v17, s0
	global_store_b8 v[6:7], v2, off
.LBB6_778:
	s_mov_b32 s7, 0
.LBB6_779:
	s_delay_alu instid0(SALU_CYCLE_1)
	s_and_not1_b32 vcc_lo, exec_lo, s7
	s_mov_b32 s0, 0
	s_cbranch_vccnz .LBB6_787
; %bb.780:
	v_cmp_lt_i16_e32 vcc_lo, 14, v8
	s_mov_b32 s0, -1
	s_cbranch_vccz .LBB6_784
; %bb.781:
	v_cmp_eq_u16_e32 vcc_lo, 15, v8
	s_mov_b32 s9, -1
	s_cbranch_vccz .LBB6_783
; %bb.782:
	s_mov_b32 s9, 0
	global_store_b16 v[6:7], v13, off
.LBB6_783:
	s_mov_b32 s0, 0
.LBB6_784:
	s_delay_alu instid0(SALU_CYCLE_1)
	s_and_b32 vcc_lo, exec_lo, s0
	s_mov_b32 s0, 0
	s_cbranch_vccz .LBB6_787
; %bb.785:
	v_cmp_ne_u16_e32 vcc_lo, 11, v8
	s_and_not1_b32 s1, s9, exec_lo
	s_mov_b32 s0, -1
	s_and_b32 s2, vcc_lo, exec_lo
	s_delay_alu instid0(SALU_CYCLE_1)
	s_or_b32 s9, s1, s2
	s_branch .LBB6_787
.LBB6_786:
	s_mov_b32 s0, 0
.LBB6_787:
	s_and_not1_b32 s1, s26, exec_lo
	s_and_b32 s2, s9, exec_lo
	s_and_b32 s27, s6, exec_lo
	s_and_b32 s9, s0, exec_lo
	s_or_b32 s28, s1, s2
.LBB6_788:
	s_or_b32 exec_lo, exec_lo, s20
	s_delay_alu instid0(SALU_CYCLE_1)
	s_and_not1_b32 s0, s26, exec_lo
	s_and_b32 s1, s28, exec_lo
	s_and_b32 s27, s27, exec_lo
	;; [unrolled: 1-line block ×3, first 2 shown]
	s_or_b32 s26, s0, s1
.LBB6_789:
	s_or_b32 exec_lo, exec_lo, s25
	s_delay_alu instid0(SALU_CYCLE_1)
	s_and_not1_b32 s0, s23, exec_lo
	s_and_b32 s1, s26, exec_lo
	s_and_b32 s27, s27, exec_lo
	;; [unrolled: 1-line block ×3, first 2 shown]
	s_or_b32 s23, s0, s1
.LBB6_790:
	s_or_b32 exec_lo, exec_lo, s24
	s_delay_alu instid0(SALU_CYCLE_1)
	s_and_not1_b32 s0, s21, exec_lo
	s_and_b32 s1, s23, exec_lo
	s_and_b32 s9, s27, exec_lo
	;; [unrolled: 1-line block ×3, first 2 shown]
	s_or_b32 s21, s0, s1
	s_or_b32 exec_lo, exec_lo, s22
	s_mov_b32 s0, 0
	s_and_saveexec_b32 s1, s21
	s_cbranch_execz .LBB6_110
.LBB6_791:
	s_cbranch_execnz .LBB6_793
; %bb.792:
	s_mov_b32 s0, exec_lo
	s_and_not1_b32 s23, s23, exec_lo
	s_or_b32 exec_lo, exec_lo, s1
	s_and_saveexec_b32 s1, s23
	s_delay_alu instid0(SALU_CYCLE_1)
	s_xor_b32 s1, exec_lo, s1
	s_cbranch_execnz .LBB6_111
	s_branch .LBB6_112
.LBB6_793:
	s_trap 2
	s_sendmsg_rtn_b32 s0, sendmsg(MSG_RTN_GET_DOORBELL)
	s_mov_b32 ttmp2, m0
	s_waitcnt lgkmcnt(0)
	s_and_b32 s0, s0, 0x3ff
	s_delay_alu instid0(SALU_CYCLE_1) | instskip(NEXT) | instid1(SALU_CYCLE_1)
	s_bitset1_b32 s0, 10
	s_mov_b32 m0, s0
	s_sendmsg sendmsg(MSG_INTERRUPT)
	s_mov_b32 m0, ttmp2
.LBB6_794:                              ; =>This Inner Loop Header: Depth=1
	s_sethalt 5
	s_branch .LBB6_794
.LBB6_795:
	s_mov_b32 s6, -1
	s_mov_b32 s5, 0
                                        ; implicit-def: $sgpr7
.LBB6_796:
	v_mov_b32_e32 v4, s7
	s_and_not1_b32 vcc_lo, exec_lo, s6
                                        ; implicit-def: $sgpr6
	s_cbranch_vccnz .LBB6_798
; %bb.797:
	v_add_f32_e32 v3, 0x42800000, v3
	s_mov_b32 s6, 0
	s_delay_alu instid0(VALU_DEP_1) | instskip(NEXT) | instid1(VALU_DEP_1)
	v_and_b32_e32 v4, 0xff, v3
	v_cmp_ne_u32_e64 s5, 0, v4
.LBB6_798:
	v_mov_b32_e32 v5, s6
	s_delay_alu instid0(VALU_DEP_2)
	s_and_not1_b32 vcc_lo, exec_lo, s5
	s_cbranch_vccnz .LBB6_800
; %bb.799:
	v_mov_b32_e32 v5, v4
.LBB6_800:
	s_mov_b32 s5, 0
	global_store_b8 v[0:1], v5, off
.LBB6_801:
	s_and_b32 vcc_lo, exec_lo, s5
	s_cbranch_vccz .LBB6_813
; %bb.802:
	v_cvt_f32_ubyte0_e32 v3, s19
	s_delay_alu instid0(VALU_DEP_1)
	v_cmp_gt_u32_e32 vcc_lo, 0x43f00000, v3
	v_readfirstlane_b32 s5, v3
	s_cbranch_vccz .LBB6_805
; %bb.803:
	s_delay_alu instid0(VALU_DEP_1)
	s_cmp_gt_u32 s5, 0x3c7fffff
	s_cbranch_scc0 .LBB6_806
; %bb.804:
	s_bfe_u32 s6, s5, 0x10014
	s_delay_alu instid0(SALU_CYCLE_1) | instskip(NEXT) | instid1(SALU_CYCLE_1)
	s_add_i32 s6, s5, s6
	s_add_i32 s6, s6, 0x407ffff
	s_delay_alu instid0(SALU_CYCLE_1)
	s_and_b32 s7, s6, 0xff00000
	s_lshr_b32 s6, s6, 20
	s_cmp_lg_u32 s7, 0x7f00000
	s_cselect_b32 s7, s6, 0x7e
	s_mov_b32 s6, 0
	s_branch .LBB6_807
.LBB6_805:
	s_mov_b32 s6, -1
                                        ; implicit-def: $vgpr4
	s_branch .LBB6_810
.LBB6_806:
	s_mov_b32 s6, -1
                                        ; implicit-def: $sgpr7
.LBB6_807:
	v_mov_b32_e32 v4, s7
	s_and_not1_b32 vcc_lo, exec_lo, s6
	s_cbranch_vccnz .LBB6_809
; %bb.808:
	v_add_f32_e32 v4, 0x46800000, v3
.LBB6_809:
	s_mov_b32 s6, 0
.LBB6_810:
	s_delay_alu instid0(SALU_CYCLE_1)
	s_and_not1_b32 vcc_lo, exec_lo, s6
	s_cbranch_vccnz .LBB6_812
; %bb.811:
	s_cmp_gt_u32 s5, 0x7f800000
	s_movk_i32 s5, 0x7f
	s_delay_alu instid0(SALU_CYCLE_1) | instskip(NEXT) | instid1(SALU_CYCLE_1)
	s_cselect_b32 s5, s5, 0x7e
	v_mov_b32_e32 v4, s5
.LBB6_812:
	global_store_b8 v[0:1], v4, off
.LBB6_813:
	s_mov_b32 s5, 0
.LBB6_814:
	s_delay_alu instid0(SALU_CYCLE_1)
	s_and_not1_b32 vcc_lo, exec_lo, s5
	s_cbranch_vccnz .LBB6_826
; %bb.815:
	v_cvt_f32_ubyte0_e32 v3, s19
	s_delay_alu instid0(VALU_DEP_1)
	v_cmp_gt_u32_e32 vcc_lo, 0x47800000, v3
	v_readfirstlane_b32 s5, v3
	s_cbranch_vccz .LBB6_818
; %bb.816:
	s_delay_alu instid0(VALU_DEP_1)
	s_cmp_gt_u32 s5, 0x387fffff
	s_cbranch_scc0 .LBB6_819
; %bb.817:
	s_bfe_u32 s6, s5, 0x10015
	s_delay_alu instid0(SALU_CYCLE_1) | instskip(NEXT) | instid1(SALU_CYCLE_1)
	s_add_i32 s6, s5, s6
	s_add_i32 s6, s6, 0x80fffff
	s_delay_alu instid0(SALU_CYCLE_1)
	s_lshr_b32 s7, s6, 21
	s_mov_b32 s6, 0
	s_branch .LBB6_820
.LBB6_818:
	s_mov_b32 s6, -1
                                        ; implicit-def: $vgpr4
	s_branch .LBB6_823
.LBB6_819:
	s_mov_b32 s6, -1
                                        ; implicit-def: $sgpr7
.LBB6_820:
	v_mov_b32_e32 v4, s7
	s_and_not1_b32 vcc_lo, exec_lo, s6
	s_cbranch_vccnz .LBB6_822
; %bb.821:
	v_add_f32_e32 v4, 0x43000000, v3
.LBB6_822:
	s_mov_b32 s6, 0
.LBB6_823:
	s_delay_alu instid0(SALU_CYCLE_1)
	s_and_not1_b32 vcc_lo, exec_lo, s6
	s_cbranch_vccnz .LBB6_825
; %bb.824:
	s_cmp_gt_u32 s5, 0x7f800000
	s_movk_i32 s5, 0x7f
	s_delay_alu instid0(SALU_CYCLE_1) | instskip(NEXT) | instid1(SALU_CYCLE_1)
	s_cselect_b32 s5, s5, 0x7c
	v_mov_b32_e32 v4, s5
.LBB6_825:
	global_store_b8 v[0:1], v4, off
.LBB6_826:
	s_mov_b32 s5, 0
	s_mov_b32 s6, -1
.LBB6_827:
	s_and_not1_b32 vcc_lo, exec_lo, s5
	s_mov_b32 s5, 0
	s_cbranch_vccnz .LBB6_834
; %bb.828:
	v_cmp_lt_i16_e32 vcc_lo, 14, v8
	s_mov_b32 s5, -1
	s_cbranch_vccz .LBB6_832
; %bb.829:
	v_cmp_eq_u16_e32 vcc_lo, 15, v8
	s_mov_b32 s0, -1
	s_cbranch_vccz .LBB6_831
; %bb.830:
	v_cvt_f32_ubyte0_e32 v3, s19
	s_mov_b32 s0, 0
	s_mov_b32 s6, -1
	s_delay_alu instid0(VALU_DEP_1) | instskip(NEXT) | instid1(VALU_DEP_1)
	v_bfe_u32 v4, v3, 16, 1
	v_add_nc_u32_e32 v3, v3, v4
	s_delay_alu instid0(VALU_DEP_1)
	v_add_nc_u32_e32 v3, 0x7fff, v3
	global_store_d16_hi_b16 v[0:1], v3, off
.LBB6_831:
	s_mov_b32 s5, 0
.LBB6_832:
	s_delay_alu instid0(SALU_CYCLE_1)
	s_and_b32 vcc_lo, exec_lo, s5
	s_mov_b32 s5, 0
	s_cbranch_vccz .LBB6_834
; %bb.833:
	v_cmp_ne_u16_e64 s0, 11, v8
	s_mov_b32 s5, -1
.LBB6_834:
	s_delay_alu instid0(VALU_DEP_1)
	s_and_b32 vcc_lo, exec_lo, s0
	s_cbranch_vccnz .LBB6_869
; %bb.835:
	s_and_not1_b32 vcc_lo, exec_lo, s5
	s_cbranch_vccnz .LBB6_837
.LBB6_836:
	v_and_b32_e64 v3, 0xff, s19
	s_mov_b32 s6, -1
	s_delay_alu instid0(VALU_DEP_1)
	v_cmp_ne_u16_e32 vcc_lo, 0, v3
	v_cndmask_b32_e64 v3, 0, 1, vcc_lo
	global_store_b8 v[0:1], v3, off
.LBB6_837:
.LBB6_838:
	s_and_not1_b32 vcc_lo, exec_lo, s6
	s_cbranch_vccnz .LBB6_683
.LBB6_839:
	v_add_nc_u32_e32 v0, s4, v2
	v_cmp_gt_i16_e32 vcc_lo, 11, v8
	s_delay_alu instid0(VALU_DEP_2) | instskip(SKIP_1) | instid1(VALU_DEP_1)
	v_ashrrev_i32_e32 v1, 31, v0
	v_add_co_u32 v0, s0, s16, v0
	v_add_co_ci_u32_e64 v1, s0, s17, v1, s0
	s_cbranch_vccnz .LBB6_868
; %bb.840:
	v_cmp_lt_i16_e32 vcc_lo, 25, v8
	s_mov_b32 s5, -1
	s_mov_b32 s4, 0
	s_mov_b32 s0, 0
	s_cbranch_vccz .LBB6_880
; %bb.841:
	v_cmp_lt_i16_e32 vcc_lo, 28, v8
	s_cbranch_vccz .LBB6_857
; %bb.842:
	v_cmp_lt_i16_e32 vcc_lo, 43, v8
	;; [unrolled: 3-line block ×3, first 2 shown]
	s_cbranch_vccz .LBB6_847
; %bb.844:
	v_cmp_eq_u16_e32 vcc_lo, 46, v8
	s_mov_b32 s0, -1
	s_cbranch_vccz .LBB6_846
; %bb.845:
	v_cvt_f32_ubyte0_e32 v2, s19
	s_mov_b32 s0, 0
	s_delay_alu instid0(VALU_DEP_1) | instskip(NEXT) | instid1(VALU_DEP_1)
	v_bfe_u32 v3, v2, 16, 1
	v_add_nc_u32_e32 v2, v2, v3
	s_delay_alu instid0(VALU_DEP_1) | instskip(NEXT) | instid1(VALU_DEP_1)
	v_add_nc_u32_e32 v2, 0x7fff, v2
	v_lshrrev_b32_e32 v2, 16, v2
	global_store_b32 v[0:1], v2, off
.LBB6_846:
	s_mov_b32 s5, 0
.LBB6_847:
	s_delay_alu instid0(SALU_CYCLE_1)
	s_and_b32 vcc_lo, exec_lo, s5
	s_cbranch_vccz .LBB6_852
; %bb.848:
	v_cmp_eq_u16_e32 vcc_lo, 44, v8
	s_mov_b32 s0, -1
	s_cbranch_vccz .LBB6_852
; %bb.849:
	v_cvt_f32_ubyte0_e32 v2, s19
	s_delay_alu instid0(VALU_DEP_1) | instskip(SKIP_1) | instid1(VALU_DEP_2)
	v_readfirstlane_b32 s5, v2
	v_mov_b32_e32 v2, 0xff
	s_lshr_b32 s0, s5, 23
	s_delay_alu instid0(SALU_CYCLE_1)
	s_cmpk_eq_i32 s0, 0xff
	s_cbranch_scc1 .LBB6_851
; %bb.850:
	s_bitcmp1_b32 s5, 22
	s_cselect_b32 s6, -1, 0
	s_and_b32 s5, s5, 0x3fffff
	s_delay_alu instid0(SALU_CYCLE_1) | instskip(NEXT) | instid1(SALU_CYCLE_1)
	s_or_b32 s5, s0, s5
	s_cmp_lg_u32 s5, 0
	s_cselect_b32 s5, -1, 0
	s_delay_alu instid0(SALU_CYCLE_1) | instskip(NEXT) | instid1(SALU_CYCLE_1)
	s_and_b32 s5, s6, s5
	v_cndmask_b32_e64 v2, 0, 1, s5
	s_delay_alu instid0(VALU_DEP_1)
	v_add_nc_u32_e32 v2, s0, v2
.LBB6_851:
	s_mov_b32 s0, 0
	global_store_b8 v[0:1], v2, off
.LBB6_852:
	s_mov_b32 s5, 0
.LBB6_853:
	s_delay_alu instid0(SALU_CYCLE_1)
	s_and_b32 vcc_lo, exec_lo, s5
	s_cbranch_vccz .LBB6_856
; %bb.854:
	v_cmp_eq_u16_e32 vcc_lo, 29, v8
	s_mov_b32 s0, -1
	s_cbranch_vccz .LBB6_856
; %bb.855:
	s_and_b32 s0, s19, 0xff
	s_delay_alu instid0(SALU_CYCLE_1)
	v_dual_mov_b32 v3, 0 :: v_dual_mov_b32 v2, s0
	s_mov_b32 s0, 0
	global_store_b64 v[0:1], v[2:3], off
.LBB6_856:
	s_mov_b32 s5, 0
.LBB6_857:
	s_delay_alu instid0(SALU_CYCLE_1)
	s_and_b32 vcc_lo, exec_lo, s5
	s_cbranch_vccz .LBB6_879
; %bb.858:
	v_cmp_gt_i16_e32 vcc_lo, 27, v8
	s_mov_b32 s5, -1
	s_cbranch_vccnz .LBB6_864
; %bb.859:
	v_cmp_lt_i16_e32 vcc_lo, 27, v8
	s_cbranch_vccz .LBB6_861
; %bb.860:
	s_and_b32 s5, s19, 0xff
	s_delay_alu instid0(SALU_CYCLE_1)
	v_mov_b32_e32 v2, s5
	s_mov_b32 s5, 0
	global_store_b32 v[0:1], v2, off
.LBB6_861:
	s_and_not1_b32 vcc_lo, exec_lo, s5
	s_cbranch_vccnz .LBB6_863
; %bb.862:
	v_and_b32_e64 v2, 0xff, s19
	global_store_b16 v[0:1], v2, off
.LBB6_863:
	s_mov_b32 s5, 0
.LBB6_864:
	s_delay_alu instid0(SALU_CYCLE_1)
	s_and_not1_b32 vcc_lo, exec_lo, s5
	s_cbranch_vccnz .LBB6_879
; %bb.865:
	v_cvt_f32_ubyte0_e32 v2, s19
	v_mov_b32_e32 v4, 0x80
	s_delay_alu instid0(VALU_DEP_2)
	v_cmp_lt_u32_e32 vcc_lo, 0x437fffff, v2
	v_readfirstlane_b32 s5, v2
	s_cbranch_vccnz .LBB6_878
; %bb.866:
	s_delay_alu instid0(VALU_DEP_1)
	s_cmp_gt_u32 s5, 0x3bffffff
	s_cbranch_scc0 .LBB6_873
; %bb.867:
	s_bfe_u32 s6, s5, 0x10014
	s_delay_alu instid0(SALU_CYCLE_1) | instskip(SKIP_2) | instid1(SALU_CYCLE_1)
	s_add_i32 s5, s5, s6
	s_mov_b32 s6, 0
	s_add_i32 s5, s5, 0x487ffff
	s_lshr_b32 s7, s5, 20
	s_mov_b32 s5, -1
	s_branch .LBB6_874
.LBB6_868:
	s_mov_b32 s4, 0
	s_mov_b32 s0, -1
	s_branch .LBB6_684
.LBB6_869:
	s_cbranch_execnz .LBB6_871
; %bb.870:
	s_or_b32 s3, s3, exec_lo
	s_cbranch_execz .LBB6_836
	s_branch .LBB6_837
.LBB6_871:
	s_trap 2
	s_sendmsg_rtn_b32 s0, sendmsg(MSG_RTN_GET_DOORBELL)
	s_mov_b32 ttmp2, m0
	s_waitcnt lgkmcnt(0)
	s_and_b32 s0, s0, 0x3ff
	s_delay_alu instid0(SALU_CYCLE_1) | instskip(NEXT) | instid1(SALU_CYCLE_1)
	s_bitset1_b32 s0, 10
	s_mov_b32 m0, s0
	s_sendmsg sendmsg(MSG_INTERRUPT)
	s_mov_b32 m0, ttmp2
.LBB6_872:                              ; =>This Inner Loop Header: Depth=1
	s_sethalt 5
	s_branch .LBB6_872
.LBB6_873:
	s_mov_b32 s6, -1
	s_mov_b32 s5, 0
                                        ; implicit-def: $sgpr7
.LBB6_874:
	v_mov_b32_e32 v3, s7
	s_and_not1_b32 vcc_lo, exec_lo, s6
                                        ; implicit-def: $sgpr6
	s_cbranch_vccnz .LBB6_876
; %bb.875:
	v_add_f32_e32 v2, 0x46000000, v2
	s_mov_b32 s6, 0
	s_delay_alu instid0(VALU_DEP_1) | instskip(NEXT) | instid1(VALU_DEP_1)
	v_and_b32_e32 v3, 0xff, v2
	v_cmp_ne_u32_e64 s5, 0, v3
.LBB6_876:
	v_mov_b32_e32 v4, s6
	s_delay_alu instid0(VALU_DEP_2)
	s_and_not1_b32 vcc_lo, exec_lo, s5
	s_cbranch_vccnz .LBB6_878
; %bb.877:
	v_mov_b32_e32 v4, v3
.LBB6_878:
	global_store_b8 v[0:1], v4, off
.LBB6_879:
	s_mov_b32 s5, 0
.LBB6_880:
	s_delay_alu instid0(SALU_CYCLE_1)
	s_and_b32 vcc_lo, exec_lo, s5
	s_cbranch_vccz .LBB6_926
; %bb.881:
	v_cmp_lt_i16_e32 vcc_lo, 22, v8
	s_mov_b32 s4, -1
	s_cbranch_vccz .LBB6_919
; %bb.882:
	v_cmp_gt_i16_e32 vcc_lo, 24, v8
	s_cbranch_vccnz .LBB6_906
; %bb.883:
	v_cmp_lt_i16_e32 vcc_lo, 24, v8
	s_cbranch_vccz .LBB6_893
; %bb.884:
	v_cvt_f32_ubyte0_e32 v2, s19
	v_mov_b32_e32 v4, 0x80
	s_delay_alu instid0(VALU_DEP_2)
	v_cmp_lt_u32_e32 vcc_lo, 0x477fffff, v2
	v_readfirstlane_b32 s4, v2
	s_cbranch_vccnz .LBB6_892
; %bb.885:
	s_delay_alu instid0(VALU_DEP_1)
	s_cmp_gt_u32 s4, 0x37ffffff
	s_cbranch_scc0 .LBB6_887
; %bb.886:
	s_bfe_u32 s5, s4, 0x10015
	s_delay_alu instid0(SALU_CYCLE_1) | instskip(SKIP_2) | instid1(SALU_CYCLE_1)
	s_add_i32 s4, s4, s5
	s_mov_b32 s5, 0
	s_add_i32 s4, s4, 0x88fffff
	s_lshr_b32 s6, s4, 21
	s_mov_b32 s4, -1
	s_branch .LBB6_888
.LBB6_887:
	s_mov_b32 s5, -1
	s_mov_b32 s4, 0
                                        ; implicit-def: $sgpr6
.LBB6_888:
	v_mov_b32_e32 v3, s6
	s_and_not1_b32 vcc_lo, exec_lo, s5
                                        ; implicit-def: $sgpr5
	s_cbranch_vccnz .LBB6_890
; %bb.889:
	v_add_f32_e32 v2, 0x42800000, v2
	s_mov_b32 s5, 0
	s_delay_alu instid0(VALU_DEP_1) | instskip(NEXT) | instid1(VALU_DEP_1)
	v_and_b32_e32 v3, 0xff, v2
	v_cmp_ne_u32_e64 s4, 0, v3
.LBB6_890:
	v_mov_b32_e32 v4, s5
	s_delay_alu instid0(VALU_DEP_2)
	s_and_not1_b32 vcc_lo, exec_lo, s4
	s_cbranch_vccnz .LBB6_892
; %bb.891:
	v_mov_b32_e32 v4, v3
.LBB6_892:
	s_mov_b32 s4, 0
	global_store_b8 v[0:1], v4, off
.LBB6_893:
	s_and_b32 vcc_lo, exec_lo, s4
	s_cbranch_vccz .LBB6_905
; %bb.894:
	v_cvt_f32_ubyte0_e32 v2, s19
	s_delay_alu instid0(VALU_DEP_1)
	v_cmp_gt_u32_e32 vcc_lo, 0x43f00000, v2
	v_readfirstlane_b32 s4, v2
	s_cbranch_vccz .LBB6_897
; %bb.895:
	s_delay_alu instid0(VALU_DEP_1)
	s_cmp_gt_u32 s4, 0x3c7fffff
	s_cbranch_scc0 .LBB6_898
; %bb.896:
	s_bfe_u32 s5, s4, 0x10014
	s_delay_alu instid0(SALU_CYCLE_1) | instskip(NEXT) | instid1(SALU_CYCLE_1)
	s_add_i32 s5, s4, s5
	s_add_i32 s5, s5, 0x407ffff
	s_delay_alu instid0(SALU_CYCLE_1)
	s_and_b32 s6, s5, 0xff00000
	s_lshr_b32 s5, s5, 20
	s_cmp_lg_u32 s6, 0x7f00000
	s_cselect_b32 s6, s5, 0x7e
	s_mov_b32 s5, 0
	s_branch .LBB6_899
.LBB6_897:
	s_mov_b32 s5, -1
                                        ; implicit-def: $vgpr3
	s_branch .LBB6_902
.LBB6_898:
	s_mov_b32 s5, -1
                                        ; implicit-def: $sgpr6
.LBB6_899:
	v_mov_b32_e32 v3, s6
	s_and_not1_b32 vcc_lo, exec_lo, s5
	s_cbranch_vccnz .LBB6_901
; %bb.900:
	v_add_f32_e32 v3, 0x46800000, v2
.LBB6_901:
	s_mov_b32 s5, 0
.LBB6_902:
	s_delay_alu instid0(SALU_CYCLE_1)
	s_and_not1_b32 vcc_lo, exec_lo, s5
	s_cbranch_vccnz .LBB6_904
; %bb.903:
	s_cmp_gt_u32 s4, 0x7f800000
	s_movk_i32 s4, 0x7f
	s_delay_alu instid0(SALU_CYCLE_1) | instskip(NEXT) | instid1(SALU_CYCLE_1)
	s_cselect_b32 s4, s4, 0x7e
	v_mov_b32_e32 v3, s4
.LBB6_904:
	global_store_b8 v[0:1], v3, off
.LBB6_905:
	s_mov_b32 s4, 0
.LBB6_906:
	s_delay_alu instid0(SALU_CYCLE_1)
	s_and_not1_b32 vcc_lo, exec_lo, s4
	s_cbranch_vccnz .LBB6_918
; %bb.907:
	v_cvt_f32_ubyte0_e32 v2, s19
	s_delay_alu instid0(VALU_DEP_1)
	v_cmp_gt_u32_e32 vcc_lo, 0x47800000, v2
	v_readfirstlane_b32 s4, v2
	s_cbranch_vccz .LBB6_910
; %bb.908:
	s_delay_alu instid0(VALU_DEP_1)
	s_cmp_gt_u32 s4, 0x387fffff
	s_cbranch_scc0 .LBB6_911
; %bb.909:
	s_bfe_u32 s5, s4, 0x10015
	s_delay_alu instid0(SALU_CYCLE_1) | instskip(NEXT) | instid1(SALU_CYCLE_1)
	s_add_i32 s5, s4, s5
	s_add_i32 s5, s5, 0x80fffff
	s_delay_alu instid0(SALU_CYCLE_1)
	s_lshr_b32 s6, s5, 21
	s_mov_b32 s5, 0
	s_branch .LBB6_912
.LBB6_910:
	s_mov_b32 s5, -1
                                        ; implicit-def: $vgpr3
	s_branch .LBB6_915
.LBB6_911:
	s_mov_b32 s5, -1
                                        ; implicit-def: $sgpr6
.LBB6_912:
	v_mov_b32_e32 v3, s6
	s_and_not1_b32 vcc_lo, exec_lo, s5
	s_cbranch_vccnz .LBB6_914
; %bb.913:
	v_add_f32_e32 v3, 0x43000000, v2
.LBB6_914:
	s_mov_b32 s5, 0
.LBB6_915:
	s_delay_alu instid0(SALU_CYCLE_1)
	s_and_not1_b32 vcc_lo, exec_lo, s5
	s_cbranch_vccnz .LBB6_917
; %bb.916:
	s_cmp_gt_u32 s4, 0x7f800000
	s_movk_i32 s4, 0x7f
	s_delay_alu instid0(SALU_CYCLE_1) | instskip(NEXT) | instid1(SALU_CYCLE_1)
	s_cselect_b32 s4, s4, 0x7c
	v_mov_b32_e32 v3, s4
.LBB6_917:
	global_store_b8 v[0:1], v3, off
.LBB6_918:
	s_mov_b32 s4, 0
.LBB6_919:
	s_delay_alu instid0(SALU_CYCLE_1)
	s_and_not1_b32 vcc_lo, exec_lo, s4
	s_mov_b32 s4, 0
	s_cbranch_vccnz .LBB6_926
; %bb.920:
	v_cmp_lt_i16_e32 vcc_lo, 14, v8
	s_mov_b32 s4, -1
	s_cbranch_vccz .LBB6_924
; %bb.921:
	v_cmp_eq_u16_e32 vcc_lo, 15, v8
	s_mov_b32 s0, -1
	s_cbranch_vccz .LBB6_923
; %bb.922:
	v_cvt_f32_ubyte0_e32 v2, s19
	s_mov_b32 s0, 0
	s_delay_alu instid0(VALU_DEP_1) | instskip(NEXT) | instid1(VALU_DEP_1)
	v_bfe_u32 v3, v2, 16, 1
	v_add_nc_u32_e32 v2, v2, v3
	s_delay_alu instid0(VALU_DEP_1)
	v_add_nc_u32_e32 v2, 0x7fff, v2
	global_store_d16_hi_b16 v[0:1], v2, off
.LBB6_923:
	s_mov_b32 s4, 0
.LBB6_924:
	s_delay_alu instid0(SALU_CYCLE_1)
	s_and_b32 vcc_lo, exec_lo, s4
	s_mov_b32 s4, 0
	s_cbranch_vccz .LBB6_926
; %bb.925:
	v_cmp_ne_u16_e64 s0, 11, v8
	s_mov_b32 s4, -1
.LBB6_926:
	s_delay_alu instid0(VALU_DEP_1)
	s_and_b32 vcc_lo, exec_lo, s0
	s_cbranch_vccnz .LBB6_928
.LBB6_927:
	s_mov_b32 s0, 0
	s_branch .LBB6_684
.LBB6_928:
	s_cbranch_execnz .LBB6_930
; %bb.929:
	s_mov_b32 s4, 0
	s_or_b32 s3, s3, exec_lo
	s_branch .LBB6_927
.LBB6_930:
	s_trap 2
	s_sendmsg_rtn_b32 s0, sendmsg(MSG_RTN_GET_DOORBELL)
	s_mov_b32 ttmp2, m0
	s_waitcnt lgkmcnt(0)
	s_and_b32 s0, s0, 0x3ff
	s_delay_alu instid0(SALU_CYCLE_1) | instskip(NEXT) | instid1(SALU_CYCLE_1)
	s_bitset1_b32 s0, 10
	s_mov_b32 m0, s0
	s_sendmsg sendmsg(MSG_INTERRUPT)
	s_mov_b32 m0, ttmp2
.LBB6_931:                              ; =>This Inner Loop Header: Depth=1
	s_sethalt 5
	s_branch .LBB6_931
	.section	.rodata,"a",@progbits
	.p2align	6, 0x0
	.amdhsa_kernel _ZN2at6native32elementwise_kernel_manual_unrollILi128ELi4EZNS0_15gpu_kernel_implINS0_11FillFunctorIhEEEEvRNS_18TensorIteratorBaseERKT_EUlibE_EEviT1_
		.amdhsa_group_segment_fixed_size 0
		.amdhsa_private_segment_fixed_size 0
		.amdhsa_kernarg_size 24
		.amdhsa_user_sgpr_count 15
		.amdhsa_user_sgpr_dispatch_ptr 0
		.amdhsa_user_sgpr_queue_ptr 0
		.amdhsa_user_sgpr_kernarg_segment_ptr 1
		.amdhsa_user_sgpr_dispatch_id 0
		.amdhsa_user_sgpr_private_segment_size 0
		.amdhsa_wavefront_size32 1
		.amdhsa_uses_dynamic_stack 0
		.amdhsa_enable_private_segment 0
		.amdhsa_system_sgpr_workgroup_id_x 1
		.amdhsa_system_sgpr_workgroup_id_y 0
		.amdhsa_system_sgpr_workgroup_id_z 0
		.amdhsa_system_sgpr_workgroup_info 0
		.amdhsa_system_vgpr_workitem_id 0
		.amdhsa_next_free_vgpr 26
		.amdhsa_next_free_sgpr 29
		.amdhsa_reserve_vcc 1
		.amdhsa_float_round_mode_32 0
		.amdhsa_float_round_mode_16_64 0
		.amdhsa_float_denorm_mode_32 3
		.amdhsa_float_denorm_mode_16_64 3
		.amdhsa_dx10_clamp 1
		.amdhsa_ieee_mode 1
		.amdhsa_fp16_overflow 0
		.amdhsa_workgroup_processor_mode 1
		.amdhsa_memory_ordered 1
		.amdhsa_forward_progress 0
		.amdhsa_shared_vgpr_count 0
		.amdhsa_exception_fp_ieee_invalid_op 0
		.amdhsa_exception_fp_denorm_src 0
		.amdhsa_exception_fp_ieee_div_zero 0
		.amdhsa_exception_fp_ieee_overflow 0
		.amdhsa_exception_fp_ieee_underflow 0
		.amdhsa_exception_fp_ieee_inexact 0
		.amdhsa_exception_int_div_zero 0
	.end_amdhsa_kernel
	.section	.text._ZN2at6native32elementwise_kernel_manual_unrollILi128ELi4EZNS0_15gpu_kernel_implINS0_11FillFunctorIhEEEEvRNS_18TensorIteratorBaseERKT_EUlibE_EEviT1_,"axG",@progbits,_ZN2at6native32elementwise_kernel_manual_unrollILi128ELi4EZNS0_15gpu_kernel_implINS0_11FillFunctorIhEEEEvRNS_18TensorIteratorBaseERKT_EUlibE_EEviT1_,comdat
.Lfunc_end6:
	.size	_ZN2at6native32elementwise_kernel_manual_unrollILi128ELi4EZNS0_15gpu_kernel_implINS0_11FillFunctorIhEEEEvRNS_18TensorIteratorBaseERKT_EUlibE_EEviT1_, .Lfunc_end6-_ZN2at6native32elementwise_kernel_manual_unrollILi128ELi4EZNS0_15gpu_kernel_implINS0_11FillFunctorIhEEEEvRNS_18TensorIteratorBaseERKT_EUlibE_EEviT1_
                                        ; -- End function
	.section	.AMDGPU.csdata,"",@progbits
; Kernel info:
; codeLenInByte = 13484
; NumSgprs: 31
; NumVgprs: 26
; ScratchSize: 0
; MemoryBound: 0
; FloatMode: 240
; IeeeMode: 1
; LDSByteSize: 0 bytes/workgroup (compile time only)
; SGPRBlocks: 3
; VGPRBlocks: 3
; NumSGPRsForWavesPerEU: 31
; NumVGPRsForWavesPerEU: 26
; Occupancy: 16
; WaveLimiterHint : 0
; COMPUTE_PGM_RSRC2:SCRATCH_EN: 0
; COMPUTE_PGM_RSRC2:USER_SGPR: 15
; COMPUTE_PGM_RSRC2:TRAP_HANDLER: 0
; COMPUTE_PGM_RSRC2:TGID_X_EN: 1
; COMPUTE_PGM_RSRC2:TGID_Y_EN: 0
; COMPUTE_PGM_RSRC2:TGID_Z_EN: 0
; COMPUTE_PGM_RSRC2:TIDIG_COMP_CNT: 0
	.section	.text._ZN2at6native32elementwise_kernel_manual_unrollILi128ELi4EZNS0_15gpu_kernel_implINS0_11FillFunctorIhEEEEvRNS_18TensorIteratorBaseERKT_EUlibE0_EEviT1_,"axG",@progbits,_ZN2at6native32elementwise_kernel_manual_unrollILi128ELi4EZNS0_15gpu_kernel_implINS0_11FillFunctorIhEEEEvRNS_18TensorIteratorBaseERKT_EUlibE0_EEviT1_,comdat
	.protected	_ZN2at6native32elementwise_kernel_manual_unrollILi128ELi4EZNS0_15gpu_kernel_implINS0_11FillFunctorIhEEEEvRNS_18TensorIteratorBaseERKT_EUlibE0_EEviT1_ ; -- Begin function _ZN2at6native32elementwise_kernel_manual_unrollILi128ELi4EZNS0_15gpu_kernel_implINS0_11FillFunctorIhEEEEvRNS_18TensorIteratorBaseERKT_EUlibE0_EEviT1_
	.globl	_ZN2at6native32elementwise_kernel_manual_unrollILi128ELi4EZNS0_15gpu_kernel_implINS0_11FillFunctorIhEEEEvRNS_18TensorIteratorBaseERKT_EUlibE0_EEviT1_
	.p2align	8
	.type	_ZN2at6native32elementwise_kernel_manual_unrollILi128ELi4EZNS0_15gpu_kernel_implINS0_11FillFunctorIhEEEEvRNS_18TensorIteratorBaseERKT_EUlibE0_EEviT1_,@function
_ZN2at6native32elementwise_kernel_manual_unrollILi128ELi4EZNS0_15gpu_kernel_implINS0_11FillFunctorIhEEEEvRNS_18TensorIteratorBaseERKT_EUlibE0_EEviT1_: ; @_ZN2at6native32elementwise_kernel_manual_unrollILi128ELi4EZNS0_15gpu_kernel_implINS0_11FillFunctorIhEEEEvRNS_18TensorIteratorBaseERKT_EUlibE0_EEviT1_
; %bb.0:
	s_clause 0x1
	s_load_b32 s11, s[0:1], 0x8
	s_load_b32 s39, s[0:1], 0x0
	v_lshl_or_b32 v11, s15, 9, v0
	s_or_b32 s0, s0, 8
	s_mov_b32 s26, -1
	s_mov_b32 s31, 0
	s_mov_b32 s6, 0
	v_or_b32_e32 v4, 0x180, v11
	s_mov_b32 s2, exec_lo
	s_waitcnt lgkmcnt(0)
	s_add_i32 s30, s11, -1
	s_delay_alu instid0(SALU_CYCLE_1)
	s_cmp_gt_u32 s30, 1
	s_cselect_b32 s33, -1, 0
	v_cmpx_le_i32_e64 s39, v4
	s_xor_b32 s34, exec_lo, s2
	s_cbranch_execz .LBB7_159
; %bb.1:
	s_clause 0x2
	s_load_b32 s35, s[0:1], 0x110
	s_load_b64 s[20:21], s[0:1], 0xc4
	s_load_b64 s[18:19], s[0:1], 0x108
	s_cmp_lg_u32 s11, 0
	s_clause 0x1
	s_load_b128 s[12:15], s[0:1], 0x4
	s_load_b64 s[22:23], s[0:1], 0x14
	s_cselect_b32 s41, -1, 0
	s_add_u32 s24, s0, 0xc4
	s_addc_u32 s25, s1, 0
	s_min_u32 s40, s30, 15
	s_cmp_gt_u32 s11, 1
	s_mov_b32 s44, 0
	s_cselect_b32 s38, -1, 0
	s_mov_b32 s42, 0
	s_mov_b32 s43, exec_lo
	s_waitcnt lgkmcnt(0)
	v_and_b32_e64 v9, 0xff, s35
	s_and_b32 s16, s35, 0xff
	v_lshrrev_b16 v8, 8, s35
	s_delay_alu instid0(VALU_DEP_2) | instskip(NEXT) | instid1(VALU_DEP_1)
	v_and_b32_e32 v0, 0xffff, v9
	v_cvt_f32_ubyte0_e32 v4, v0
	v_cvt_f64_u32_e32 v[0:1], v0
	s_delay_alu instid0(VALU_DEP_2)
	v_lshrrev_b32_e32 v2, 23, v4
	v_and_b32_e32 v3, 0x400000, v4
	v_and_b32_e32 v5, 0x3fffff, v4
	v_bfe_u32 v6, v4, 20, 1
	v_add_f32_e32 v16, 0x42800000, v4
	v_bfe_u32 v7, v4, 21, 1
	v_cmp_ne_u32_e32 vcc_lo, 0, v3
	v_or_b32_e32 v3, v2, v5
	v_add_nc_u32_e32 v5, v4, v6
	s_delay_alu instid0(VALU_DEP_4) | instskip(SKIP_1) | instid1(VALU_DEP_4)
	v_dual_add_f32 v23, 0x46000000, v4 :: v_dual_add_nc_u32 v6, v4, v7
	v_cmp_eq_u32_e64 s10, 0xff, v2
	v_cmp_ne_u32_e64 s5, 0, v3
	s_delay_alu instid0(VALU_DEP_4)
	v_add_nc_u32_e32 v3, 0x487ffff, v5
	v_add_nc_u32_e32 v5, 0x407ffff, v5
	v_readfirstlane_b32 s17, v23
	v_readfirstlane_b32 s27, v16
	s_and_b32 s5, vcc_lo, s5
	v_lshrrev_b32_e32 v24, 20, v3
	v_cndmask_b32_e64 v10, 0, 1, s5
	v_lshrrev_b32_e32 v3, 20, v5
	v_and_b32_e32 v5, 0xff00000, v5
	s_and_b32 s17, s17, 0xff
	v_add_nc_u32_e32 v7, 0x88fffff, v6
	v_dual_add_f32 v20, 0x46800000, v4 :: v_dual_add_nc_u32 v25, v2, v10
	v_bfe_u32 v2, v4, 16, 1
	v_cmp_ne_u32_e32 vcc_lo, 0x7f00000, v5
	v_mov_b32_e32 v5, 0x7f
	v_cvt_f16_u16_e32 v10, v9
	s_cmp_lg_u32 s17, 0
	v_dual_cndmask_b32 v19, 0x7e, v3 :: v_dual_add_nc_u32 v2, v4, v2
	v_cmp_lt_u32_e32 vcc_lo, 0x7f800000, v4
	v_add_nc_u32_e32 v3, 0x80fffff, v6
	s_cselect_b32 s37, -1, 0
	s_delay_alu instid0(VALU_DEP_3)
	v_add_nc_u32_e32 v2, 0x7fff, v2
	s_and_b32 s5, s27, 0xff
	v_cndmask_b32_e32 v21, 0x7e, v5, vcc_lo
	v_cndmask_b32_e32 v18, 0x7c, v5, vcc_lo
	v_cmp_ne_u16_e32 vcc_lo, 0, v9
	v_cmp_gt_u32_e64 s9, 0x43800000, v4
	v_cmp_lt_u32_e64 s8, 0x3bffffff, v4
	v_cmp_lt_u32_e64 s2, 0x477fffff, v4
	v_cmp_gt_u32_e64 s7, 0x47800000, v4
	v_cmp_lt_u32_e64 s6, 0x37ffffff, v4
	v_cmp_lt_u32_e64 s3, 0x43efffff, v4
	v_cmp_gt_u32_e64 s4, 0x3c800000, v4
	v_lshrrev_b32_e32 v22, 21, v7
	s_cmp_lg_u32 s5, 0
	v_cmp_gt_u32_e64 s5, 0x38800000, v4
	v_lshrrev_b32_e32 v15, 21, v3
	v_add_f32_e32 v17, 0x43000000, v4
	v_lshrrev_b32_e32 v14, 16, v2
	v_cndmask_b32_e64 v13, 0, 1, vcc_lo
	v_and_b32_e32 v12, 0xffff, v10
	s_mov_b32 s17, s44
	s_cselect_b32 s36, -1, 0
	v_cmpx_gt_i32_e64 s39, v11
	s_cbranch_execz .LBB7_110
; %bb.2:
	s_and_not1_b32 vcc_lo, exec_lo, s33
	s_cbranch_vccnz .LBB7_7
; %bb.3:
	v_mov_b32_e32 v2, 0
	s_and_not1_b32 vcc_lo, exec_lo, s41
	s_cbranch_vccnz .LBB7_12
; %bb.4:
	s_add_i32 s45, s40, 1
	s_cmp_eq_u32 s30, 2
	s_cbranch_scc1 .LBB7_8
; %bb.5:
	v_dual_mov_b32 v2, 0 :: v_dual_mov_b32 v3, v11
	s_and_b32 s42, s45, 28
	s_mov_b32 s46, 0
	s_mov_b64 s[26:27], s[0:1]
	s_mov_b64 s[28:29], s[24:25]
.LBB7_6:                                ; =>This Inner Loop Header: Depth=1
	s_clause 0x1
	s_load_b256 s[48:55], s[26:27], 0x4
	s_load_b128 s[56:59], s[26:27], 0x24
	s_load_b128 s[60:63], s[28:29], 0x0
	s_add_u32 s26, s26, 48
	s_addc_u32 s27, s27, 0
	s_add_i32 s46, s46, 4
	s_add_u32 s28, s28, 16
	s_addc_u32 s29, s29, 0
	s_cmp_lg_u32 s42, s46
	s_waitcnt lgkmcnt(0)
	v_mul_hi_u32 v5, s49, v3
	s_delay_alu instid0(VALU_DEP_1) | instskip(NEXT) | instid1(VALU_DEP_1)
	v_add_nc_u32_e32 v5, v3, v5
	v_lshrrev_b32_e32 v5, s50, v5
	s_delay_alu instid0(VALU_DEP_1) | instskip(SKIP_1) | instid1(VALU_DEP_2)
	v_mul_hi_u32 v6, s52, v5
	v_mul_lo_u32 v27, v5, s48
	v_add_nc_u32_e32 v6, v5, v6
	s_delay_alu instid0(VALU_DEP_2) | instskip(NEXT) | instid1(VALU_DEP_2)
	v_sub_nc_u32_e32 v27, v3, v27
	v_lshrrev_b32_e32 v6, s53, v6
	s_delay_alu instid0(VALU_DEP_2) | instskip(NEXT) | instid1(VALU_DEP_2)
	v_mul_lo_u32 v27, v27, s60
	v_mul_hi_u32 v7, s55, v6
	v_mul_lo_u32 v28, v6, s51
	s_delay_alu instid0(VALU_DEP_2) | instskip(NEXT) | instid1(VALU_DEP_2)
	v_add_nc_u32_e32 v7, v6, v7
	v_sub_nc_u32_e32 v5, v5, v28
	s_delay_alu instid0(VALU_DEP_2) | instskip(NEXT) | instid1(VALU_DEP_2)
	v_lshrrev_b32_e32 v7, s56, v7
	v_mul_lo_u32 v5, v5, s61
	s_delay_alu instid0(VALU_DEP_2) | instskip(NEXT) | instid1(VALU_DEP_2)
	v_mul_hi_u32 v26, s58, v7
	v_add3_u32 v2, v27, v2, v5
	s_delay_alu instid0(VALU_DEP_2) | instskip(NEXT) | instid1(VALU_DEP_1)
	v_add_nc_u32_e32 v26, v7, v26
	v_lshrrev_b32_e32 v3, s59, v26
	v_mul_lo_u32 v26, v7, s54
	s_delay_alu instid0(VALU_DEP_2) | instskip(NEXT) | instid1(VALU_DEP_2)
	v_mul_lo_u32 v29, v3, s57
	v_sub_nc_u32_e32 v6, v6, v26
	s_delay_alu instid0(VALU_DEP_2) | instskip(NEXT) | instid1(VALU_DEP_2)
	v_sub_nc_u32_e32 v7, v7, v29
	v_mul_lo_u32 v6, v6, s62
	s_delay_alu instid0(VALU_DEP_2) | instskip(NEXT) | instid1(VALU_DEP_1)
	v_mul_lo_u32 v7, v7, s63
	v_add3_u32 v2, v6, v2, v7
	s_cbranch_scc1 .LBB7_6
	s_branch .LBB7_9
.LBB7_7:
                                        ; implicit-def: $vgpr2
	s_and_not1_b32 vcc_lo, exec_lo, s26
	s_cbranch_vccz .LBB7_13
	s_branch .LBB7_15
.LBB7_8:
	v_mov_b32_e32 v3, v11
.LBB7_9:
	s_and_b32 s45, s45, 3
	s_delay_alu instid0(SALU_CYCLE_1)
	s_cmp_eq_u32 s45, 0
	s_cbranch_scc1 .LBB7_12
; %bb.10:
	s_lshl_b32 s26, s42, 2
	s_mul_i32 s28, s42, 12
	s_add_u32 s26, s26, s0
	s_addc_u32 s27, s1, 0
	s_add_u32 s26, s26, 0xc4
	s_addc_u32 s27, s27, 0
	;; [unrolled: 2-line block ×3, first 2 shown]
	.p2align	6
.LBB7_11:                               ; =>This Inner Loop Header: Depth=1
	s_clause 0x1
	s_load_b64 s[46:47], s[28:29], 0x4
	s_load_b32 s42, s[28:29], 0xc
	s_add_u32 s28, s28, 12
	s_addc_u32 s29, s29, 0
	s_waitcnt lgkmcnt(0)
	v_mul_hi_u32 v5, s47, v3
	s_load_b32 s47, s[26:27], 0x0
	s_add_u32 s26, s26, 4
	s_addc_u32 s27, s27, 0
	s_add_i32 s45, s45, -1
	s_delay_alu instid0(SALU_CYCLE_1) | instskip(NEXT) | instid1(VALU_DEP_1)
	s_cmp_lg_u32 s45, 0
	v_add_nc_u32_e32 v5, v3, v5
	s_delay_alu instid0(VALU_DEP_1) | instskip(NEXT) | instid1(VALU_DEP_1)
	v_lshrrev_b32_e32 v7, s42, v5
	v_mul_lo_u32 v5, v7, s46
	s_delay_alu instid0(VALU_DEP_1) | instskip(SKIP_1) | instid1(VALU_DEP_1)
	v_sub_nc_u32_e32 v3, v3, v5
	s_waitcnt lgkmcnt(0)
	v_mad_u64_u32 v[5:6], null, v3, s47, v[2:3]
	s_delay_alu instid0(VALU_DEP_1)
	v_dual_mov_b32 v3, v7 :: v_dual_mov_b32 v2, v5
	s_cbranch_scc1 .LBB7_11
.LBB7_12:
	s_cbranch_execnz .LBB7_15
.LBB7_13:
	v_mul_hi_u32 v2, s13, v11
	s_and_not1_b32 vcc_lo, exec_lo, s38
	s_delay_alu instid0(VALU_DEP_1) | instskip(NEXT) | instid1(VALU_DEP_1)
	v_add_nc_u32_e32 v2, v11, v2
	v_lshrrev_b32_e32 v3, s14, v2
	s_delay_alu instid0(VALU_DEP_1) | instskip(NEXT) | instid1(VALU_DEP_1)
	v_mul_lo_u32 v2, v3, s12
	v_sub_nc_u32_e32 v2, v11, v2
	s_delay_alu instid0(VALU_DEP_1)
	v_mul_lo_u32 v2, v2, s20
	s_cbranch_vccnz .LBB7_15
; %bb.14:
	v_mul_hi_u32 v5, s22, v3
	s_delay_alu instid0(VALU_DEP_1) | instskip(NEXT) | instid1(VALU_DEP_1)
	v_add_nc_u32_e32 v5, v3, v5
	v_lshrrev_b32_e32 v5, s23, v5
	s_delay_alu instid0(VALU_DEP_1) | instskip(NEXT) | instid1(VALU_DEP_1)
	v_mul_lo_u32 v5, v5, s15
	v_sub_nc_u32_e32 v3, v3, v5
	s_delay_alu instid0(VALU_DEP_1) | instskip(NEXT) | instid1(VALU_DEP_1)
	v_mad_u64_u32 v[5:6], null, v3, s21, v[2:3]
	v_mov_b32_e32 v2, v5
.LBB7_15:
	v_cmp_gt_i16_e32 vcc_lo, 11, v8
	s_delay_alu instid0(VALU_DEP_2) | instskip(NEXT) | instid1(VALU_DEP_1)
	v_add_co_u32 v6, s27, s18, v2
	v_add_co_ci_u32_e64 v7, null, s19, 0, s27
	s_mov_b32 s26, 0
	s_mov_b32 s28, -1
	s_mov_b32 s27, 0
	s_cbranch_vccnz .LBB7_69
; %bb.16:
	v_cmp_lt_i16_e32 vcc_lo, 25, v8
	s_cbranch_vccz .LBB7_44
; %bb.17:
	v_cmp_lt_i16_e32 vcc_lo, 28, v8
	s_cbranch_vccz .LBB7_30
; %bb.18:
	v_cmp_lt_i16_e32 vcc_lo, 43, v8
	s_cbranch_vccz .LBB7_26
; %bb.19:
	v_cmp_lt_i16_e32 vcc_lo, 45, v8
	s_cbranch_vccz .LBB7_22
; %bb.20:
	v_cmp_eq_u16_e32 vcc_lo, 46, v8
	s_mov_b32 s28, 0
	s_mov_b32 s26, -1
	s_cbranch_vccz .LBB7_22
; %bb.21:
	s_mov_b32 s27, -1
	s_mov_b32 s26, 0
	global_store_b32 v[6:7], v14, off
.LBB7_22:
	s_and_b32 vcc_lo, exec_lo, s28
	s_cbranch_vccz .LBB7_25
; %bb.23:
	v_cmp_eq_u16_e32 vcc_lo, 44, v8
	s_mov_b32 s26, -1
	s_cbranch_vccz .LBB7_25
; %bb.24:
	v_cndmask_b32_e64 v2, v25, 0xff, s10
	s_mov_b32 s27, -1
	s_mov_b32 s26, 0
	global_store_b8 v[6:7], v2, off
.LBB7_25:
	s_mov_b32 s28, 0
.LBB7_26:
	s_delay_alu instid0(SALU_CYCLE_1)
	s_and_b32 vcc_lo, exec_lo, s28
	s_cbranch_vccz .LBB7_29
; %bb.27:
	v_cmp_eq_u16_e32 vcc_lo, 29, v8
	s_mov_b32 s26, -1
	s_cbranch_vccz .LBB7_29
; %bb.28:
	v_dual_mov_b32 v2, s16 :: v_dual_mov_b32 v3, s17
	s_mov_b32 s27, -1
	s_mov_b32 s26, 0
	global_store_b64 v[6:7], v[2:3], off
.LBB7_29:
	s_mov_b32 s28, 0
.LBB7_30:
	s_delay_alu instid0(SALU_CYCLE_1)
	s_and_b32 vcc_lo, exec_lo, s28
	s_cbranch_vccz .LBB7_43
; %bb.31:
	v_cmp_gt_i16_e32 vcc_lo, 27, v8
	s_mov_b32 s27, -1
	s_cbranch_vccnz .LBB7_37
; %bb.32:
	v_cmp_lt_i16_e32 vcc_lo, 27, v8
	s_cbranch_vccz .LBB7_34
; %bb.33:
	v_mov_b32_e32 v2, s16
	s_mov_b32 s27, 0
	global_store_b32 v[6:7], v2, off
.LBB7_34:
	s_and_not1_b32 vcc_lo, exec_lo, s27
	s_cbranch_vccnz .LBB7_36
; %bb.35:
	global_store_b16 v[6:7], v9, off
.LBB7_36:
	s_mov_b32 s27, 0
.LBB7_37:
	s_delay_alu instid0(SALU_CYCLE_1)
	s_and_not1_b32 vcc_lo, exec_lo, s27
	s_cbranch_vccnz .LBB7_42
; %bb.38:
	v_mov_b32_e32 v2, 0x80
	s_and_not1_b32 vcc_lo, exec_lo, s9
	s_cbranch_vccnz .LBB7_41
; %bb.39:
	v_mov_b32_e32 v2, 0
	s_or_b32 s27, s8, s37
	s_delay_alu instid0(SALU_CYCLE_1)
	s_and_not1_b32 vcc_lo, exec_lo, s27
	s_cbranch_vccnz .LBB7_41
; %bb.40:
	v_cndmask_b32_e64 v2, v23, v24, s8
.LBB7_41:
	global_store_b8 v[6:7], v2, off
.LBB7_42:
	s_mov_b32 s27, -1
.LBB7_43:
	s_mov_b32 s28, 0
.LBB7_44:
	s_delay_alu instid0(SALU_CYCLE_1)
	s_and_b32 vcc_lo, exec_lo, s28
	s_cbranch_vccz .LBB7_66
; %bb.45:
	v_cmp_lt_i16_e32 vcc_lo, 22, v8
	s_mov_b32 s28, -1
	s_cbranch_vccz .LBB7_58
; %bb.46:
	v_cmp_gt_i16_e32 vcc_lo, 24, v8
	s_mov_b32 s27, -1
	s_cbranch_vccnz .LBB7_55
; %bb.47:
	v_cmp_lt_i16_e32 vcc_lo, 24, v8
	s_cbranch_vccz .LBB7_52
; %bb.48:
	v_mov_b32_e32 v2, 0x80
	s_and_not1_b32 vcc_lo, exec_lo, s7
	s_cbranch_vccnz .LBB7_51
; %bb.49:
	v_mov_b32_e32 v2, 0
	s_or_b32 s27, s6, s36
	s_delay_alu instid0(SALU_CYCLE_1)
	s_and_not1_b32 vcc_lo, exec_lo, s27
	s_cbranch_vccnz .LBB7_51
; %bb.50:
	v_cndmask_b32_e64 v2, v16, v22, s6
.LBB7_51:
	s_mov_b32 s27, 0
	global_store_b8 v[6:7], v2, off
.LBB7_52:
	s_and_b32 vcc_lo, exec_lo, s27
	s_cbranch_vccz .LBB7_54
; %bb.53:
	v_cndmask_b32_e64 v2, v19, v20, s4
	s_delay_alu instid0(VALU_DEP_1)
	v_cndmask_b32_e64 v2, v2, v21, s3
	global_store_b8 v[6:7], v2, off
.LBB7_54:
	s_mov_b32 s27, 0
.LBB7_55:
	s_delay_alu instid0(SALU_CYCLE_1)
	s_and_not1_b32 vcc_lo, exec_lo, s27
	s_cbranch_vccnz .LBB7_57
; %bb.56:
	v_cndmask_b32_e64 v2, v15, v17, s5
	s_delay_alu instid0(VALU_DEP_1)
	v_cndmask_b32_e64 v2, v2, v18, s2
	global_store_b8 v[6:7], v2, off
.LBB7_57:
	s_mov_b32 s28, 0
	s_mov_b32 s27, -1
.LBB7_58:
	s_and_not1_b32 vcc_lo, exec_lo, s28
	s_cbranch_vccnz .LBB7_66
; %bb.59:
	v_cmp_lt_i16_e32 vcc_lo, 14, v8
	s_mov_b32 s28, -1
	s_cbranch_vccz .LBB7_63
; %bb.60:
	v_cmp_eq_u16_e32 vcc_lo, 15, v8
	s_mov_b32 s26, -1
	s_cbranch_vccz .LBB7_62
; %bb.61:
	s_mov_b32 s27, -1
	s_mov_b32 s26, 0
	global_store_b16 v[6:7], v14, off
.LBB7_62:
	s_mov_b32 s28, 0
.LBB7_63:
	s_delay_alu instid0(SALU_CYCLE_1)
	s_and_b32 vcc_lo, exec_lo, s28
	s_cbranch_vccz .LBB7_66
; %bb.64:
	v_cmp_eq_u16_e32 vcc_lo, 11, v8
	s_mov_b32 s26, -1
	s_cbranch_vccz .LBB7_66
; %bb.65:
	s_mov_b32 s27, -1
	s_mov_b32 s26, 0
	global_store_b8 v[6:7], v13, off
.LBB7_66:
.LBB7_67:
	s_and_not1_b32 vcc_lo, exec_lo, s27
	s_cbranch_vccnz .LBB7_108
.LBB7_68:
	v_add_nc_u32_e32 v11, 0x80, v11
	s_mov_b32 s27, -1
	s_branch .LBB7_109
.LBB7_69:
	s_and_b32 vcc_lo, exec_lo, s28
	s_cbranch_vccz .LBB7_67
; %bb.70:
	v_cmp_gt_i16_e32 vcc_lo, 5, v8
	s_mov_b32 s27, -1
	s_cbranch_vccnz .LBB7_91
; %bb.71:
	v_cmp_gt_i16_e32 vcc_lo, 8, v8
	s_cbranch_vccnz .LBB7_81
; %bb.72:
	v_cmp_gt_i16_e32 vcc_lo, 9, v8
	s_cbranch_vccnz .LBB7_78
; %bb.73:
	v_cmp_lt_i16_e32 vcc_lo, 9, v8
	s_cbranch_vccz .LBB7_75
; %bb.74:
	v_mov_b32_e32 v2, 0
	s_mov_b32 s27, 0
	s_delay_alu instid0(VALU_DEP_1)
	v_mov_b32_e32 v3, v2
	global_store_b128 v[6:7], v[0:3], off
.LBB7_75:
	s_and_not1_b32 vcc_lo, exec_lo, s27
	s_cbranch_vccnz .LBB7_77
; %bb.76:
	v_mov_b32_e32 v5, 0
	global_store_b64 v[6:7], v[4:5], off
.LBB7_77:
	s_mov_b32 s27, 0
.LBB7_78:
	s_delay_alu instid0(SALU_CYCLE_1)
	s_and_not1_b32 vcc_lo, exec_lo, s27
	s_cbranch_vccnz .LBB7_80
; %bb.79:
	global_store_b32 v[6:7], v12, off
.LBB7_80:
	s_mov_b32 s27, 0
.LBB7_81:
	s_delay_alu instid0(SALU_CYCLE_1)
	s_and_not1_b32 vcc_lo, exec_lo, s27
	s_cbranch_vccnz .LBB7_90
; %bb.82:
	v_cmp_gt_i16_e32 vcc_lo, 6, v8
	s_mov_b32 s27, -1
	s_cbranch_vccnz .LBB7_88
; %bb.83:
	v_cmp_lt_i16_e32 vcc_lo, 6, v8
	s_cbranch_vccz .LBB7_85
; %bb.84:
	s_mov_b32 s27, 0
	global_store_b64 v[6:7], v[0:1], off
.LBB7_85:
	s_and_not1_b32 vcc_lo, exec_lo, s27
	s_cbranch_vccnz .LBB7_87
; %bb.86:
	global_store_b32 v[6:7], v4, off
.LBB7_87:
	s_mov_b32 s27, 0
.LBB7_88:
	s_delay_alu instid0(SALU_CYCLE_1)
	s_and_not1_b32 vcc_lo, exec_lo, s27
	s_cbranch_vccnz .LBB7_90
; %bb.89:
	global_store_b16 v[6:7], v10, off
.LBB7_90:
	s_mov_b32 s27, 0
.LBB7_91:
	s_delay_alu instid0(SALU_CYCLE_1)
	s_and_not1_b32 vcc_lo, exec_lo, s27
	s_cbranch_vccnz .LBB7_107
; %bb.92:
	v_cmp_gt_i16_e32 vcc_lo, 2, v8
	s_mov_b32 s27, -1
	s_cbranch_vccnz .LBB7_102
; %bb.93:
	v_cmp_gt_i16_e32 vcc_lo, 3, v8
	s_cbranch_vccnz .LBB7_99
; %bb.94:
	v_cmp_lt_i16_e32 vcc_lo, 3, v8
	s_cbranch_vccz .LBB7_96
; %bb.95:
	v_dual_mov_b32 v2, s16 :: v_dual_mov_b32 v3, s17
	s_mov_b32 s27, 0
	global_store_b64 v[6:7], v[2:3], off
.LBB7_96:
	s_and_not1_b32 vcc_lo, exec_lo, s27
	s_cbranch_vccnz .LBB7_98
; %bb.97:
	v_mov_b32_e32 v2, s16
	global_store_b32 v[6:7], v2, off
.LBB7_98:
	s_mov_b32 s27, 0
.LBB7_99:
	s_delay_alu instid0(SALU_CYCLE_1)
	s_and_not1_b32 vcc_lo, exec_lo, s27
	s_cbranch_vccnz .LBB7_101
; %bb.100:
	global_store_b16 v[6:7], v9, off
.LBB7_101:
	s_mov_b32 s27, 0
.LBB7_102:
	s_delay_alu instid0(SALU_CYCLE_1)
	s_and_not1_b32 vcc_lo, exec_lo, s27
	s_cbranch_vccnz .LBB7_107
; %bb.103:
	v_cmp_lt_i16_e32 vcc_lo, 0, v8
	s_mov_b32 s27, -1
	s_cbranch_vccz .LBB7_105
; %bb.104:
	v_mov_b32_e32 v2, s35
	s_mov_b32 s27, 0
	global_store_b8 v[6:7], v2, off
.LBB7_105:
	s_and_not1_b32 vcc_lo, exec_lo, s27
	s_cbranch_vccnz .LBB7_107
; %bb.106:
	v_mov_b32_e32 v2, s35
	global_store_b8 v[6:7], v2, off
.LBB7_107:
	s_branch .LBB7_68
.LBB7_108:
	s_mov_b32 s27, 0
                                        ; implicit-def: $vgpr11
.LBB7_109:
	s_and_b32 s42, s26, exec_lo
	s_or_not1_b32 s26, s27, exec_lo
.LBB7_110:
	s_or_b32 exec_lo, exec_lo, s43
	s_mov_b32 s27, 0
                                        ; implicit-def: $vgpr6_vgpr7
	s_and_saveexec_b32 s43, s26
	s_cbranch_execz .LBB7_117
; %bb.111:
	s_mov_b32 s28, -1
	s_mov_b32 s44, s42
	s_mov_b32 s45, exec_lo
	v_cmpx_gt_i32_e64 s39, v11
	s_cbranch_execz .LBB7_362
; %bb.112:
	s_and_not1_b32 vcc_lo, exec_lo, s33
	s_cbranch_vccnz .LBB7_240
; %bb.113:
	v_mov_b32_e32 v2, 0
	s_and_not1_b32 vcc_lo, exec_lo, s41
	s_cbranch_vccnz .LBB7_245
; %bb.114:
	s_add_i32 s46, s40, 1
	s_cmp_eq_u32 s30, 2
	s_mov_b32 s44, 0
	s_cbranch_scc1 .LBB7_241
; %bb.115:
	v_dual_mov_b32 v2, 0 :: v_dual_mov_b32 v3, v11
	s_and_b32 s44, s46, 28
	s_mov_b32 s47, 0
	s_mov_b64 s[26:27], s[0:1]
	s_mov_b64 s[28:29], s[24:25]
.LBB7_116:                              ; =>This Inner Loop Header: Depth=1
	s_clause 0x1
	s_load_b256 s[48:55], s[26:27], 0x4
	s_load_b128 s[56:59], s[26:27], 0x24
	s_load_b128 s[60:63], s[28:29], 0x0
	s_add_u32 s26, s26, 48
	s_addc_u32 s27, s27, 0
	s_add_i32 s47, s47, 4
	s_add_u32 s28, s28, 16
	s_addc_u32 s29, s29, 0
	s_cmp_eq_u32 s44, s47
	s_waitcnt lgkmcnt(0)
	v_mul_hi_u32 v5, s49, v3
	s_delay_alu instid0(VALU_DEP_1) | instskip(NEXT) | instid1(VALU_DEP_1)
	v_add_nc_u32_e32 v5, v3, v5
	v_lshrrev_b32_e32 v5, s50, v5
	s_delay_alu instid0(VALU_DEP_1) | instskip(SKIP_1) | instid1(VALU_DEP_2)
	v_mul_hi_u32 v6, s52, v5
	v_mul_lo_u32 v27, v5, s48
	v_add_nc_u32_e32 v6, v5, v6
	s_delay_alu instid0(VALU_DEP_2) | instskip(NEXT) | instid1(VALU_DEP_2)
	v_sub_nc_u32_e32 v27, v3, v27
	v_lshrrev_b32_e32 v6, s53, v6
	s_delay_alu instid0(VALU_DEP_2) | instskip(NEXT) | instid1(VALU_DEP_2)
	v_mul_lo_u32 v27, v27, s60
	v_mul_hi_u32 v7, s55, v6
	v_mul_lo_u32 v28, v6, s51
	s_delay_alu instid0(VALU_DEP_2) | instskip(NEXT) | instid1(VALU_DEP_2)
	v_add_nc_u32_e32 v7, v6, v7
	v_sub_nc_u32_e32 v5, v5, v28
	s_delay_alu instid0(VALU_DEP_2) | instskip(NEXT) | instid1(VALU_DEP_2)
	v_lshrrev_b32_e32 v7, s56, v7
	v_mul_lo_u32 v5, v5, s61
	s_delay_alu instid0(VALU_DEP_2) | instskip(NEXT) | instid1(VALU_DEP_2)
	v_mul_hi_u32 v26, s58, v7
	v_add3_u32 v2, v27, v2, v5
	s_delay_alu instid0(VALU_DEP_2) | instskip(NEXT) | instid1(VALU_DEP_1)
	v_add_nc_u32_e32 v26, v7, v26
	v_lshrrev_b32_e32 v3, s59, v26
	v_mul_lo_u32 v26, v7, s54
	s_delay_alu instid0(VALU_DEP_2) | instskip(NEXT) | instid1(VALU_DEP_2)
	v_mul_lo_u32 v29, v3, s57
	v_sub_nc_u32_e32 v6, v6, v26
	s_delay_alu instid0(VALU_DEP_2) | instskip(NEXT) | instid1(VALU_DEP_2)
	v_sub_nc_u32_e32 v7, v7, v29
	v_mul_lo_u32 v6, v6, s62
	s_delay_alu instid0(VALU_DEP_2) | instskip(NEXT) | instid1(VALU_DEP_1)
	v_mul_lo_u32 v7, v7, s63
	v_add3_u32 v2, v6, v2, v7
	s_cbranch_scc0 .LBB7_116
	s_branch .LBB7_242
.LBB7_117:
	s_or_b32 exec_lo, exec_lo, s43
	s_mov_b32 s2, 0
	s_and_saveexec_b32 s3, s42
	s_cbranch_execnz .LBB7_677
.LBB7_118:
	s_or_b32 exec_lo, exec_lo, s3
	s_and_saveexec_b32 s3, s44
	s_delay_alu instid0(SALU_CYCLE_1)
	s_xor_b32 s3, exec_lo, s3
	s_cbranch_execz .LBB7_120
.LBB7_119:
	global_store_b8 v[6:7], v13, off
.LBB7_120:
	s_or_b32 exec_lo, exec_lo, s3
	s_and_saveexec_b32 s3, s27
	s_delay_alu instid0(SALU_CYCLE_1)
	s_xor_b32 s3, exec_lo, s3
	s_cbranch_execz .LBB7_158
; %bb.121:
	v_cmp_gt_i16_e32 vcc_lo, 5, v8
	s_mov_b32 s4, -1
	s_cbranch_vccnz .LBB7_142
; %bb.122:
	v_cmp_gt_i16_e32 vcc_lo, 8, v8
	s_cbranch_vccnz .LBB7_132
; %bb.123:
	v_cmp_gt_i16_e32 vcc_lo, 9, v8
	s_cbranch_vccnz .LBB7_129
; %bb.124:
	v_cmp_lt_i16_e32 vcc_lo, 9, v8
	s_cbranch_vccz .LBB7_126
; %bb.125:
	v_mov_b32_e32 v2, 0
	s_mov_b32 s4, 0
	s_delay_alu instid0(VALU_DEP_1)
	v_mov_b32_e32 v3, v2
	global_store_b128 v[6:7], v[0:3], off
.LBB7_126:
	s_and_not1_b32 vcc_lo, exec_lo, s4
	s_cbranch_vccnz .LBB7_128
; %bb.127:
	v_mov_b32_e32 v5, 0
	global_store_b64 v[6:7], v[4:5], off
.LBB7_128:
	s_mov_b32 s4, 0
.LBB7_129:
	s_delay_alu instid0(SALU_CYCLE_1)
	s_and_not1_b32 vcc_lo, exec_lo, s4
	s_cbranch_vccnz .LBB7_131
; %bb.130:
	global_store_b32 v[6:7], v12, off
.LBB7_131:
	s_mov_b32 s4, 0
.LBB7_132:
	s_delay_alu instid0(SALU_CYCLE_1)
	s_and_not1_b32 vcc_lo, exec_lo, s4
	s_cbranch_vccnz .LBB7_141
; %bb.133:
	v_cmp_gt_i16_e32 vcc_lo, 6, v8
	s_mov_b32 s4, -1
	s_cbranch_vccnz .LBB7_139
; %bb.134:
	v_cmp_lt_i16_e32 vcc_lo, 6, v8
	s_cbranch_vccz .LBB7_136
; %bb.135:
	s_mov_b32 s4, 0
	global_store_b64 v[6:7], v[0:1], off
.LBB7_136:
	s_and_not1_b32 vcc_lo, exec_lo, s4
	s_cbranch_vccnz .LBB7_138
; %bb.137:
	global_store_b32 v[6:7], v4, off
.LBB7_138:
	s_mov_b32 s4, 0
.LBB7_139:
	s_delay_alu instid0(SALU_CYCLE_1)
	s_and_not1_b32 vcc_lo, exec_lo, s4
	s_cbranch_vccnz .LBB7_141
; %bb.140:
	global_store_b16 v[6:7], v10, off
.LBB7_141:
	s_mov_b32 s4, 0
.LBB7_142:
	s_delay_alu instid0(SALU_CYCLE_1)
	s_and_not1_b32 vcc_lo, exec_lo, s4
	s_cbranch_vccnz .LBB7_158
; %bb.143:
	v_cmp_gt_i16_e32 vcc_lo, 2, v8
	s_mov_b32 s4, -1
	s_cbranch_vccnz .LBB7_153
; %bb.144:
	v_cmp_gt_i16_e32 vcc_lo, 3, v8
	s_cbranch_vccnz .LBB7_150
; %bb.145:
	v_cmp_lt_i16_e32 vcc_lo, 3, v8
	s_cbranch_vccz .LBB7_147
; %bb.146:
	v_dual_mov_b32 v0, s16 :: v_dual_mov_b32 v1, s17
	s_mov_b32 s4, 0
	global_store_b64 v[6:7], v[0:1], off
.LBB7_147:
	s_and_not1_b32 vcc_lo, exec_lo, s4
	s_cbranch_vccnz .LBB7_149
; %bb.148:
	v_mov_b32_e32 v0, s16
	global_store_b32 v[6:7], v0, off
.LBB7_149:
	s_mov_b32 s4, 0
.LBB7_150:
	s_delay_alu instid0(SALU_CYCLE_1)
	s_and_not1_b32 vcc_lo, exec_lo, s4
	s_cbranch_vccnz .LBB7_152
; %bb.151:
	global_store_b16 v[6:7], v9, off
.LBB7_152:
	s_mov_b32 s4, 0
.LBB7_153:
	s_delay_alu instid0(SALU_CYCLE_1)
	s_and_not1_b32 vcc_lo, exec_lo, s4
	s_cbranch_vccnz .LBB7_158
; %bb.154:
	v_cmp_lt_i16_e32 vcc_lo, 0, v8
	s_mov_b32 s4, -1
	s_cbranch_vccz .LBB7_156
; %bb.155:
	v_mov_b32_e32 v0, s35
	s_mov_b32 s4, 0
	global_store_b8 v[6:7], v0, off
.LBB7_156:
	s_and_not1_b32 vcc_lo, exec_lo, s4
	s_cbranch_vccnz .LBB7_158
; %bb.157:
	v_mov_b32_e32 v0, s35
	global_store_b8 v[6:7], v0, off
.LBB7_158:
	s_or_b32 exec_lo, exec_lo, s3
	s_delay_alu instid0(SALU_CYCLE_1)
	s_and_b32 s6, s2, exec_lo
                                        ; implicit-def: $vgpr4
                                        ; implicit-def: $vgpr11
.LBB7_159:
	s_or_saveexec_b32 s7, s34
	s_mov_b32 s5, 0
                                        ; implicit-def: $vgpr5
                                        ; implicit-def: $vgpr0_vgpr1
                                        ; implicit-def: $sgpr2
	s_xor_b32 exec_lo, exec_lo, s7
	s_cbranch_execz .LBB7_925
; %bb.160:
	v_cndmask_b32_e64 v0, 0, 1, s33
	s_and_not1_b32 vcc_lo, exec_lo, s33
	s_cbranch_vccnz .LBB7_166
; %bb.161:
	v_mov_b32_e32 v3, 0
	s_cmp_eq_u32 s11, 0
	s_mov_b32 s8, 0
	s_cbranch_scc1 .LBB7_170
; %bb.162:
	s_min_u32 s9, s30, 15
	v_mov_b32_e32 v3, 0
	s_add_i32 s9, s9, 1
	s_cmp_eq_u32 s30, 2
	s_mov_b32 s10, 0
	s_cbranch_scc1 .LBB7_167
; %bb.163:
	v_mov_b32_e32 v3, 0
	v_mov_b32_e32 v1, v11
	s_add_u32 s2, s0, 0xc4
	s_addc_u32 s3, s1, 0
	s_and_b32 s10, s9, 28
	s_mov_b32 s12, 0
	s_mov_b64 s[4:5], s[0:1]
.LBB7_164:                              ; =>This Inner Loop Header: Depth=1
	s_clause 0x1
	s_load_b256 s[16:23], s[4:5], 0x4
	s_load_b128 s[24:27], s[4:5], 0x24
	s_load_b128 s[36:39], s[2:3], 0x0
	s_add_u32 s4, s4, 48
	s_addc_u32 s5, s5, 0
	s_add_i32 s12, s12, 4
	s_add_u32 s2, s2, 16
	s_addc_u32 s3, s3, 0
	s_cmp_lg_u32 s10, s12
	s_waitcnt lgkmcnt(0)
	v_mul_hi_u32 v2, s17, v1
	s_delay_alu instid0(VALU_DEP_1) | instskip(NEXT) | instid1(VALU_DEP_1)
	v_add_nc_u32_e32 v2, v1, v2
	v_lshrrev_b32_e32 v2, s18, v2
	s_delay_alu instid0(VALU_DEP_1) | instskip(SKIP_1) | instid1(VALU_DEP_2)
	v_mul_hi_u32 v5, s20, v2
	v_mul_lo_u32 v8, v2, s16
	v_add_nc_u32_e32 v5, v2, v5
	s_delay_alu instid0(VALU_DEP_2) | instskip(NEXT) | instid1(VALU_DEP_2)
	v_sub_nc_u32_e32 v8, v1, v8
	v_lshrrev_b32_e32 v5, s21, v5
	s_delay_alu instid0(VALU_DEP_2) | instskip(NEXT) | instid1(VALU_DEP_2)
	v_mul_lo_u32 v8, v8, s36
	v_mul_hi_u32 v6, s23, v5
	v_mul_lo_u32 v9, v5, s19
	s_delay_alu instid0(VALU_DEP_2) | instskip(NEXT) | instid1(VALU_DEP_2)
	v_add_nc_u32_e32 v6, v5, v6
	v_sub_nc_u32_e32 v2, v2, v9
	s_delay_alu instid0(VALU_DEP_2) | instskip(NEXT) | instid1(VALU_DEP_2)
	v_lshrrev_b32_e32 v6, s24, v6
	v_mul_lo_u32 v2, v2, s37
	s_delay_alu instid0(VALU_DEP_2) | instskip(NEXT) | instid1(VALU_DEP_2)
	v_mul_hi_u32 v7, s26, v6
	v_add3_u32 v2, v8, v3, v2
	s_delay_alu instid0(VALU_DEP_2) | instskip(NEXT) | instid1(VALU_DEP_1)
	v_add_nc_u32_e32 v7, v6, v7
	v_lshrrev_b32_e32 v1, s27, v7
	v_mul_lo_u32 v7, v6, s22
	s_delay_alu instid0(VALU_DEP_2) | instskip(NEXT) | instid1(VALU_DEP_2)
	v_mul_lo_u32 v10, v1, s25
	v_sub_nc_u32_e32 v5, v5, v7
	s_delay_alu instid0(VALU_DEP_2) | instskip(NEXT) | instid1(VALU_DEP_2)
	v_sub_nc_u32_e32 v6, v6, v10
	v_mul_lo_u32 v5, v5, s38
	s_delay_alu instid0(VALU_DEP_2) | instskip(NEXT) | instid1(VALU_DEP_1)
	v_mul_lo_u32 v6, v6, s39
	v_add3_u32 v3, v5, v2, v6
	s_cbranch_scc1 .LBB7_164
; %bb.165:
	s_and_b32 s9, s9, 3
	s_delay_alu instid0(SALU_CYCLE_1)
	s_cmp_eq_u32 s9, 0
	s_cbranch_scc0 .LBB7_168
	s_branch .LBB7_170
.LBB7_166:
	s_mov_b32 s8, -1
                                        ; implicit-def: $vgpr3
	s_branch .LBB7_170
.LBB7_167:
	v_mov_b32_e32 v1, v11
	s_and_b32 s9, s9, 3
	s_delay_alu instid0(SALU_CYCLE_1)
	s_cmp_eq_u32 s9, 0
	s_cbranch_scc1 .LBB7_170
.LBB7_168:
	s_lshl_b32 s2, s10, 2
	s_mul_i32 s4, s10, 12
	s_add_u32 s2, s2, s0
	s_addc_u32 s3, 0, s1
	s_add_u32 s2, s2, 0xc4
	s_addc_u32 s3, s3, 0
	;; [unrolled: 2-line block ×3, first 2 shown]
	.p2align	6
.LBB7_169:                              ; =>This Inner Loop Header: Depth=1
	s_clause 0x1
	s_load_b64 s[12:13], s[4:5], 0x4
	s_load_b32 s10, s[4:5], 0xc
	s_add_u32 s4, s4, 12
	s_addc_u32 s5, s5, 0
	s_waitcnt lgkmcnt(0)
	v_mul_hi_u32 v2, s13, v1
	s_load_b32 s13, s[2:3], 0x0
	s_add_u32 s2, s2, 4
	s_addc_u32 s3, s3, 0
	s_add_i32 s9, s9, -1
	s_delay_alu instid0(SALU_CYCLE_1) | instskip(NEXT) | instid1(VALU_DEP_1)
	s_cmp_lg_u32 s9, 0
	v_add_nc_u32_e32 v2, v1, v2
	s_delay_alu instid0(VALU_DEP_1) | instskip(NEXT) | instid1(VALU_DEP_1)
	v_lshrrev_b32_e32 v2, s10, v2
	v_mul_lo_u32 v5, v2, s12
	s_delay_alu instid0(VALU_DEP_1) | instskip(SKIP_1) | instid1(VALU_DEP_1)
	v_sub_nc_u32_e32 v1, v1, v5
	s_waitcnt lgkmcnt(0)
	v_mad_u64_u32 v[5:6], null, v1, s13, v[3:4]
	v_mov_b32_e32 v1, v2
	s_delay_alu instid0(VALU_DEP_2)
	v_mov_b32_e32 v3, v5
	s_cbranch_scc1 .LBB7_169
.LBB7_170:
	s_and_not1_b32 vcc_lo, exec_lo, s8
	s_cbranch_vccnz .LBB7_173
; %bb.171:
	s_clause 0x1
	s_load_b128 s[12:15], s[0:1], 0x4
	s_load_b32 s2, s[0:1], 0xc4
	s_cmp_lt_u32 s11, 2
	s_waitcnt lgkmcnt(0)
	v_mul_hi_u32 v1, s13, v11
	s_delay_alu instid0(VALU_DEP_1) | instskip(NEXT) | instid1(VALU_DEP_1)
	v_add_nc_u32_e32 v1, v11, v1
	v_lshrrev_b32_e32 v1, s14, v1
	s_delay_alu instid0(VALU_DEP_1) | instskip(NEXT) | instid1(VALU_DEP_1)
	v_mul_lo_u32 v2, v1, s12
	v_sub_nc_u32_e32 v2, v11, v2
	s_delay_alu instid0(VALU_DEP_1)
	v_mul_lo_u32 v3, v2, s2
	s_cbranch_scc1 .LBB7_173
; %bb.172:
	s_clause 0x1
	s_load_b128 s[12:15], s[0:1], 0x10
	s_load_b32 s2, s[0:1], 0xc8
	s_waitcnt lgkmcnt(0)
	v_mul_hi_u32 v2, s13, v1
	s_delay_alu instid0(VALU_DEP_1) | instskip(NEXT) | instid1(VALU_DEP_1)
	v_add_nc_u32_e32 v2, v1, v2
	v_lshrrev_b32_e32 v2, s14, v2
	s_delay_alu instid0(VALU_DEP_1) | instskip(NEXT) | instid1(VALU_DEP_1)
	v_mul_lo_u32 v2, v2, s12
	v_sub_nc_u32_e32 v5, v1, v2
	s_delay_alu instid0(VALU_DEP_1) | instskip(NEXT) | instid1(VALU_DEP_1)
	v_mad_u64_u32 v[1:2], null, v5, s2, v[3:4]
	v_mov_b32_e32 v3, v1
.LBB7_173:
	v_cmp_ne_u32_e32 vcc_lo, 1, v0
	v_add_nc_u32_e32 v1, 0x80, v11
	s_cbranch_vccnz .LBB7_179
; %bb.174:
	v_mov_b32_e32 v2, 0
	s_cmp_eq_u32 s11, 0
	s_mov_b32 s8, 0
	s_cbranch_scc1 .LBB7_183
; %bb.175:
	s_min_u32 s9, s30, 15
	v_mov_b32_e32 v2, 0
	s_add_i32 s9, s9, 1
	s_cmp_eq_u32 s30, 2
	s_mov_b32 s10, 0
	s_cbranch_scc1 .LBB7_180
; %bb.176:
	v_dual_mov_b32 v2, 0 :: v_dual_mov_b32 v5, v1
	s_add_u32 s2, s0, 0xc4
	s_addc_u32 s3, s1, 0
	s_and_b32 s10, s9, 28
	s_mov_b32 s12, 0
	s_mov_b64 s[4:5], s[0:1]
.LBB7_177:                              ; =>This Inner Loop Header: Depth=1
	s_clause 0x1
	s_load_b256 s[16:23], s[4:5], 0x4
	s_load_b128 s[24:27], s[4:5], 0x24
	s_load_b128 s[36:39], s[2:3], 0x0
	s_add_u32 s4, s4, 48
	s_addc_u32 s5, s5, 0
	s_add_i32 s12, s12, 4
	s_add_u32 s2, s2, 16
	s_addc_u32 s3, s3, 0
	s_cmp_lg_u32 s10, s12
	s_waitcnt lgkmcnt(0)
	v_mul_hi_u32 v6, s17, v5
	s_delay_alu instid0(VALU_DEP_1) | instskip(NEXT) | instid1(VALU_DEP_1)
	v_add_nc_u32_e32 v6, v5, v6
	v_lshrrev_b32_e32 v6, s18, v6
	s_delay_alu instid0(VALU_DEP_1) | instskip(SKIP_1) | instid1(VALU_DEP_2)
	v_mul_hi_u32 v7, s20, v6
	v_mul_lo_u32 v10, v6, s16
	v_add_nc_u32_e32 v7, v6, v7
	s_delay_alu instid0(VALU_DEP_2) | instskip(NEXT) | instid1(VALU_DEP_2)
	v_sub_nc_u32_e32 v10, v5, v10
	v_lshrrev_b32_e32 v7, s21, v7
	s_delay_alu instid0(VALU_DEP_2) | instskip(NEXT) | instid1(VALU_DEP_2)
	v_mul_lo_u32 v10, v10, s36
	v_mul_hi_u32 v8, s23, v7
	v_mul_lo_u32 v12, v7, s19
	s_delay_alu instid0(VALU_DEP_2) | instskip(NEXT) | instid1(VALU_DEP_2)
	v_add_nc_u32_e32 v8, v7, v8
	v_sub_nc_u32_e32 v6, v6, v12
	s_delay_alu instid0(VALU_DEP_2) | instskip(NEXT) | instid1(VALU_DEP_2)
	v_lshrrev_b32_e32 v8, s24, v8
	v_mul_lo_u32 v6, v6, s37
	s_delay_alu instid0(VALU_DEP_2) | instskip(NEXT) | instid1(VALU_DEP_2)
	v_mul_hi_u32 v9, s26, v8
	v_add3_u32 v2, v10, v2, v6
	s_delay_alu instid0(VALU_DEP_2) | instskip(NEXT) | instid1(VALU_DEP_1)
	v_add_nc_u32_e32 v9, v8, v9
	v_lshrrev_b32_e32 v5, s27, v9
	v_mul_lo_u32 v9, v8, s22
	s_delay_alu instid0(VALU_DEP_2) | instskip(NEXT) | instid1(VALU_DEP_2)
	v_mul_lo_u32 v13, v5, s25
	v_sub_nc_u32_e32 v7, v7, v9
	s_delay_alu instid0(VALU_DEP_2) | instskip(NEXT) | instid1(VALU_DEP_2)
	v_sub_nc_u32_e32 v8, v8, v13
	v_mul_lo_u32 v7, v7, s38
	s_delay_alu instid0(VALU_DEP_2) | instskip(NEXT) | instid1(VALU_DEP_1)
	v_mul_lo_u32 v8, v8, s39
	v_add3_u32 v2, v7, v2, v8
	s_cbranch_scc1 .LBB7_177
; %bb.178:
	s_and_b32 s9, s9, 3
	s_delay_alu instid0(SALU_CYCLE_1)
	s_cmp_eq_u32 s9, 0
	s_cbranch_scc0 .LBB7_181
	s_branch .LBB7_183
.LBB7_179:
	s_mov_b32 s8, -1
                                        ; implicit-def: $vgpr2
	s_branch .LBB7_183
.LBB7_180:
	v_mov_b32_e32 v5, v1
	s_and_b32 s9, s9, 3
	s_delay_alu instid0(SALU_CYCLE_1)
	s_cmp_eq_u32 s9, 0
	s_cbranch_scc1 .LBB7_183
.LBB7_181:
	s_lshl_b32 s2, s10, 2
	s_mul_i32 s4, s10, 12
	s_add_u32 s2, s2, s0
	s_addc_u32 s3, 0, s1
	s_add_u32 s2, s2, 0xc4
	s_addc_u32 s3, s3, 0
	;; [unrolled: 2-line block ×3, first 2 shown]
	.p2align	6
.LBB7_182:                              ; =>This Inner Loop Header: Depth=1
	s_clause 0x1
	s_load_b64 s[12:13], s[4:5], 0x4
	s_load_b32 s10, s[4:5], 0xc
	s_add_u32 s4, s4, 12
	s_addc_u32 s5, s5, 0
	s_waitcnt lgkmcnt(0)
	v_mul_hi_u32 v6, s13, v5
	s_load_b32 s13, s[2:3], 0x0
	s_add_u32 s2, s2, 4
	s_addc_u32 s3, s3, 0
	s_add_i32 s9, s9, -1
	s_delay_alu instid0(SALU_CYCLE_1) | instskip(NEXT) | instid1(VALU_DEP_1)
	s_cmp_lg_u32 s9, 0
	v_add_nc_u32_e32 v6, v5, v6
	s_delay_alu instid0(VALU_DEP_1) | instskip(NEXT) | instid1(VALU_DEP_1)
	v_lshrrev_b32_e32 v8, s10, v6
	v_mul_lo_u32 v6, v8, s12
	s_delay_alu instid0(VALU_DEP_1) | instskip(SKIP_1) | instid1(VALU_DEP_1)
	v_sub_nc_u32_e32 v5, v5, v6
	s_waitcnt lgkmcnt(0)
	v_mad_u64_u32 v[6:7], null, v5, s13, v[2:3]
	s_delay_alu instid0(VALU_DEP_1)
	v_dual_mov_b32 v5, v8 :: v_dual_mov_b32 v2, v6
	s_cbranch_scc1 .LBB7_182
.LBB7_183:
	s_and_not1_b32 vcc_lo, exec_lo, s8
	s_cbranch_vccnz .LBB7_186
; %bb.184:
	s_clause 0x1
	s_load_b128 s[12:15], s[0:1], 0x4
	s_load_b32 s2, s[0:1], 0xc4
	s_cmp_lt_u32 s11, 2
	s_waitcnt lgkmcnt(0)
	v_mul_hi_u32 v2, s13, v1
	s_delay_alu instid0(VALU_DEP_1) | instskip(NEXT) | instid1(VALU_DEP_1)
	v_add_nc_u32_e32 v2, v1, v2
	v_lshrrev_b32_e32 v5, s14, v2
	s_delay_alu instid0(VALU_DEP_1) | instskip(NEXT) | instid1(VALU_DEP_1)
	v_mul_lo_u32 v2, v5, s12
	v_sub_nc_u32_e32 v1, v1, v2
	s_delay_alu instid0(VALU_DEP_1)
	v_mul_lo_u32 v2, v1, s2
	s_cbranch_scc1 .LBB7_186
; %bb.185:
	s_clause 0x1
	s_load_b128 s[12:15], s[0:1], 0x10
	s_load_b32 s2, s[0:1], 0xc8
	s_waitcnt lgkmcnt(0)
	v_mul_hi_u32 v1, s13, v5
	s_delay_alu instid0(VALU_DEP_1) | instskip(NEXT) | instid1(VALU_DEP_1)
	v_add_nc_u32_e32 v1, v5, v1
	v_lshrrev_b32_e32 v1, s14, v1
	s_delay_alu instid0(VALU_DEP_1) | instskip(NEXT) | instid1(VALU_DEP_1)
	v_mul_lo_u32 v1, v1, s12
	v_sub_nc_u32_e32 v1, v5, v1
	s_delay_alu instid0(VALU_DEP_1) | instskip(NEXT) | instid1(VALU_DEP_1)
	v_mad_u64_u32 v[5:6], null, v1, s2, v[2:3]
	v_mov_b32_e32 v2, v5
.LBB7_186:
	v_cmp_ne_u32_e32 vcc_lo, 1, v0
	v_add_nc_u32_e32 v5, 0x100, v11
	s_cbranch_vccnz .LBB7_192
; %bb.187:
	v_mov_b32_e32 v1, 0
	s_cmp_eq_u32 s11, 0
	s_mov_b32 s8, 0
	s_cbranch_scc1 .LBB7_196
; %bb.188:
	s_min_u32 s9, s30, 15
	v_mov_b32_e32 v1, 0
	s_add_i32 s9, s9, 1
	s_cmp_eq_u32 s30, 2
	s_mov_b32 s10, 0
	s_cbranch_scc1 .LBB7_193
; %bb.189:
	v_dual_mov_b32 v1, 0 :: v_dual_mov_b32 v6, v5
	s_add_u32 s2, s0, 0xc4
	s_addc_u32 s3, s1, 0
	s_and_b32 s10, s9, 28
	s_mov_b32 s12, 0
	s_mov_b64 s[4:5], s[0:1]
.LBB7_190:                              ; =>This Inner Loop Header: Depth=1
	s_clause 0x1
	s_load_b256 s[16:23], s[4:5], 0x4
	s_load_b128 s[24:27], s[4:5], 0x24
	s_load_b128 s[36:39], s[2:3], 0x0
	s_add_u32 s4, s4, 48
	s_addc_u32 s5, s5, 0
	s_add_i32 s12, s12, 4
	s_add_u32 s2, s2, 16
	s_addc_u32 s3, s3, 0
	s_cmp_lg_u32 s10, s12
	s_waitcnt lgkmcnt(0)
	v_mul_hi_u32 v7, s17, v6
	s_delay_alu instid0(VALU_DEP_1) | instskip(NEXT) | instid1(VALU_DEP_1)
	v_add_nc_u32_e32 v7, v6, v7
	v_lshrrev_b32_e32 v7, s18, v7
	s_delay_alu instid0(VALU_DEP_1) | instskip(SKIP_1) | instid1(VALU_DEP_2)
	v_mul_hi_u32 v8, s20, v7
	v_mul_lo_u32 v11, v7, s16
	v_add_nc_u32_e32 v8, v7, v8
	s_delay_alu instid0(VALU_DEP_2) | instskip(NEXT) | instid1(VALU_DEP_2)
	v_sub_nc_u32_e32 v11, v6, v11
	v_lshrrev_b32_e32 v8, s21, v8
	s_delay_alu instid0(VALU_DEP_2) | instskip(NEXT) | instid1(VALU_DEP_2)
	v_mul_lo_u32 v11, v11, s36
	v_mul_hi_u32 v9, s23, v8
	v_mul_lo_u32 v12, v8, s19
	s_delay_alu instid0(VALU_DEP_2) | instskip(NEXT) | instid1(VALU_DEP_2)
	v_add_nc_u32_e32 v9, v8, v9
	v_sub_nc_u32_e32 v7, v7, v12
	s_delay_alu instid0(VALU_DEP_2) | instskip(NEXT) | instid1(VALU_DEP_2)
	v_lshrrev_b32_e32 v9, s24, v9
	v_mul_lo_u32 v7, v7, s37
	s_delay_alu instid0(VALU_DEP_2) | instskip(NEXT) | instid1(VALU_DEP_2)
	v_mul_hi_u32 v10, s26, v9
	v_add3_u32 v1, v11, v1, v7
	s_delay_alu instid0(VALU_DEP_2) | instskip(NEXT) | instid1(VALU_DEP_1)
	v_add_nc_u32_e32 v10, v9, v10
	v_lshrrev_b32_e32 v6, s27, v10
	v_mul_lo_u32 v10, v9, s22
	s_delay_alu instid0(VALU_DEP_2) | instskip(NEXT) | instid1(VALU_DEP_2)
	v_mul_lo_u32 v13, v6, s25
	v_sub_nc_u32_e32 v8, v8, v10
	s_delay_alu instid0(VALU_DEP_2) | instskip(NEXT) | instid1(VALU_DEP_2)
	v_sub_nc_u32_e32 v9, v9, v13
	v_mul_lo_u32 v8, v8, s38
	s_delay_alu instid0(VALU_DEP_2) | instskip(NEXT) | instid1(VALU_DEP_1)
	v_mul_lo_u32 v9, v9, s39
	v_add3_u32 v1, v8, v1, v9
	s_cbranch_scc1 .LBB7_190
; %bb.191:
	s_and_b32 s9, s9, 3
	s_delay_alu instid0(SALU_CYCLE_1)
	s_cmp_eq_u32 s9, 0
	s_cbranch_scc0 .LBB7_194
	s_branch .LBB7_196
.LBB7_192:
	s_mov_b32 s8, -1
                                        ; implicit-def: $vgpr1
	s_branch .LBB7_196
.LBB7_193:
	v_mov_b32_e32 v6, v5
	s_and_b32 s9, s9, 3
	s_delay_alu instid0(SALU_CYCLE_1)
	s_cmp_eq_u32 s9, 0
	s_cbranch_scc1 .LBB7_196
.LBB7_194:
	s_lshl_b32 s2, s10, 2
	s_mul_i32 s4, s10, 12
	s_add_u32 s2, s2, s0
	s_addc_u32 s3, 0, s1
	s_add_u32 s2, s2, 0xc4
	s_addc_u32 s3, s3, 0
	;; [unrolled: 2-line block ×3, first 2 shown]
	.p2align	6
.LBB7_195:                              ; =>This Inner Loop Header: Depth=1
	s_clause 0x1
	s_load_b64 s[12:13], s[4:5], 0x4
	s_load_b32 s10, s[4:5], 0xc
	s_add_u32 s4, s4, 12
	s_addc_u32 s5, s5, 0
	s_waitcnt lgkmcnt(0)
	v_mul_hi_u32 v7, s13, v6
	s_load_b32 s13, s[2:3], 0x0
	s_add_u32 s2, s2, 4
	s_addc_u32 s3, s3, 0
	s_add_i32 s9, s9, -1
	s_delay_alu instid0(SALU_CYCLE_1) | instskip(NEXT) | instid1(VALU_DEP_1)
	s_cmp_lg_u32 s9, 0
	v_add_nc_u32_e32 v7, v6, v7
	s_delay_alu instid0(VALU_DEP_1) | instskip(NEXT) | instid1(VALU_DEP_1)
	v_lshrrev_b32_e32 v9, s10, v7
	v_mul_lo_u32 v7, v9, s12
	s_delay_alu instid0(VALU_DEP_1) | instskip(SKIP_1) | instid1(VALU_DEP_1)
	v_sub_nc_u32_e32 v6, v6, v7
	s_waitcnt lgkmcnt(0)
	v_mad_u64_u32 v[7:8], null, v6, s13, v[1:2]
	s_delay_alu instid0(VALU_DEP_1)
	v_dual_mov_b32 v6, v9 :: v_dual_mov_b32 v1, v7
	s_cbranch_scc1 .LBB7_195
.LBB7_196:
	s_and_not1_b32 vcc_lo, exec_lo, s8
	s_cbranch_vccnz .LBB7_199
; %bb.197:
	s_clause 0x1
	s_load_b128 s[12:15], s[0:1], 0x4
	s_load_b32 s2, s[0:1], 0xc4
	s_cmp_lt_u32 s11, 2
	s_waitcnt lgkmcnt(0)
	v_mul_hi_u32 v1, s13, v5
	s_delay_alu instid0(VALU_DEP_1) | instskip(NEXT) | instid1(VALU_DEP_1)
	v_add_nc_u32_e32 v1, v5, v1
	v_lshrrev_b32_e32 v6, s14, v1
	s_delay_alu instid0(VALU_DEP_1) | instskip(NEXT) | instid1(VALU_DEP_1)
	v_mul_lo_u32 v1, v6, s12
	v_sub_nc_u32_e32 v1, v5, v1
	s_delay_alu instid0(VALU_DEP_1)
	v_mul_lo_u32 v1, v1, s2
	s_cbranch_scc1 .LBB7_199
; %bb.198:
	s_clause 0x1
	s_load_b128 s[12:15], s[0:1], 0x10
	s_load_b32 s2, s[0:1], 0xc8
	s_waitcnt lgkmcnt(0)
	v_mul_hi_u32 v5, s13, v6
	s_delay_alu instid0(VALU_DEP_1) | instskip(NEXT) | instid1(VALU_DEP_1)
	v_add_nc_u32_e32 v5, v6, v5
	v_lshrrev_b32_e32 v5, s14, v5
	s_delay_alu instid0(VALU_DEP_1) | instskip(NEXT) | instid1(VALU_DEP_1)
	v_mul_lo_u32 v5, v5, s12
	v_sub_nc_u32_e32 v7, v6, v5
	s_delay_alu instid0(VALU_DEP_1) | instskip(NEXT) | instid1(VALU_DEP_1)
	v_mad_u64_u32 v[5:6], null, v7, s2, v[1:2]
	v_mov_b32_e32 v1, v5
.LBB7_199:
	v_cmp_ne_u32_e32 vcc_lo, 1, v0
	s_cbranch_vccnz .LBB7_205
; %bb.200:
	v_mov_b32_e32 v0, 0
	s_cmp_eq_u32 s11, 0
	s_mov_b32 s8, 0
	s_cbranch_scc1 .LBB7_209
; %bb.201:
	s_min_u32 s9, s30, 15
	v_mov_b32_e32 v0, 0
	s_add_i32 s9, s9, 1
	s_cmp_eq_u32 s30, 2
	s_mov_b32 s10, 0
	s_cbranch_scc1 .LBB7_206
; %bb.202:
	v_dual_mov_b32 v0, 0 :: v_dual_mov_b32 v5, v4
	s_add_u32 s2, s0, 0xc4
	s_addc_u32 s3, s1, 0
	s_and_b32 s10, s9, 28
	s_mov_b32 s12, 0
	s_mov_b64 s[4:5], s[0:1]
.LBB7_203:                              ; =>This Inner Loop Header: Depth=1
	s_clause 0x1
	s_load_b256 s[16:23], s[4:5], 0x4
	s_load_b128 s[24:27], s[4:5], 0x24
	s_load_b128 s[28:31], s[2:3], 0x0
	s_add_u32 s4, s4, 48
	s_addc_u32 s5, s5, 0
	s_add_i32 s12, s12, 4
	s_add_u32 s2, s2, 16
	s_addc_u32 s3, s3, 0
	s_cmp_lg_u32 s10, s12
	s_waitcnt lgkmcnt(0)
	v_mul_hi_u32 v6, s17, v5
	s_delay_alu instid0(VALU_DEP_1) | instskip(NEXT) | instid1(VALU_DEP_1)
	v_add_nc_u32_e32 v6, v5, v6
	v_lshrrev_b32_e32 v6, s18, v6
	s_delay_alu instid0(VALU_DEP_1) | instskip(SKIP_1) | instid1(VALU_DEP_2)
	v_mul_hi_u32 v7, s20, v6
	v_mul_lo_u32 v10, v6, s16
	v_add_nc_u32_e32 v7, v6, v7
	s_delay_alu instid0(VALU_DEP_2) | instskip(NEXT) | instid1(VALU_DEP_2)
	v_sub_nc_u32_e32 v10, v5, v10
	v_lshrrev_b32_e32 v7, s21, v7
	s_delay_alu instid0(VALU_DEP_2) | instskip(NEXT) | instid1(VALU_DEP_2)
	v_mul_lo_u32 v10, v10, s28
	v_mul_hi_u32 v8, s23, v7
	v_mul_lo_u32 v11, v7, s19
	s_delay_alu instid0(VALU_DEP_2) | instskip(NEXT) | instid1(VALU_DEP_2)
	v_add_nc_u32_e32 v8, v7, v8
	v_sub_nc_u32_e32 v6, v6, v11
	s_delay_alu instid0(VALU_DEP_2) | instskip(NEXT) | instid1(VALU_DEP_2)
	v_lshrrev_b32_e32 v8, s24, v8
	v_mul_lo_u32 v6, v6, s29
	s_delay_alu instid0(VALU_DEP_2) | instskip(NEXT) | instid1(VALU_DEP_2)
	v_mul_hi_u32 v9, s26, v8
	v_add3_u32 v0, v10, v0, v6
	s_delay_alu instid0(VALU_DEP_2) | instskip(NEXT) | instid1(VALU_DEP_1)
	v_add_nc_u32_e32 v9, v8, v9
	v_lshrrev_b32_e32 v5, s27, v9
	v_mul_lo_u32 v9, v8, s22
	s_delay_alu instid0(VALU_DEP_2) | instskip(NEXT) | instid1(VALU_DEP_2)
	v_mul_lo_u32 v12, v5, s25
	v_sub_nc_u32_e32 v7, v7, v9
	s_delay_alu instid0(VALU_DEP_2) | instskip(NEXT) | instid1(VALU_DEP_2)
	v_sub_nc_u32_e32 v8, v8, v12
	v_mul_lo_u32 v7, v7, s30
	s_delay_alu instid0(VALU_DEP_2) | instskip(NEXT) | instid1(VALU_DEP_1)
	v_mul_lo_u32 v8, v8, s31
	v_add3_u32 v0, v7, v0, v8
	s_cbranch_scc1 .LBB7_203
; %bb.204:
	s_and_b32 s9, s9, 3
	s_delay_alu instid0(SALU_CYCLE_1)
	s_cmp_eq_u32 s9, 0
	s_cbranch_scc0 .LBB7_207
	s_branch .LBB7_209
.LBB7_205:
	s_mov_b32 s8, -1
                                        ; implicit-def: $vgpr0
	s_branch .LBB7_209
.LBB7_206:
	v_mov_b32_e32 v5, v4
	s_and_b32 s9, s9, 3
	s_delay_alu instid0(SALU_CYCLE_1)
	s_cmp_eq_u32 s9, 0
	s_cbranch_scc1 .LBB7_209
.LBB7_207:
	s_lshl_b32 s2, s10, 2
	s_mul_i32 s4, s10, 12
	s_add_u32 s2, s2, s0
	s_addc_u32 s3, 0, s1
	s_add_u32 s2, s2, 0xc4
	s_addc_u32 s3, s3, 0
	;; [unrolled: 2-line block ×3, first 2 shown]
	.p2align	6
.LBB7_208:                              ; =>This Inner Loop Header: Depth=1
	s_clause 0x1
	s_load_b64 s[12:13], s[4:5], 0x4
	s_load_b32 s10, s[4:5], 0xc
	s_add_u32 s4, s4, 12
	s_addc_u32 s5, s5, 0
	s_waitcnt lgkmcnt(0)
	v_mul_hi_u32 v6, s13, v5
	s_load_b32 s13, s[2:3], 0x0
	s_add_u32 s2, s2, 4
	s_addc_u32 s3, s3, 0
	s_add_i32 s9, s9, -1
	s_delay_alu instid0(SALU_CYCLE_1) | instskip(NEXT) | instid1(VALU_DEP_1)
	s_cmp_lg_u32 s9, 0
	v_add_nc_u32_e32 v6, v5, v6
	s_delay_alu instid0(VALU_DEP_1) | instskip(NEXT) | instid1(VALU_DEP_1)
	v_lshrrev_b32_e32 v8, s10, v6
	v_mul_lo_u32 v6, v8, s12
	s_delay_alu instid0(VALU_DEP_1) | instskip(SKIP_1) | instid1(VALU_DEP_1)
	v_sub_nc_u32_e32 v5, v5, v6
	s_waitcnt lgkmcnt(0)
	v_mad_u64_u32 v[6:7], null, v5, s13, v[0:1]
	s_delay_alu instid0(VALU_DEP_1)
	v_dual_mov_b32 v5, v8 :: v_dual_mov_b32 v0, v6
	s_cbranch_scc1 .LBB7_208
.LBB7_209:
	s_and_not1_b32 vcc_lo, exec_lo, s8
	s_cbranch_vccnz .LBB7_212
; %bb.210:
	s_clause 0x1
	s_load_b128 s[12:15], s[0:1], 0x4
	s_load_b32 s2, s[0:1], 0xc4
	s_cmp_lt_u32 s11, 2
	s_waitcnt lgkmcnt(0)
	v_mul_hi_u32 v0, s13, v4
	s_delay_alu instid0(VALU_DEP_1) | instskip(NEXT) | instid1(VALU_DEP_1)
	v_add_nc_u32_e32 v0, v4, v0
	v_lshrrev_b32_e32 v5, s14, v0
	s_delay_alu instid0(VALU_DEP_1) | instskip(NEXT) | instid1(VALU_DEP_1)
	v_mul_lo_u32 v0, v5, s12
	v_sub_nc_u32_e32 v0, v4, v0
	s_delay_alu instid0(VALU_DEP_1)
	v_mul_lo_u32 v0, v0, s2
	s_cbranch_scc1 .LBB7_212
; %bb.211:
	s_clause 0x1
	s_load_b128 s[8:11], s[0:1], 0x10
	s_load_b32 s2, s[0:1], 0xc8
	s_waitcnt lgkmcnt(0)
	v_mul_hi_u32 v4, s9, v5
	s_delay_alu instid0(VALU_DEP_1) | instskip(NEXT) | instid1(VALU_DEP_1)
	v_add_nc_u32_e32 v4, v5, v4
	v_lshrrev_b32_e32 v4, s10, v4
	s_delay_alu instid0(VALU_DEP_1) | instskip(NEXT) | instid1(VALU_DEP_1)
	v_mul_lo_u32 v4, v4, s8
	v_sub_nc_u32_e32 v6, v5, v4
	s_delay_alu instid0(VALU_DEP_1) | instskip(NEXT) | instid1(VALU_DEP_1)
	v_mad_u64_u32 v[4:5], null, v6, s2, v[0:1]
	v_mov_b32_e32 v0, v4
.LBB7_212:
	s_clause 0x1
	s_load_b32 s2, s[0:1], 0x110
	s_load_b64 s[0:1], s[0:1], 0x108
	s_mov_b32 s5, 0
	s_mov_b32 s4, -1
	s_waitcnt lgkmcnt(0)
	v_lshrrev_b16 v5, 8, s2
	v_add_co_u32 v3, s3, s0, v3
	s_delay_alu instid0(VALU_DEP_1) | instskip(NEXT) | instid1(VALU_DEP_3)
	v_add_co_ci_u32_e64 v4, null, s1, 0, s3
	v_cmp_gt_i16_e32 vcc_lo, 11, v5
	s_mov_b32 s3, s6
	s_cbranch_vccnz .LBB7_471
; %bb.213:
	v_cmp_lt_i16_e32 vcc_lo, 25, v5
	s_mov_b32 s8, -1
	s_mov_b32 s4, 0
	s_mov_b32 s3, 0
	s_cbranch_vccz .LBB7_306
; %bb.214:
	v_cmp_lt_i16_e32 vcc_lo, 28, v5
	s_cbranch_vccz .LBB7_229
; %bb.215:
	v_cmp_lt_i16_e32 vcc_lo, 43, v5
	s_cbranch_vccz .LBB7_225
; %bb.216:
	v_cmp_lt_i16_e32 vcc_lo, 45, v5
	s_cbranch_vccz .LBB7_219
; %bb.217:
	v_cmp_eq_u16_e32 vcc_lo, 46, v5
	s_mov_b32 s3, -1
	s_mov_b32 s8, 0
	s_cbranch_vccz .LBB7_219
; %bb.218:
	v_cvt_f32_ubyte0_e32 v6, s2
	s_mov_b32 s3, 0
	s_mov_b32 s5, -1
	s_delay_alu instid0(VALU_DEP_1) | instskip(NEXT) | instid1(VALU_DEP_1)
	v_bfe_u32 v7, v6, 16, 1
	v_add_nc_u32_e32 v6, v6, v7
	s_delay_alu instid0(VALU_DEP_1) | instskip(NEXT) | instid1(VALU_DEP_1)
	v_add_nc_u32_e32 v6, 0x7fff, v6
	v_lshrrev_b32_e32 v6, 16, v6
	global_store_b32 v[3:4], v6, off
.LBB7_219:
	s_and_b32 vcc_lo, exec_lo, s8
	s_cbranch_vccz .LBB7_224
; %bb.220:
	v_cmp_eq_u16_e32 vcc_lo, 44, v5
	s_mov_b32 s3, -1
	s_cbranch_vccz .LBB7_224
; %bb.221:
	v_cvt_f32_ubyte0_e32 v6, s2
	s_delay_alu instid0(VALU_DEP_1) | instskip(SKIP_1) | instid1(VALU_DEP_2)
	v_readfirstlane_b32 s5, v6
	v_mov_b32_e32 v6, 0xff
	s_lshr_b32 s3, s5, 23
	s_delay_alu instid0(SALU_CYCLE_1)
	s_cmpk_eq_i32 s3, 0xff
	s_cbranch_scc1 .LBB7_223
; %bb.222:
	s_bitcmp1_b32 s5, 22
	s_cselect_b32 s8, -1, 0
	s_and_b32 s5, s5, 0x3fffff
	s_delay_alu instid0(SALU_CYCLE_1) | instskip(NEXT) | instid1(SALU_CYCLE_1)
	s_or_b32 s5, s3, s5
	s_cmp_lg_u32 s5, 0
	s_cselect_b32 s5, -1, 0
	s_delay_alu instid0(SALU_CYCLE_1) | instskip(NEXT) | instid1(SALU_CYCLE_1)
	s_and_b32 s5, s8, s5
	v_cndmask_b32_e64 v6, 0, 1, s5
	s_delay_alu instid0(VALU_DEP_1)
	v_add_nc_u32_e32 v6, s3, v6
.LBB7_223:
	s_mov_b32 s3, 0
	s_mov_b32 s5, -1
	global_store_b8 v[3:4], v6, off
.LBB7_224:
	s_mov_b32 s8, 0
.LBB7_225:
	s_delay_alu instid0(SALU_CYCLE_1)
	s_and_b32 vcc_lo, exec_lo, s8
	s_cbranch_vccz .LBB7_228
; %bb.226:
	v_cmp_eq_u16_e32 vcc_lo, 29, v5
	s_mov_b32 s3, -1
	s_cbranch_vccz .LBB7_228
; %bb.227:
	s_and_b32 s3, s2, 0xff
	s_mov_b32 s5, -1
	v_dual_mov_b32 v6, s3 :: v_dual_mov_b32 v7, 0
	s_mov_b32 s3, 0
	global_store_b64 v[3:4], v[6:7], off
.LBB7_228:
	s_mov_b32 s8, 0
.LBB7_229:
	s_delay_alu instid0(SALU_CYCLE_1)
	s_and_b32 vcc_lo, exec_lo, s8
	s_cbranch_vccz .LBB7_305
; %bb.230:
	v_cmp_gt_i16_e32 vcc_lo, 27, v5
	s_mov_b32 s5, -1
	s_cbranch_vccnz .LBB7_236
; %bb.231:
	v_cmp_lt_i16_e32 vcc_lo, 27, v5
	s_cbranch_vccz .LBB7_233
; %bb.232:
	s_and_b32 s5, s2, 0xff
	s_delay_alu instid0(SALU_CYCLE_1)
	v_mov_b32_e32 v6, s5
	s_mov_b32 s5, 0
	global_store_b32 v[3:4], v6, off
.LBB7_233:
	s_and_not1_b32 vcc_lo, exec_lo, s5
	s_cbranch_vccnz .LBB7_235
; %bb.234:
	v_and_b32_e64 v6, 0xff, s2
	global_store_b16 v[3:4], v6, off
.LBB7_235:
	s_mov_b32 s5, 0
.LBB7_236:
	s_delay_alu instid0(SALU_CYCLE_1)
	s_and_not1_b32 vcc_lo, exec_lo, s5
	s_cbranch_vccnz .LBB7_304
; %bb.237:
	v_cvt_f32_ubyte0_e32 v6, s2
	v_mov_b32_e32 v8, 0x80
	s_delay_alu instid0(VALU_DEP_2)
	v_cmp_lt_u32_e32 vcc_lo, 0x437fffff, v6
	v_readfirstlane_b32 s5, v6
	s_cbranch_vccnz .LBB7_303
; %bb.238:
	s_delay_alu instid0(VALU_DEP_1)
	s_cmp_gt_u32 s5, 0x3bffffff
	s_cbranch_scc0 .LBB7_298
; %bb.239:
	s_bfe_u32 s8, s5, 0x10014
	s_delay_alu instid0(SALU_CYCLE_1) | instskip(SKIP_2) | instid1(SALU_CYCLE_1)
	s_add_i32 s5, s5, s8
	s_mov_b32 s8, 0
	s_add_i32 s5, s5, 0x487ffff
	s_lshr_b32 s9, s5, 20
	s_mov_b32 s5, -1
	s_branch .LBB7_299
.LBB7_240:
                                        ; implicit-def: $vgpr2
	s_branch .LBB7_246
.LBB7_241:
	v_mov_b32_e32 v3, v11
.LBB7_242:
	s_and_b32 s46, s46, 3
	s_delay_alu instid0(SALU_CYCLE_1)
	s_cmp_eq_u32 s46, 0
	s_cbranch_scc1 .LBB7_245
; %bb.243:
	s_lshl_b32 s26, s44, 2
	s_mul_i32 s28, s44, 12
	s_add_u32 s26, s26, s0
	s_addc_u32 s27, s1, 0
	s_add_u32 s26, s26, 0xc4
	s_addc_u32 s27, s27, 0
	;; [unrolled: 2-line block ×3, first 2 shown]
	.p2align	6
.LBB7_244:                              ; =>This Inner Loop Header: Depth=1
	s_clause 0x1
	s_load_b64 s[48:49], s[28:29], 0x4
	s_load_b32 s44, s[28:29], 0xc
	s_load_b32 s47, s[26:27], 0x0
	s_add_u32 s28, s28, 12
	s_addc_u32 s29, s29, 0
	s_add_u32 s26, s26, 4
	s_addc_u32 s27, s27, 0
	s_add_i32 s46, s46, -1
	s_delay_alu instid0(SALU_CYCLE_1) | instskip(SKIP_2) | instid1(VALU_DEP_1)
	s_cmp_lg_u32 s46, 0
	s_waitcnt lgkmcnt(0)
	v_mul_hi_u32 v5, s49, v3
	v_add_nc_u32_e32 v5, v3, v5
	s_delay_alu instid0(VALU_DEP_1) | instskip(NEXT) | instid1(VALU_DEP_1)
	v_lshrrev_b32_e32 v7, s44, v5
	v_mul_lo_u32 v5, v7, s48
	s_delay_alu instid0(VALU_DEP_1) | instskip(NEXT) | instid1(VALU_DEP_1)
	v_sub_nc_u32_e32 v3, v3, v5
	v_mad_u64_u32 v[5:6], null, v3, s47, v[2:3]
	s_delay_alu instid0(VALU_DEP_1)
	v_dual_mov_b32 v3, v7 :: v_dual_mov_b32 v2, v5
	s_cbranch_scc1 .LBB7_244
.LBB7_245:
	s_cbranch_execnz .LBB7_248
.LBB7_246:
	v_mul_hi_u32 v2, s13, v11
	s_and_not1_b32 vcc_lo, exec_lo, s38
	s_delay_alu instid0(VALU_DEP_1) | instskip(NEXT) | instid1(VALU_DEP_1)
	v_add_nc_u32_e32 v2, v11, v2
	v_lshrrev_b32_e32 v3, s14, v2
	s_delay_alu instid0(VALU_DEP_1) | instskip(NEXT) | instid1(VALU_DEP_1)
	v_mul_lo_u32 v2, v3, s12
	v_sub_nc_u32_e32 v2, v11, v2
	s_delay_alu instid0(VALU_DEP_1)
	v_mul_lo_u32 v2, v2, s20
	s_cbranch_vccnz .LBB7_248
; %bb.247:
	v_mul_hi_u32 v5, s22, v3
	s_delay_alu instid0(VALU_DEP_1) | instskip(NEXT) | instid1(VALU_DEP_1)
	v_add_nc_u32_e32 v5, v3, v5
	v_lshrrev_b32_e32 v5, s23, v5
	s_delay_alu instid0(VALU_DEP_1) | instskip(NEXT) | instid1(VALU_DEP_1)
	v_mul_lo_u32 v5, v5, s15
	v_sub_nc_u32_e32 v3, v3, v5
	s_delay_alu instid0(VALU_DEP_1) | instskip(NEXT) | instid1(VALU_DEP_1)
	v_mad_u64_u32 v[5:6], null, v3, s21, v[2:3]
	v_mov_b32_e32 v2, v5
.LBB7_248:
	v_cmp_gt_i16_e32 vcc_lo, 11, v8
	s_delay_alu instid0(VALU_DEP_2) | instskip(NEXT) | instid1(VALU_DEP_1)
	v_add_co_u32 v6, s26, s18, v2
	v_add_co_ci_u32_e64 v7, null, s19, 0, s26
	s_mov_b32 s27, 0
	s_mov_b32 s28, -1
	s_mov_b32 s26, s42
	s_cbranch_vccnz .LBB7_255
; %bb.249:
	v_cmp_lt_i16_e32 vcc_lo, 25, v8
	s_cbranch_vccz .LBB7_295
; %bb.250:
	v_cmp_lt_i16_e32 vcc_lo, 28, v8
	s_cbranch_vccz .LBB7_296
	;; [unrolled: 3-line block ×4, first 2 shown]
; %bb.253:
	v_cmp_eq_u16_e32 vcc_lo, 46, v8
	s_mov_b32 s28, 0
	s_mov_b32 s26, -1
	s_cbranch_vccz .LBB7_314
; %bb.254:
	s_mov_b32 s27, -1
	s_mov_b32 s26, 0
	global_store_b32 v[6:7], v14, off
	s_branch .LBB7_314
.LBB7_255:
	s_and_b32 vcc_lo, exec_lo, s28
	s_cbranch_vccz .LBB7_359
; %bb.256:
	v_cmp_gt_i16_e32 vcc_lo, 5, v8
	s_mov_b32 s27, -1
	s_cbranch_vccnz .LBB7_277
; %bb.257:
	v_cmp_gt_i16_e32 vcc_lo, 8, v8
	s_cbranch_vccnz .LBB7_267
; %bb.258:
	v_cmp_gt_i16_e32 vcc_lo, 9, v8
	s_cbranch_vccnz .LBB7_264
; %bb.259:
	v_cmp_lt_i16_e32 vcc_lo, 9, v8
	s_cbranch_vccz .LBB7_261
; %bb.260:
	v_mov_b32_e32 v2, 0
	s_mov_b32 s27, 0
	s_delay_alu instid0(VALU_DEP_1)
	v_mov_b32_e32 v3, v2
	global_store_b128 v[6:7], v[0:3], off
.LBB7_261:
	s_and_not1_b32 vcc_lo, exec_lo, s27
	s_cbranch_vccnz .LBB7_263
; %bb.262:
	v_mov_b32_e32 v5, 0
	global_store_b64 v[6:7], v[4:5], off
.LBB7_263:
	s_mov_b32 s27, 0
.LBB7_264:
	s_delay_alu instid0(SALU_CYCLE_1)
	s_and_not1_b32 vcc_lo, exec_lo, s27
	s_cbranch_vccnz .LBB7_266
; %bb.265:
	global_store_b32 v[6:7], v12, off
.LBB7_266:
	s_mov_b32 s27, 0
.LBB7_267:
	s_delay_alu instid0(SALU_CYCLE_1)
	s_and_not1_b32 vcc_lo, exec_lo, s27
	s_cbranch_vccnz .LBB7_276
; %bb.268:
	v_cmp_gt_i16_e32 vcc_lo, 6, v8
	s_mov_b32 s27, -1
	s_cbranch_vccnz .LBB7_274
; %bb.269:
	v_cmp_lt_i16_e32 vcc_lo, 6, v8
	s_cbranch_vccz .LBB7_271
; %bb.270:
	s_mov_b32 s27, 0
	global_store_b64 v[6:7], v[0:1], off
.LBB7_271:
	s_and_not1_b32 vcc_lo, exec_lo, s27
	s_cbranch_vccnz .LBB7_273
; %bb.272:
	global_store_b32 v[6:7], v4, off
.LBB7_273:
	s_mov_b32 s27, 0
.LBB7_274:
	s_delay_alu instid0(SALU_CYCLE_1)
	s_and_not1_b32 vcc_lo, exec_lo, s27
	s_cbranch_vccnz .LBB7_276
; %bb.275:
	global_store_b16 v[6:7], v10, off
.LBB7_276:
	s_mov_b32 s27, 0
.LBB7_277:
	s_delay_alu instid0(SALU_CYCLE_1)
	s_and_not1_b32 vcc_lo, exec_lo, s27
	s_cbranch_vccnz .LBB7_293
; %bb.278:
	v_cmp_gt_i16_e32 vcc_lo, 2, v8
	s_mov_b32 s27, -1
	s_cbranch_vccnz .LBB7_288
; %bb.279:
	v_cmp_gt_i16_e32 vcc_lo, 3, v8
	s_cbranch_vccnz .LBB7_285
; %bb.280:
	v_cmp_lt_i16_e32 vcc_lo, 3, v8
	s_cbranch_vccz .LBB7_282
; %bb.281:
	v_dual_mov_b32 v2, s16 :: v_dual_mov_b32 v3, s17
	s_mov_b32 s27, 0
	global_store_b64 v[6:7], v[2:3], off
.LBB7_282:
	s_and_not1_b32 vcc_lo, exec_lo, s27
	s_cbranch_vccnz .LBB7_284
; %bb.283:
	v_mov_b32_e32 v2, s16
	global_store_b32 v[6:7], v2, off
.LBB7_284:
	s_mov_b32 s27, 0
.LBB7_285:
	s_delay_alu instid0(SALU_CYCLE_1)
	s_and_not1_b32 vcc_lo, exec_lo, s27
	s_cbranch_vccnz .LBB7_287
; %bb.286:
	global_store_b16 v[6:7], v9, off
.LBB7_287:
	s_mov_b32 s27, 0
.LBB7_288:
	s_delay_alu instid0(SALU_CYCLE_1)
	s_and_not1_b32 vcc_lo, exec_lo, s27
	s_cbranch_vccnz .LBB7_293
; %bb.289:
	v_cmp_lt_i16_e32 vcc_lo, 0, v8
	s_mov_b32 s27, -1
	s_cbranch_vccz .LBB7_291
; %bb.290:
	v_mov_b32_e32 v2, s35
	s_mov_b32 s27, 0
	global_store_b8 v[6:7], v2, off
.LBB7_291:
	s_and_not1_b32 vcc_lo, exec_lo, s27
	s_cbranch_vccnz .LBB7_293
; %bb.292:
	v_mov_b32_e32 v2, s35
	global_store_b8 v[6:7], v2, off
.LBB7_293:
	s_branch .LBB7_360
.LBB7_294:
	s_mov_b32 s27, 0
                                        ; implicit-def: $vgpr11
	s_branch .LBB7_361
.LBB7_295:
	s_mov_b32 s26, s42
	s_branch .LBB7_336
.LBB7_296:
	s_mov_b32 s26, s42
	s_branch .LBB7_322
.LBB7_297:
	s_mov_b32 s26, s42
	s_branch .LBB7_318
.LBB7_298:
	s_mov_b32 s8, -1
	s_mov_b32 s5, 0
                                        ; implicit-def: $sgpr9
.LBB7_299:
	v_mov_b32_e32 v7, s9
	s_and_not1_b32 vcc_lo, exec_lo, s8
                                        ; implicit-def: $sgpr8
	s_cbranch_vccnz .LBB7_301
; %bb.300:
	v_add_f32_e32 v6, 0x46000000, v6
	s_mov_b32 s8, 0
	s_delay_alu instid0(VALU_DEP_1) | instskip(NEXT) | instid1(VALU_DEP_1)
	v_and_b32_e32 v7, 0xff, v6
	v_cmp_ne_u32_e64 s5, 0, v7
.LBB7_301:
	v_mov_b32_e32 v8, s8
	s_delay_alu instid0(VALU_DEP_2)
	s_and_not1_b32 vcc_lo, exec_lo, s5
	s_cbranch_vccnz .LBB7_303
; %bb.302:
	v_mov_b32_e32 v8, v7
.LBB7_303:
	global_store_b8 v[3:4], v8, off
.LBB7_304:
	s_mov_b32 s5, -1
.LBB7_305:
	s_mov_b32 s8, 0
.LBB7_306:
	s_delay_alu instid0(SALU_CYCLE_1)
	s_and_b32 vcc_lo, exec_lo, s8
	s_cbranch_vccz .LBB7_467
; %bb.307:
	v_cmp_lt_i16_e32 vcc_lo, 22, v5
	s_mov_b32 s4, -1
	s_cbranch_vccz .LBB7_460
; %bb.308:
	v_cmp_gt_i16_e32 vcc_lo, 24, v5
	s_cbranch_vccnz .LBB7_447
; %bb.309:
	v_cmp_lt_i16_e32 vcc_lo, 24, v5
	s_cbranch_vccz .LBB7_434
; %bb.310:
	v_cvt_f32_ubyte0_e32 v6, s2
	v_mov_b32_e32 v8, 0x80
	s_delay_alu instid0(VALU_DEP_2)
	v_cmp_lt_u32_e32 vcc_lo, 0x477fffff, v6
	v_readfirstlane_b32 s4, v6
	s_cbranch_vccnz .LBB7_433
; %bb.311:
	s_delay_alu instid0(VALU_DEP_1)
	s_cmp_gt_u32 s4, 0x37ffffff
	s_cbranch_scc0 .LBB7_428
; %bb.312:
	s_bfe_u32 s5, s4, 0x10015
	s_delay_alu instid0(SALU_CYCLE_1) | instskip(SKIP_2) | instid1(SALU_CYCLE_1)
	s_add_i32 s4, s4, s5
	s_mov_b32 s5, 0
	s_add_i32 s4, s4, 0x88fffff
	s_lshr_b32 s8, s4, 21
	s_mov_b32 s4, -1
	s_branch .LBB7_429
.LBB7_313:
	s_mov_b32 s26, s42
.LBB7_314:
	s_and_b32 vcc_lo, exec_lo, s28
	s_cbranch_vccz .LBB7_317
; %bb.315:
	v_cmp_eq_u16_e32 vcc_lo, 44, v8
	s_mov_b32 s26, -1
	s_cbranch_vccz .LBB7_317
; %bb.316:
	v_cndmask_b32_e64 v2, v25, 0xff, s10
	s_mov_b32 s27, -1
	s_mov_b32 s26, 0
	global_store_b8 v[6:7], v2, off
.LBB7_317:
	s_mov_b32 s28, 0
.LBB7_318:
	s_delay_alu instid0(SALU_CYCLE_1)
	s_and_b32 vcc_lo, exec_lo, s28
	s_cbranch_vccz .LBB7_321
; %bb.319:
	v_cmp_eq_u16_e32 vcc_lo, 29, v8
	s_mov_b32 s26, -1
	s_cbranch_vccz .LBB7_321
; %bb.320:
	v_dual_mov_b32 v2, s16 :: v_dual_mov_b32 v3, s17
	s_mov_b32 s27, -1
	s_mov_b32 s26, 0
	s_mov_b32 s28, 0
	global_store_b64 v[6:7], v[2:3], off
	s_branch .LBB7_322
.LBB7_321:
	s_mov_b32 s28, 0
.LBB7_322:
	s_delay_alu instid0(SALU_CYCLE_1)
	s_and_b32 vcc_lo, exec_lo, s28
	s_cbranch_vccz .LBB7_335
; %bb.323:
	v_cmp_gt_i16_e32 vcc_lo, 27, v8
	s_mov_b32 s27, -1
	s_cbranch_vccnz .LBB7_329
; %bb.324:
	v_cmp_lt_i16_e32 vcc_lo, 27, v8
	s_cbranch_vccz .LBB7_326
; %bb.325:
	v_mov_b32_e32 v2, s16
	s_mov_b32 s27, 0
	global_store_b32 v[6:7], v2, off
.LBB7_326:
	s_and_not1_b32 vcc_lo, exec_lo, s27
	s_cbranch_vccnz .LBB7_328
; %bb.327:
	global_store_b16 v[6:7], v9, off
.LBB7_328:
	s_mov_b32 s27, 0
.LBB7_329:
	s_delay_alu instid0(SALU_CYCLE_1)
	s_and_not1_b32 vcc_lo, exec_lo, s27
	s_cbranch_vccnz .LBB7_334
; %bb.330:
	v_mov_b32_e32 v2, 0x80
	s_and_not1_b32 vcc_lo, exec_lo, s9
	s_cbranch_vccnz .LBB7_333
; %bb.331:
	v_mov_b32_e32 v2, 0
	s_or_b32 s27, s8, s37
	s_delay_alu instid0(SALU_CYCLE_1)
	s_and_not1_b32 vcc_lo, exec_lo, s27
	s_cbranch_vccnz .LBB7_333
; %bb.332:
	v_cndmask_b32_e64 v2, v23, v24, s8
.LBB7_333:
	global_store_b8 v[6:7], v2, off
.LBB7_334:
	s_mov_b32 s27, -1
.LBB7_335:
	s_mov_b32 s28, 0
.LBB7_336:
	s_delay_alu instid0(SALU_CYCLE_1)
	s_and_b32 vcc_lo, exec_lo, s28
	s_cbranch_vccz .LBB7_358
; %bb.337:
	v_cmp_lt_i16_e32 vcc_lo, 22, v8
	s_mov_b32 s28, -1
	s_cbranch_vccz .LBB7_350
; %bb.338:
	v_cmp_gt_i16_e32 vcc_lo, 24, v8
	s_mov_b32 s27, -1
	s_cbranch_vccnz .LBB7_347
; %bb.339:
	v_cmp_lt_i16_e32 vcc_lo, 24, v8
	s_cbranch_vccz .LBB7_344
; %bb.340:
	v_mov_b32_e32 v2, 0x80
	s_and_not1_b32 vcc_lo, exec_lo, s7
	s_cbranch_vccnz .LBB7_343
; %bb.341:
	v_mov_b32_e32 v2, 0
	s_or_b32 s27, s6, s36
	s_delay_alu instid0(SALU_CYCLE_1)
	s_and_not1_b32 vcc_lo, exec_lo, s27
	s_cbranch_vccnz .LBB7_343
; %bb.342:
	v_cndmask_b32_e64 v2, v16, v22, s6
.LBB7_343:
	s_mov_b32 s27, 0
	global_store_b8 v[6:7], v2, off
.LBB7_344:
	s_and_b32 vcc_lo, exec_lo, s27
	s_cbranch_vccz .LBB7_346
; %bb.345:
	v_cndmask_b32_e64 v2, v19, v20, s4
	s_delay_alu instid0(VALU_DEP_1)
	v_cndmask_b32_e64 v2, v2, v21, s3
	global_store_b8 v[6:7], v2, off
.LBB7_346:
	s_mov_b32 s27, 0
.LBB7_347:
	s_delay_alu instid0(SALU_CYCLE_1)
	s_and_not1_b32 vcc_lo, exec_lo, s27
	s_cbranch_vccnz .LBB7_349
; %bb.348:
	v_cndmask_b32_e64 v2, v15, v17, s5
	s_delay_alu instid0(VALU_DEP_1)
	v_cndmask_b32_e64 v2, v2, v18, s2
	global_store_b8 v[6:7], v2, off
.LBB7_349:
	s_mov_b32 s28, 0
	s_mov_b32 s27, -1
.LBB7_350:
	s_and_not1_b32 vcc_lo, exec_lo, s28
	s_cbranch_vccnz .LBB7_358
; %bb.351:
	v_cmp_lt_i16_e32 vcc_lo, 14, v8
	s_mov_b32 s28, -1
	s_cbranch_vccz .LBB7_355
; %bb.352:
	v_cmp_eq_u16_e32 vcc_lo, 15, v8
	s_mov_b32 s26, -1
	s_cbranch_vccz .LBB7_354
; %bb.353:
	s_mov_b32 s27, -1
	s_mov_b32 s26, 0
	global_store_b16 v[6:7], v14, off
.LBB7_354:
	s_mov_b32 s28, 0
.LBB7_355:
	s_delay_alu instid0(SALU_CYCLE_1)
	s_and_b32 vcc_lo, exec_lo, s28
	s_cbranch_vccz .LBB7_358
; %bb.356:
	v_cmp_eq_u16_e32 vcc_lo, 11, v8
	s_mov_b32 s26, -1
	s_cbranch_vccz .LBB7_358
; %bb.357:
	s_mov_b32 s27, -1
	s_mov_b32 s26, 0
	global_store_b8 v[6:7], v13, off
.LBB7_358:
.LBB7_359:
	s_and_not1_b32 vcc_lo, exec_lo, s27
	s_cbranch_vccnz .LBB7_294
.LBB7_360:
	v_add_nc_u32_e32 v11, 0x80, v11
	s_mov_b32 s27, -1
.LBB7_361:
	s_and_not1_b32 s28, s42, exec_lo
	s_and_b32 s26, s26, exec_lo
	s_delay_alu instid0(SALU_CYCLE_1)
	s_or_b32 s44, s28, s26
	s_or_not1_b32 s28, s27, exec_lo
.LBB7_362:
	s_or_b32 exec_lo, exec_lo, s45
	s_mov_b32 s26, 0
	s_mov_b32 s27, 0
                                        ; implicit-def: $vgpr6_vgpr7
	s_and_saveexec_b32 s45, s28
	s_cbranch_execz .LBB7_676
; %bb.363:
	s_mov_b32 s47, -1
	s_mov_b32 s28, s44
	s_mov_b32 s46, exec_lo
	v_cmpx_gt_i32_e64 s39, v11
	s_cbranch_execz .LBB7_607
; %bb.364:
	s_and_not1_b32 vcc_lo, exec_lo, s33
	s_cbranch_vccnz .LBB7_369
; %bb.365:
	v_mov_b32_e32 v2, 0
	s_and_not1_b32 vcc_lo, exec_lo, s41
	s_cbranch_vccnz .LBB7_374
; %bb.366:
	s_add_i32 s48, s40, 1
	s_cmp_eq_u32 s30, 2
	s_mov_b32 s47, 0
	s_cbranch_scc1 .LBB7_370
; %bb.367:
	v_dual_mov_b32 v2, 0 :: v_dual_mov_b32 v3, v11
	s_and_b32 s47, s48, 28
	s_mov_b32 s49, 0
	s_mov_b64 s[26:27], s[0:1]
	s_mov_b64 s[28:29], s[24:25]
.LBB7_368:                              ; =>This Inner Loop Header: Depth=1
	s_clause 0x1
	s_load_b256 s[52:59], s[26:27], 0x4
	s_load_b128 s[60:63], s[26:27], 0x24
	s_load_b128 s[64:67], s[28:29], 0x0
	s_add_u32 s26, s26, 48
	s_addc_u32 s27, s27, 0
	s_add_i32 s49, s49, 4
	s_add_u32 s28, s28, 16
	s_addc_u32 s29, s29, 0
	s_cmp_eq_u32 s47, s49
	s_waitcnt lgkmcnt(0)
	v_mul_hi_u32 v5, s53, v3
	s_delay_alu instid0(VALU_DEP_1) | instskip(NEXT) | instid1(VALU_DEP_1)
	v_add_nc_u32_e32 v5, v3, v5
	v_lshrrev_b32_e32 v5, s54, v5
	s_delay_alu instid0(VALU_DEP_1) | instskip(SKIP_1) | instid1(VALU_DEP_2)
	v_mul_hi_u32 v6, s56, v5
	v_mul_lo_u32 v27, v5, s52
	v_add_nc_u32_e32 v6, v5, v6
	s_delay_alu instid0(VALU_DEP_2) | instskip(NEXT) | instid1(VALU_DEP_2)
	v_sub_nc_u32_e32 v27, v3, v27
	v_lshrrev_b32_e32 v6, s57, v6
	s_delay_alu instid0(VALU_DEP_2) | instskip(NEXT) | instid1(VALU_DEP_2)
	v_mul_lo_u32 v27, v27, s64
	v_mul_hi_u32 v7, s59, v6
	v_mul_lo_u32 v28, v6, s55
	s_delay_alu instid0(VALU_DEP_2) | instskip(NEXT) | instid1(VALU_DEP_2)
	v_add_nc_u32_e32 v7, v6, v7
	v_sub_nc_u32_e32 v5, v5, v28
	s_delay_alu instid0(VALU_DEP_2) | instskip(NEXT) | instid1(VALU_DEP_2)
	v_lshrrev_b32_e32 v7, s60, v7
	v_mul_lo_u32 v5, v5, s65
	s_delay_alu instid0(VALU_DEP_2) | instskip(NEXT) | instid1(VALU_DEP_2)
	v_mul_hi_u32 v26, s62, v7
	v_add3_u32 v2, v27, v2, v5
	s_delay_alu instid0(VALU_DEP_2) | instskip(NEXT) | instid1(VALU_DEP_1)
	v_add_nc_u32_e32 v26, v7, v26
	v_lshrrev_b32_e32 v3, s63, v26
	v_mul_lo_u32 v26, v7, s58
	s_delay_alu instid0(VALU_DEP_2) | instskip(NEXT) | instid1(VALU_DEP_2)
	v_mul_lo_u32 v29, v3, s61
	v_sub_nc_u32_e32 v6, v6, v26
	s_delay_alu instid0(VALU_DEP_2) | instskip(NEXT) | instid1(VALU_DEP_2)
	v_sub_nc_u32_e32 v7, v7, v29
	v_mul_lo_u32 v6, v6, s66
	s_delay_alu instid0(VALU_DEP_2) | instskip(NEXT) | instid1(VALU_DEP_1)
	v_mul_lo_u32 v7, v7, s67
	v_add3_u32 v2, v6, v2, v7
	s_cbranch_scc0 .LBB7_368
	s_branch .LBB7_371
.LBB7_369:
	s_mov_b32 s26, -1
                                        ; implicit-def: $vgpr2
	s_branch .LBB7_375
.LBB7_370:
	v_mov_b32_e32 v3, v11
.LBB7_371:
	s_and_b32 s48, s48, 3
	s_delay_alu instid0(SALU_CYCLE_1)
	s_cmp_eq_u32 s48, 0
	s_cbranch_scc1 .LBB7_374
; %bb.372:
	s_lshl_b32 s26, s47, 2
	s_mul_i32 s28, s47, 12
	s_add_u32 s26, s26, s0
	s_addc_u32 s27, s1, 0
	s_add_u32 s26, s26, 0xc4
	s_addc_u32 s27, s27, 0
	;; [unrolled: 2-line block ×3, first 2 shown]
	.p2align	6
.LBB7_373:                              ; =>This Inner Loop Header: Depth=1
	s_clause 0x1
	s_load_b64 s[50:51], s[28:29], 0x4
	s_load_b32 s47, s[28:29], 0xc
	s_load_b32 s49, s[26:27], 0x0
	s_add_u32 s28, s28, 12
	s_addc_u32 s29, s29, 0
	s_add_u32 s26, s26, 4
	s_addc_u32 s27, s27, 0
	s_add_i32 s48, s48, -1
	s_delay_alu instid0(SALU_CYCLE_1) | instskip(SKIP_2) | instid1(VALU_DEP_1)
	s_cmp_lg_u32 s48, 0
	s_waitcnt lgkmcnt(0)
	v_mul_hi_u32 v5, s51, v3
	v_add_nc_u32_e32 v5, v3, v5
	s_delay_alu instid0(VALU_DEP_1) | instskip(NEXT) | instid1(VALU_DEP_1)
	v_lshrrev_b32_e32 v7, s47, v5
	v_mul_lo_u32 v5, v7, s50
	s_delay_alu instid0(VALU_DEP_1) | instskip(NEXT) | instid1(VALU_DEP_1)
	v_sub_nc_u32_e32 v3, v3, v5
	v_mad_u64_u32 v[5:6], null, v3, s49, v[2:3]
	s_delay_alu instid0(VALU_DEP_1)
	v_dual_mov_b32 v3, v7 :: v_dual_mov_b32 v2, v5
	s_cbranch_scc1 .LBB7_373
.LBB7_374:
	s_mov_b32 s26, 0
.LBB7_375:
	s_delay_alu instid0(SALU_CYCLE_1)
	s_and_not1_b32 vcc_lo, exec_lo, s26
	s_cbranch_vccnz .LBB7_378
; %bb.376:
	v_mul_hi_u32 v2, s13, v11
	s_and_not1_b32 vcc_lo, exec_lo, s38
	s_delay_alu instid0(VALU_DEP_1) | instskip(NEXT) | instid1(VALU_DEP_1)
	v_add_nc_u32_e32 v2, v11, v2
	v_lshrrev_b32_e32 v3, s14, v2
	s_delay_alu instid0(VALU_DEP_1) | instskip(NEXT) | instid1(VALU_DEP_1)
	v_mul_lo_u32 v2, v3, s12
	v_sub_nc_u32_e32 v2, v11, v2
	s_delay_alu instid0(VALU_DEP_1)
	v_mul_lo_u32 v2, v2, s20
	s_cbranch_vccnz .LBB7_378
; %bb.377:
	v_mul_hi_u32 v5, s22, v3
	s_delay_alu instid0(VALU_DEP_1) | instskip(NEXT) | instid1(VALU_DEP_1)
	v_add_nc_u32_e32 v5, v3, v5
	v_lshrrev_b32_e32 v5, s23, v5
	s_delay_alu instid0(VALU_DEP_1) | instskip(NEXT) | instid1(VALU_DEP_1)
	v_mul_lo_u32 v5, v5, s15
	v_sub_nc_u32_e32 v3, v3, v5
	s_delay_alu instid0(VALU_DEP_1) | instskip(NEXT) | instid1(VALU_DEP_1)
	v_mad_u64_u32 v[5:6], null, v3, s21, v[2:3]
	v_mov_b32_e32 v2, v5
.LBB7_378:
	v_cmp_gt_i16_e32 vcc_lo, 11, v8
	s_delay_alu instid0(VALU_DEP_2) | instskip(NEXT) | instid1(VALU_DEP_1)
	v_add_co_u32 v6, s26, s18, v2
	v_add_co_ci_u32_e64 v7, null, s19, 0, s26
	s_mov_b32 s27, 0
	s_mov_b32 s28, -1
	s_mov_b32 s26, s44
	s_cbranch_vccnz .LBB7_385
; %bb.379:
	v_cmp_lt_i16_e32 vcc_lo, 25, v8
	s_cbranch_vccz .LBB7_425
; %bb.380:
	v_cmp_lt_i16_e32 vcc_lo, 28, v8
	s_cbranch_vccz .LBB7_426
; %bb.381:
	v_cmp_lt_i16_e32 vcc_lo, 43, v8
	s_cbranch_vccz .LBB7_427
; %bb.382:
	v_cmp_lt_i16_e32 vcc_lo, 45, v8
	s_cbranch_vccz .LBB7_558
; %bb.383:
	v_cmp_eq_u16_e32 vcc_lo, 46, v8
	s_mov_b32 s28, 0
	s_mov_b32 s26, -1
	s_cbranch_vccz .LBB7_559
; %bb.384:
	s_mov_b32 s27, -1
	s_mov_b32 s26, 0
	global_store_b32 v[6:7], v14, off
	s_branch .LBB7_559
.LBB7_385:
	s_and_b32 vcc_lo, exec_lo, s28
	s_cbranch_vccz .LBB7_604
; %bb.386:
	v_cmp_gt_i16_e32 vcc_lo, 5, v8
	s_mov_b32 s27, -1
	s_cbranch_vccnz .LBB7_407
; %bb.387:
	v_cmp_gt_i16_e32 vcc_lo, 8, v8
	s_cbranch_vccnz .LBB7_397
; %bb.388:
	v_cmp_gt_i16_e32 vcc_lo, 9, v8
	s_cbranch_vccnz .LBB7_394
; %bb.389:
	v_cmp_lt_i16_e32 vcc_lo, 9, v8
	s_cbranch_vccz .LBB7_391
; %bb.390:
	v_mov_b32_e32 v2, 0
	s_mov_b32 s27, 0
	s_delay_alu instid0(VALU_DEP_1)
	v_mov_b32_e32 v3, v2
	global_store_b128 v[6:7], v[0:3], off
.LBB7_391:
	s_and_not1_b32 vcc_lo, exec_lo, s27
	s_cbranch_vccnz .LBB7_393
; %bb.392:
	v_mov_b32_e32 v5, 0
	global_store_b64 v[6:7], v[4:5], off
.LBB7_393:
	s_mov_b32 s27, 0
.LBB7_394:
	s_delay_alu instid0(SALU_CYCLE_1)
	s_and_not1_b32 vcc_lo, exec_lo, s27
	s_cbranch_vccnz .LBB7_396
; %bb.395:
	global_store_b32 v[6:7], v12, off
.LBB7_396:
	s_mov_b32 s27, 0
.LBB7_397:
	s_delay_alu instid0(SALU_CYCLE_1)
	s_and_not1_b32 vcc_lo, exec_lo, s27
	s_cbranch_vccnz .LBB7_406
; %bb.398:
	v_cmp_gt_i16_e32 vcc_lo, 6, v8
	s_mov_b32 s27, -1
	s_cbranch_vccnz .LBB7_404
; %bb.399:
	v_cmp_lt_i16_e32 vcc_lo, 6, v8
	s_cbranch_vccz .LBB7_401
; %bb.400:
	s_mov_b32 s27, 0
	global_store_b64 v[6:7], v[0:1], off
.LBB7_401:
	s_and_not1_b32 vcc_lo, exec_lo, s27
	s_cbranch_vccnz .LBB7_403
; %bb.402:
	global_store_b32 v[6:7], v4, off
.LBB7_403:
	s_mov_b32 s27, 0
.LBB7_404:
	s_delay_alu instid0(SALU_CYCLE_1)
	s_and_not1_b32 vcc_lo, exec_lo, s27
	s_cbranch_vccnz .LBB7_406
; %bb.405:
	global_store_b16 v[6:7], v10, off
.LBB7_406:
	s_mov_b32 s27, 0
.LBB7_407:
	s_delay_alu instid0(SALU_CYCLE_1)
	s_and_not1_b32 vcc_lo, exec_lo, s27
	s_cbranch_vccnz .LBB7_423
; %bb.408:
	v_cmp_gt_i16_e32 vcc_lo, 2, v8
	s_mov_b32 s27, -1
	s_cbranch_vccnz .LBB7_418
; %bb.409:
	v_cmp_gt_i16_e32 vcc_lo, 3, v8
	s_cbranch_vccnz .LBB7_415
; %bb.410:
	v_cmp_lt_i16_e32 vcc_lo, 3, v8
	s_cbranch_vccz .LBB7_412
; %bb.411:
	v_dual_mov_b32 v2, s16 :: v_dual_mov_b32 v3, s17
	s_mov_b32 s27, 0
	global_store_b64 v[6:7], v[2:3], off
.LBB7_412:
	s_and_not1_b32 vcc_lo, exec_lo, s27
	s_cbranch_vccnz .LBB7_414
; %bb.413:
	v_mov_b32_e32 v2, s16
	global_store_b32 v[6:7], v2, off
.LBB7_414:
	s_mov_b32 s27, 0
.LBB7_415:
	s_delay_alu instid0(SALU_CYCLE_1)
	s_and_not1_b32 vcc_lo, exec_lo, s27
	s_cbranch_vccnz .LBB7_417
; %bb.416:
	global_store_b16 v[6:7], v9, off
.LBB7_417:
	s_mov_b32 s27, 0
.LBB7_418:
	s_delay_alu instid0(SALU_CYCLE_1)
	s_and_not1_b32 vcc_lo, exec_lo, s27
	s_cbranch_vccnz .LBB7_423
; %bb.419:
	v_cmp_lt_i16_e32 vcc_lo, 0, v8
	s_mov_b32 s27, -1
	s_cbranch_vccz .LBB7_421
; %bb.420:
	v_mov_b32_e32 v2, s35
	s_mov_b32 s27, 0
	global_store_b8 v[6:7], v2, off
.LBB7_421:
	s_and_not1_b32 vcc_lo, exec_lo, s27
	s_cbranch_vccnz .LBB7_423
; %bb.422:
	v_mov_b32_e32 v2, s35
	global_store_b8 v[6:7], v2, off
.LBB7_423:
	s_branch .LBB7_605
.LBB7_424:
	s_mov_b32 s27, 0
                                        ; implicit-def: $vgpr11
	s_branch .LBB7_606
.LBB7_425:
	s_mov_b32 s26, s44
	s_branch .LBB7_581
.LBB7_426:
	s_mov_b32 s26, s44
	s_branch .LBB7_567
.LBB7_427:
	s_mov_b32 s26, s44
	s_branch .LBB7_563
.LBB7_428:
	s_mov_b32 s5, -1
	s_mov_b32 s4, 0
                                        ; implicit-def: $sgpr8
.LBB7_429:
	v_mov_b32_e32 v7, s8
	s_and_not1_b32 vcc_lo, exec_lo, s5
                                        ; implicit-def: $sgpr5
	s_cbranch_vccnz .LBB7_431
; %bb.430:
	v_add_f32_e32 v6, 0x42800000, v6
	s_mov_b32 s5, 0
	s_delay_alu instid0(VALU_DEP_1) | instskip(NEXT) | instid1(VALU_DEP_1)
	v_and_b32_e32 v7, 0xff, v6
	v_cmp_ne_u32_e64 s4, 0, v7
.LBB7_431:
	v_mov_b32_e32 v8, s5
	s_delay_alu instid0(VALU_DEP_2)
	s_and_not1_b32 vcc_lo, exec_lo, s4
	s_cbranch_vccnz .LBB7_433
; %bb.432:
	v_mov_b32_e32 v8, v7
.LBB7_433:
	s_mov_b32 s4, 0
	global_store_b8 v[3:4], v8, off
.LBB7_434:
	s_and_b32 vcc_lo, exec_lo, s4
	s_cbranch_vccz .LBB7_446
; %bb.435:
	v_cvt_f32_ubyte0_e32 v6, s2
	s_delay_alu instid0(VALU_DEP_1)
	v_cmp_gt_u32_e32 vcc_lo, 0x43f00000, v6
	v_readfirstlane_b32 s4, v6
	s_cbranch_vccz .LBB7_438
; %bb.436:
	s_delay_alu instid0(VALU_DEP_1)
	s_cmp_gt_u32 s4, 0x3c7fffff
	s_cbranch_scc0 .LBB7_439
; %bb.437:
	s_bfe_u32 s5, s4, 0x10014
	s_delay_alu instid0(SALU_CYCLE_1) | instskip(NEXT) | instid1(SALU_CYCLE_1)
	s_add_i32 s5, s4, s5
	s_add_i32 s5, s5, 0x407ffff
	s_delay_alu instid0(SALU_CYCLE_1)
	s_and_b32 s8, s5, 0xff00000
	s_lshr_b32 s5, s5, 20
	s_cmp_lg_u32 s8, 0x7f00000
	s_cselect_b32 s8, s5, 0x7e
	s_mov_b32 s5, 0
	s_branch .LBB7_440
.LBB7_438:
	s_mov_b32 s5, -1
                                        ; implicit-def: $vgpr7
	s_branch .LBB7_443
.LBB7_439:
	s_mov_b32 s5, -1
                                        ; implicit-def: $sgpr8
.LBB7_440:
	v_mov_b32_e32 v7, s8
	s_and_not1_b32 vcc_lo, exec_lo, s5
	s_cbranch_vccnz .LBB7_442
; %bb.441:
	v_add_f32_e32 v7, 0x46800000, v6
.LBB7_442:
	s_mov_b32 s5, 0
.LBB7_443:
	s_delay_alu instid0(SALU_CYCLE_1)
	s_and_not1_b32 vcc_lo, exec_lo, s5
	s_cbranch_vccnz .LBB7_445
; %bb.444:
	s_cmp_gt_u32 s4, 0x7f800000
	s_movk_i32 s4, 0x7f
	s_delay_alu instid0(SALU_CYCLE_1) | instskip(NEXT) | instid1(SALU_CYCLE_1)
	s_cselect_b32 s4, s4, 0x7e
	v_mov_b32_e32 v7, s4
.LBB7_445:
	global_store_b8 v[3:4], v7, off
.LBB7_446:
	s_mov_b32 s4, 0
.LBB7_447:
	s_delay_alu instid0(SALU_CYCLE_1)
	s_and_not1_b32 vcc_lo, exec_lo, s4
	s_cbranch_vccnz .LBB7_459
; %bb.448:
	v_cvt_f32_ubyte0_e32 v6, s2
	s_delay_alu instid0(VALU_DEP_1)
	v_cmp_gt_u32_e32 vcc_lo, 0x47800000, v6
	v_readfirstlane_b32 s4, v6
	s_cbranch_vccz .LBB7_451
; %bb.449:
	s_delay_alu instid0(VALU_DEP_1)
	s_cmp_gt_u32 s4, 0x387fffff
	s_cbranch_scc0 .LBB7_452
; %bb.450:
	s_bfe_u32 s5, s4, 0x10015
	s_delay_alu instid0(SALU_CYCLE_1) | instskip(NEXT) | instid1(SALU_CYCLE_1)
	s_add_i32 s5, s4, s5
	s_add_i32 s5, s5, 0x80fffff
	s_delay_alu instid0(SALU_CYCLE_1)
	s_lshr_b32 s8, s5, 21
	s_mov_b32 s5, 0
	s_branch .LBB7_453
.LBB7_451:
	s_mov_b32 s5, -1
                                        ; implicit-def: $vgpr7
	s_branch .LBB7_456
.LBB7_452:
	s_mov_b32 s5, -1
                                        ; implicit-def: $sgpr8
.LBB7_453:
	v_mov_b32_e32 v7, s8
	s_and_not1_b32 vcc_lo, exec_lo, s5
	s_cbranch_vccnz .LBB7_455
; %bb.454:
	v_add_f32_e32 v7, 0x43000000, v6
.LBB7_455:
	s_mov_b32 s5, 0
.LBB7_456:
	s_delay_alu instid0(SALU_CYCLE_1)
	s_and_not1_b32 vcc_lo, exec_lo, s5
	s_cbranch_vccnz .LBB7_458
; %bb.457:
	s_cmp_gt_u32 s4, 0x7f800000
	s_movk_i32 s4, 0x7f
	s_delay_alu instid0(SALU_CYCLE_1) | instskip(NEXT) | instid1(SALU_CYCLE_1)
	s_cselect_b32 s4, s4, 0x7c
	v_mov_b32_e32 v7, s4
.LBB7_458:
	global_store_b8 v[3:4], v7, off
.LBB7_459:
	s_mov_b32 s4, 0
	s_mov_b32 s5, -1
.LBB7_460:
	s_and_not1_b32 vcc_lo, exec_lo, s4
	s_mov_b32 s4, 0
	s_cbranch_vccnz .LBB7_467
; %bb.461:
	v_cmp_lt_i16_e32 vcc_lo, 14, v5
	s_mov_b32 s4, -1
	s_cbranch_vccz .LBB7_465
; %bb.462:
	v_cmp_eq_u16_e32 vcc_lo, 15, v5
	s_mov_b32 s3, -1
	s_cbranch_vccz .LBB7_464
; %bb.463:
	v_cvt_f32_ubyte0_e32 v6, s2
	s_mov_b32 s3, 0
	s_mov_b32 s5, -1
	s_delay_alu instid0(VALU_DEP_1) | instskip(NEXT) | instid1(VALU_DEP_1)
	v_bfe_u32 v7, v6, 16, 1
	v_add_nc_u32_e32 v6, v6, v7
	s_delay_alu instid0(VALU_DEP_1)
	v_add_nc_u32_e32 v6, 0x7fff, v6
	global_store_d16_hi_b16 v[3:4], v6, off
.LBB7_464:
	s_mov_b32 s4, 0
.LBB7_465:
	s_delay_alu instid0(SALU_CYCLE_1)
	s_and_b32 vcc_lo, exec_lo, s4
	s_mov_b32 s4, 0
	s_cbranch_vccz .LBB7_467
; %bb.466:
	v_cmp_ne_u16_e64 s3, 11, v5
	s_mov_b32 s4, -1
.LBB7_467:
	s_delay_alu instid0(VALU_DEP_1)
	s_and_b32 vcc_lo, exec_lo, s3
	s_mov_b32 s3, s6
	s_cbranch_vccnz .LBB7_539
; %bb.468:
	s_and_not1_b32 vcc_lo, exec_lo, s4
	s_cbranch_vccnz .LBB7_470
.LBB7_469:
	v_and_b32_e64 v6, 0xff, s2
	s_mov_b32 s5, -1
	s_delay_alu instid0(VALU_DEP_1)
	v_cmp_ne_u16_e32 vcc_lo, 0, v6
	v_cndmask_b32_e64 v6, 0, 1, vcc_lo
	global_store_b8 v[3:4], v6, off
.LBB7_470:
	s_mov_b32 s4, 0
.LBB7_471:
	s_delay_alu instid0(SALU_CYCLE_1)
	s_and_b32 vcc_lo, exec_lo, s4
	s_cbranch_vccz .LBB7_510
; %bb.472:
	v_cmp_gt_i16_e32 vcc_lo, 5, v5
	s_mov_b32 s4, -1
	s_cbranch_vccnz .LBB7_493
; %bb.473:
	v_cmp_gt_i16_e32 vcc_lo, 8, v5
	s_cbranch_vccnz .LBB7_483
; %bb.474:
	v_cmp_gt_i16_e32 vcc_lo, 9, v5
	s_cbranch_vccnz .LBB7_480
; %bb.475:
	v_cmp_lt_i16_e32 vcc_lo, 9, v5
	s_cbranch_vccz .LBB7_477
; %bb.476:
	v_and_b32_e64 v6, 0xff, s2
	v_mov_b32_e32 v8, 0
	s_mov_b32 s4, 0
	s_delay_alu instid0(VALU_DEP_1) | instskip(NEXT) | instid1(VALU_DEP_1)
	v_dual_mov_b32 v9, v8 :: v_dual_and_b32 v6, 0xffff, v6
	v_cvt_f64_u32_e32 v[6:7], v6
	global_store_b128 v[3:4], v[6:9], off
.LBB7_477:
	s_and_not1_b32 vcc_lo, exec_lo, s4
	s_cbranch_vccnz .LBB7_479
; %bb.478:
	v_cvt_f32_ubyte0_e32 v6, s2
	v_mov_b32_e32 v7, 0
	global_store_b64 v[3:4], v[6:7], off
.LBB7_479:
	s_mov_b32 s4, 0
.LBB7_480:
	s_delay_alu instid0(SALU_CYCLE_1)
	s_and_not1_b32 vcc_lo, exec_lo, s4
	s_cbranch_vccnz .LBB7_482
; %bb.481:
	v_and_b32_e64 v6, 0xff, s2
	s_delay_alu instid0(VALU_DEP_1) | instskip(NEXT) | instid1(VALU_DEP_1)
	v_cvt_f16_u16_e32 v6, v6
	v_and_b32_e32 v6, 0xffff, v6
	global_store_b32 v[3:4], v6, off
.LBB7_482:
	s_mov_b32 s4, 0
.LBB7_483:
	s_delay_alu instid0(SALU_CYCLE_1)
	s_and_not1_b32 vcc_lo, exec_lo, s4
	s_cbranch_vccnz .LBB7_492
; %bb.484:
	v_cmp_gt_i16_e32 vcc_lo, 6, v5
	s_mov_b32 s4, -1
	s_cbranch_vccnz .LBB7_490
; %bb.485:
	v_cmp_lt_i16_e32 vcc_lo, 6, v5
	s_cbranch_vccz .LBB7_487
; %bb.486:
	v_and_b32_e64 v6, 0xff, s2
	s_mov_b32 s4, 0
	s_delay_alu instid0(VALU_DEP_1) | instskip(NEXT) | instid1(VALU_DEP_1)
	v_and_b32_e32 v6, 0xffff, v6
	v_cvt_f64_u32_e32 v[6:7], v6
	global_store_b64 v[3:4], v[6:7], off
.LBB7_487:
	s_and_not1_b32 vcc_lo, exec_lo, s4
	s_cbranch_vccnz .LBB7_489
; %bb.488:
	v_cvt_f32_ubyte0_e32 v6, s2
	global_store_b32 v[3:4], v6, off
.LBB7_489:
	s_mov_b32 s4, 0
.LBB7_490:
	s_delay_alu instid0(SALU_CYCLE_1)
	s_and_not1_b32 vcc_lo, exec_lo, s4
	s_cbranch_vccnz .LBB7_492
; %bb.491:
	v_and_b32_e64 v6, 0xff, s2
	s_delay_alu instid0(VALU_DEP_1)
	v_cvt_f16_u16_e32 v6, v6
	global_store_b16 v[3:4], v6, off
.LBB7_492:
	s_mov_b32 s4, 0
.LBB7_493:
	s_delay_alu instid0(SALU_CYCLE_1)
	s_and_not1_b32 vcc_lo, exec_lo, s4
	s_cbranch_vccnz .LBB7_509
; %bb.494:
	v_cmp_gt_i16_e32 vcc_lo, 2, v5
	s_mov_b32 s4, -1
	s_cbranch_vccnz .LBB7_504
; %bb.495:
	v_cmp_gt_i16_e32 vcc_lo, 3, v5
	s_cbranch_vccnz .LBB7_501
; %bb.496:
	v_cmp_lt_i16_e32 vcc_lo, 3, v5
	s_cbranch_vccz .LBB7_498
; %bb.497:
	s_and_b32 s4, s2, 0xff
	s_delay_alu instid0(SALU_CYCLE_1)
	v_dual_mov_b32 v7, 0 :: v_dual_mov_b32 v6, s4
	s_mov_b32 s4, 0
	global_store_b64 v[3:4], v[6:7], off
.LBB7_498:
	s_and_not1_b32 vcc_lo, exec_lo, s4
	s_cbranch_vccnz .LBB7_500
; %bb.499:
	s_and_b32 s4, s2, 0xff
	s_delay_alu instid0(SALU_CYCLE_1)
	v_mov_b32_e32 v6, s4
	global_store_b32 v[3:4], v6, off
.LBB7_500:
	s_mov_b32 s4, 0
.LBB7_501:
	s_delay_alu instid0(SALU_CYCLE_1)
	s_and_not1_b32 vcc_lo, exec_lo, s4
	s_cbranch_vccnz .LBB7_503
; %bb.502:
	v_and_b32_e64 v6, 0xff, s2
	global_store_b16 v[3:4], v6, off
.LBB7_503:
	s_mov_b32 s4, 0
.LBB7_504:
	s_delay_alu instid0(SALU_CYCLE_1)
	s_and_not1_b32 vcc_lo, exec_lo, s4
	s_cbranch_vccnz .LBB7_509
; %bb.505:
	v_cmp_lt_i16_e32 vcc_lo, 0, v5
	s_mov_b32 s4, -1
	s_cbranch_vccz .LBB7_507
; %bb.506:
	v_mov_b32_e32 v6, s2
	s_mov_b32 s4, 0
	global_store_b8 v[3:4], v6, off
.LBB7_507:
	s_and_not1_b32 vcc_lo, exec_lo, s4
	s_cbranch_vccnz .LBB7_509
; %bb.508:
	v_mov_b32_e32 v6, s2
	global_store_b8 v[3:4], v6, off
.LBB7_509:
	s_mov_b32 s5, -1
.LBB7_510:
	s_delay_alu instid0(SALU_CYCLE_1)
	s_and_not1_b32 vcc_lo, exec_lo, s5
	s_cbranch_vccnz .LBB7_923
; %bb.511:
	v_cmp_gt_i16_e32 vcc_lo, 11, v5
	v_add_co_u32 v2, s4, s0, v2
	s_delay_alu instid0(VALU_DEP_1)
	v_add_co_ci_u32_e64 v3, null, s1, 0, s4
	s_mov_b32 s8, 0
	s_mov_b32 s4, -1
	s_cbranch_vccnz .LBB7_724
; %bb.512:
	v_cmp_lt_i16_e32 vcc_lo, 25, v5
	s_mov_b32 s9, -1
	s_mov_b32 s5, 0
	s_mov_b32 s4, 0
	s_cbranch_vccz .LBB7_551
; %bb.513:
	v_cmp_lt_i16_e32 vcc_lo, 28, v5
	s_cbranch_vccz .LBB7_528
; %bb.514:
	v_cmp_lt_i16_e32 vcc_lo, 43, v5
	;; [unrolled: 3-line block ×3, first 2 shown]
	s_cbranch_vccz .LBB7_518
; %bb.516:
	v_cmp_eq_u16_e32 vcc_lo, 46, v5
	s_mov_b32 s4, -1
	s_mov_b32 s9, 0
	s_cbranch_vccz .LBB7_518
; %bb.517:
	v_cvt_f32_ubyte0_e32 v4, s2
	s_mov_b32 s4, 0
	s_mov_b32 s8, -1
	s_delay_alu instid0(VALU_DEP_1) | instskip(NEXT) | instid1(VALU_DEP_1)
	v_bfe_u32 v6, v4, 16, 1
	v_add_nc_u32_e32 v4, v4, v6
	s_delay_alu instid0(VALU_DEP_1) | instskip(NEXT) | instid1(VALU_DEP_1)
	v_add_nc_u32_e32 v4, 0x7fff, v4
	v_lshrrev_b32_e32 v4, 16, v4
	global_store_b32 v[2:3], v4, off
.LBB7_518:
	s_and_b32 vcc_lo, exec_lo, s9
	s_cbranch_vccz .LBB7_523
; %bb.519:
	v_cmp_eq_u16_e32 vcc_lo, 44, v5
	s_mov_b32 s4, -1
	s_cbranch_vccz .LBB7_523
; %bb.520:
	v_cvt_f32_ubyte0_e32 v4, s2
	s_delay_alu instid0(VALU_DEP_1) | instskip(SKIP_1) | instid1(VALU_DEP_2)
	v_readfirstlane_b32 s8, v4
	v_mov_b32_e32 v4, 0xff
	s_lshr_b32 s4, s8, 23
	s_delay_alu instid0(SALU_CYCLE_1)
	s_cmpk_eq_i32 s4, 0xff
	s_cbranch_scc1 .LBB7_522
; %bb.521:
	s_bitcmp1_b32 s8, 22
	s_cselect_b32 s9, -1, 0
	s_and_b32 s8, s8, 0x3fffff
	s_delay_alu instid0(SALU_CYCLE_1) | instskip(NEXT) | instid1(SALU_CYCLE_1)
	s_or_b32 s8, s4, s8
	s_cmp_lg_u32 s8, 0
	s_cselect_b32 s8, -1, 0
	s_delay_alu instid0(SALU_CYCLE_1) | instskip(NEXT) | instid1(SALU_CYCLE_1)
	s_and_b32 s8, s9, s8
	v_cndmask_b32_e64 v4, 0, 1, s8
	s_delay_alu instid0(VALU_DEP_1)
	v_add_nc_u32_e32 v4, s4, v4
.LBB7_522:
	s_mov_b32 s4, 0
	s_mov_b32 s8, -1
	global_store_b8 v[2:3], v4, off
.LBB7_523:
	s_mov_b32 s9, 0
.LBB7_524:
	s_delay_alu instid0(SALU_CYCLE_1)
	s_and_b32 vcc_lo, exec_lo, s9
	s_cbranch_vccz .LBB7_527
; %bb.525:
	v_cmp_eq_u16_e32 vcc_lo, 29, v5
	s_mov_b32 s4, -1
	s_cbranch_vccz .LBB7_527
; %bb.526:
	s_and_b32 s4, s2, 0xff
	s_mov_b32 s8, -1
	v_dual_mov_b32 v6, s4 :: v_dual_mov_b32 v7, 0
	s_mov_b32 s4, 0
	global_store_b64 v[2:3], v[6:7], off
.LBB7_527:
	s_mov_b32 s9, 0
.LBB7_528:
	s_delay_alu instid0(SALU_CYCLE_1)
	s_and_b32 vcc_lo, exec_lo, s9
	s_cbranch_vccz .LBB7_550
; %bb.529:
	v_cmp_gt_i16_e32 vcc_lo, 27, v5
	s_mov_b32 s8, -1
	s_cbranch_vccnz .LBB7_535
; %bb.530:
	v_cmp_lt_i16_e32 vcc_lo, 27, v5
	s_cbranch_vccz .LBB7_532
; %bb.531:
	s_and_b32 s8, s2, 0xff
	s_delay_alu instid0(SALU_CYCLE_1)
	v_mov_b32_e32 v4, s8
	s_mov_b32 s8, 0
	global_store_b32 v[2:3], v4, off
.LBB7_532:
	s_and_not1_b32 vcc_lo, exec_lo, s8
	s_cbranch_vccnz .LBB7_534
; %bb.533:
	v_and_b32_e64 v4, 0xff, s2
	global_store_b16 v[2:3], v4, off
.LBB7_534:
	s_mov_b32 s8, 0
.LBB7_535:
	s_delay_alu instid0(SALU_CYCLE_1)
	s_and_not1_b32 vcc_lo, exec_lo, s8
	s_cbranch_vccnz .LBB7_549
; %bb.536:
	v_cvt_f32_ubyte0_e32 v4, s2
	v_mov_b32_e32 v7, 0x80
	s_delay_alu instid0(VALU_DEP_2)
	v_cmp_lt_u32_e32 vcc_lo, 0x437fffff, v4
	v_readfirstlane_b32 s8, v4
	s_cbranch_vccnz .LBB7_548
; %bb.537:
	s_delay_alu instid0(VALU_DEP_1)
	s_cmp_gt_u32 s8, 0x3bffffff
	s_cbranch_scc0 .LBB7_543
; %bb.538:
	s_bfe_u32 s9, s8, 0x10014
	s_delay_alu instid0(SALU_CYCLE_1) | instskip(SKIP_2) | instid1(SALU_CYCLE_1)
	s_add_i32 s8, s8, s9
	s_mov_b32 s9, 0
	s_add_i32 s8, s8, 0x487ffff
	s_lshr_b32 s10, s8, 20
	s_mov_b32 s8, -1
	s_branch .LBB7_544
.LBB7_539:
	s_cbranch_execnz .LBB7_541
; %bb.540:
	s_or_b32 s3, s6, exec_lo
	s_cbranch_execz .LBB7_469
	s_branch .LBB7_470
.LBB7_541:
	s_trap 2
	s_sendmsg_rtn_b32 s0, sendmsg(MSG_RTN_GET_DOORBELL)
	s_mov_b32 ttmp2, m0
	s_waitcnt lgkmcnt(0)
	s_and_b32 s0, s0, 0x3ff
	s_delay_alu instid0(SALU_CYCLE_1) | instskip(NEXT) | instid1(SALU_CYCLE_1)
	s_bitset1_b32 s0, 10
	s_mov_b32 m0, s0
	s_sendmsg sendmsg(MSG_INTERRUPT)
	s_mov_b32 m0, ttmp2
.LBB7_542:                              ; =>This Inner Loop Header: Depth=1
	s_sethalt 5
	s_branch .LBB7_542
.LBB7_543:
	s_mov_b32 s9, -1
	s_mov_b32 s8, 0
                                        ; implicit-def: $sgpr10
.LBB7_544:
	v_mov_b32_e32 v6, s10
	s_and_not1_b32 vcc_lo, exec_lo, s9
                                        ; implicit-def: $sgpr9
	s_cbranch_vccnz .LBB7_546
; %bb.545:
	v_add_f32_e32 v4, 0x46000000, v4
	s_mov_b32 s9, 0
	s_delay_alu instid0(VALU_DEP_1) | instskip(NEXT) | instid1(VALU_DEP_1)
	v_and_b32_e32 v6, 0xff, v4
	v_cmp_ne_u32_e64 s8, 0, v6
.LBB7_546:
	v_mov_b32_e32 v7, s9
	s_delay_alu instid0(VALU_DEP_2)
	s_and_not1_b32 vcc_lo, exec_lo, s8
	s_cbranch_vccnz .LBB7_548
; %bb.547:
	v_mov_b32_e32 v7, v6
.LBB7_548:
	global_store_b8 v[2:3], v7, off
.LBB7_549:
	s_mov_b32 s8, -1
.LBB7_550:
	s_mov_b32 s9, 0
.LBB7_551:
	s_delay_alu instid0(SALU_CYCLE_1)
	s_and_b32 vcc_lo, exec_lo, s9
	s_cbranch_vccz .LBB7_720
; %bb.552:
	v_cmp_lt_i16_e32 vcc_lo, 22, v5
	s_mov_b32 s5, -1
	s_cbranch_vccz .LBB7_713
; %bb.553:
	v_cmp_gt_i16_e32 vcc_lo, 24, v5
	s_cbranch_vccnz .LBB7_700
; %bb.554:
	v_cmp_lt_i16_e32 vcc_lo, 24, v5
	s_cbranch_vccz .LBB7_687
; %bb.555:
	v_cvt_f32_ubyte0_e32 v4, s2
	v_mov_b32_e32 v7, 0x80
	s_delay_alu instid0(VALU_DEP_2)
	v_cmp_lt_u32_e32 vcc_lo, 0x477fffff, v4
	v_readfirstlane_b32 s5, v4
	s_cbranch_vccnz .LBB7_686
; %bb.556:
	s_delay_alu instid0(VALU_DEP_1)
	s_cmp_gt_u32 s5, 0x37ffffff
	s_cbranch_scc0 .LBB7_681
; %bb.557:
	s_bfe_u32 s8, s5, 0x10015
	s_delay_alu instid0(SALU_CYCLE_1) | instskip(SKIP_2) | instid1(SALU_CYCLE_1)
	s_add_i32 s5, s5, s8
	s_mov_b32 s8, 0
	s_add_i32 s5, s5, 0x88fffff
	s_lshr_b32 s9, s5, 21
	s_mov_b32 s5, -1
	s_branch .LBB7_682
.LBB7_558:
	s_mov_b32 s26, s44
.LBB7_559:
	s_and_b32 vcc_lo, exec_lo, s28
	s_cbranch_vccz .LBB7_562
; %bb.560:
	v_cmp_eq_u16_e32 vcc_lo, 44, v8
	s_mov_b32 s26, -1
	s_cbranch_vccz .LBB7_562
; %bb.561:
	v_cndmask_b32_e64 v2, v25, 0xff, s10
	s_mov_b32 s27, -1
	s_mov_b32 s26, 0
	global_store_b8 v[6:7], v2, off
.LBB7_562:
	s_mov_b32 s28, 0
.LBB7_563:
	s_delay_alu instid0(SALU_CYCLE_1)
	s_and_b32 vcc_lo, exec_lo, s28
	s_cbranch_vccz .LBB7_566
; %bb.564:
	v_cmp_eq_u16_e32 vcc_lo, 29, v8
	s_mov_b32 s26, -1
	s_cbranch_vccz .LBB7_566
; %bb.565:
	v_dual_mov_b32 v2, s16 :: v_dual_mov_b32 v3, s17
	s_mov_b32 s27, -1
	s_mov_b32 s26, 0
	s_mov_b32 s28, 0
	global_store_b64 v[6:7], v[2:3], off
	s_branch .LBB7_567
.LBB7_566:
	s_mov_b32 s28, 0
.LBB7_567:
	s_delay_alu instid0(SALU_CYCLE_1)
	s_and_b32 vcc_lo, exec_lo, s28
	s_cbranch_vccz .LBB7_580
; %bb.568:
	v_cmp_gt_i16_e32 vcc_lo, 27, v8
	s_mov_b32 s27, -1
	s_cbranch_vccnz .LBB7_574
; %bb.569:
	v_cmp_lt_i16_e32 vcc_lo, 27, v8
	s_cbranch_vccz .LBB7_571
; %bb.570:
	v_mov_b32_e32 v2, s16
	s_mov_b32 s27, 0
	global_store_b32 v[6:7], v2, off
.LBB7_571:
	s_and_not1_b32 vcc_lo, exec_lo, s27
	s_cbranch_vccnz .LBB7_573
; %bb.572:
	global_store_b16 v[6:7], v9, off
.LBB7_573:
	s_mov_b32 s27, 0
.LBB7_574:
	s_delay_alu instid0(SALU_CYCLE_1)
	s_and_not1_b32 vcc_lo, exec_lo, s27
	s_cbranch_vccnz .LBB7_579
; %bb.575:
	v_mov_b32_e32 v2, 0x80
	s_and_not1_b32 vcc_lo, exec_lo, s9
	s_cbranch_vccnz .LBB7_578
; %bb.576:
	v_mov_b32_e32 v2, 0
	s_or_b32 s27, s8, s37
	s_delay_alu instid0(SALU_CYCLE_1)
	s_and_not1_b32 vcc_lo, exec_lo, s27
	s_cbranch_vccnz .LBB7_578
; %bb.577:
	v_cndmask_b32_e64 v2, v23, v24, s8
.LBB7_578:
	global_store_b8 v[6:7], v2, off
.LBB7_579:
	s_mov_b32 s27, -1
.LBB7_580:
	s_mov_b32 s28, 0
.LBB7_581:
	s_delay_alu instid0(SALU_CYCLE_1)
	s_and_b32 vcc_lo, exec_lo, s28
	s_cbranch_vccz .LBB7_603
; %bb.582:
	v_cmp_lt_i16_e32 vcc_lo, 22, v8
	s_mov_b32 s28, -1
	s_cbranch_vccz .LBB7_595
; %bb.583:
	v_cmp_gt_i16_e32 vcc_lo, 24, v8
	s_mov_b32 s27, -1
	s_cbranch_vccnz .LBB7_592
; %bb.584:
	v_cmp_lt_i16_e32 vcc_lo, 24, v8
	s_cbranch_vccz .LBB7_589
; %bb.585:
	v_mov_b32_e32 v2, 0x80
	s_and_not1_b32 vcc_lo, exec_lo, s7
	s_cbranch_vccnz .LBB7_588
; %bb.586:
	v_mov_b32_e32 v2, 0
	s_or_b32 s27, s6, s36
	s_delay_alu instid0(SALU_CYCLE_1)
	s_and_not1_b32 vcc_lo, exec_lo, s27
	s_cbranch_vccnz .LBB7_588
; %bb.587:
	v_cndmask_b32_e64 v2, v16, v22, s6
.LBB7_588:
	s_mov_b32 s27, 0
	global_store_b8 v[6:7], v2, off
.LBB7_589:
	s_and_b32 vcc_lo, exec_lo, s27
	s_cbranch_vccz .LBB7_591
; %bb.590:
	v_cndmask_b32_e64 v2, v19, v20, s4
	s_delay_alu instid0(VALU_DEP_1)
	v_cndmask_b32_e64 v2, v2, v21, s3
	global_store_b8 v[6:7], v2, off
.LBB7_591:
	s_mov_b32 s27, 0
.LBB7_592:
	s_delay_alu instid0(SALU_CYCLE_1)
	s_and_not1_b32 vcc_lo, exec_lo, s27
	s_cbranch_vccnz .LBB7_594
; %bb.593:
	v_cndmask_b32_e64 v2, v15, v17, s5
	s_delay_alu instid0(VALU_DEP_1)
	v_cndmask_b32_e64 v2, v2, v18, s2
	global_store_b8 v[6:7], v2, off
.LBB7_594:
	s_mov_b32 s28, 0
	s_mov_b32 s27, -1
.LBB7_595:
	s_and_not1_b32 vcc_lo, exec_lo, s28
	s_cbranch_vccnz .LBB7_603
; %bb.596:
	v_cmp_lt_i16_e32 vcc_lo, 14, v8
	s_mov_b32 s28, -1
	s_cbranch_vccz .LBB7_600
; %bb.597:
	v_cmp_eq_u16_e32 vcc_lo, 15, v8
	s_mov_b32 s26, -1
	s_cbranch_vccz .LBB7_599
; %bb.598:
	s_mov_b32 s27, -1
	s_mov_b32 s26, 0
	global_store_b16 v[6:7], v14, off
.LBB7_599:
	s_mov_b32 s28, 0
.LBB7_600:
	s_delay_alu instid0(SALU_CYCLE_1)
	s_and_b32 vcc_lo, exec_lo, s28
	s_cbranch_vccz .LBB7_603
; %bb.601:
	v_cmp_eq_u16_e32 vcc_lo, 11, v8
	s_mov_b32 s26, -1
	s_cbranch_vccz .LBB7_603
; %bb.602:
	s_mov_b32 s27, -1
	s_mov_b32 s26, 0
	global_store_b8 v[6:7], v13, off
.LBB7_603:
.LBB7_604:
	s_and_not1_b32 vcc_lo, exec_lo, s27
	s_cbranch_vccnz .LBB7_424
.LBB7_605:
	v_add_nc_u32_e32 v11, 0x80, v11
	s_mov_b32 s27, -1
.LBB7_606:
	s_and_not1_b32 s28, s44, exec_lo
	s_and_b32 s26, s26, exec_lo
	s_or_not1_b32 s47, s27, exec_lo
	s_or_b32 s28, s28, s26
.LBB7_607:
	s_or_b32 exec_lo, exec_lo, s46
	s_mov_b32 s26, 0
	s_mov_b32 s27, 0
                                        ; implicit-def: $vgpr6_vgpr7
	s_and_saveexec_b32 s29, s47
	s_cbranch_execz .LBB7_675
; %bb.608:
	v_cmp_gt_i32_e32 vcc_lo, s39, v11
	s_mov_b32 s46, s28
                                        ; implicit-def: $vgpr6_vgpr7
	s_and_saveexec_b32 s39, vcc_lo
	s_cbranch_execz .LBB7_674
; %bb.609:
	s_and_not1_b32 vcc_lo, exec_lo, s33
	s_cbranch_vccnz .LBB7_614
; %bb.610:
	v_mov_b32_e32 v2, 0
	s_and_not1_b32 vcc_lo, exec_lo, s41
	s_cbranch_vccnz .LBB7_619
; %bb.611:
	s_add_i32 s41, s40, 1
	s_cmp_eq_u32 s30, 2
	s_mov_b32 s40, 0
	s_cbranch_scc1 .LBB7_615
; %bb.612:
	v_dual_mov_b32 v2, 0 :: v_dual_mov_b32 v3, v11
	s_and_b32 s40, s41, 28
	s_mov_b32 s46, 0
	s_mov_b64 s[26:27], s[0:1]
.LBB7_613:                              ; =>This Inner Loop Header: Depth=1
	s_clause 0x1
	s_load_b256 s[48:55], s[26:27], 0x4
	s_load_b128 s[56:59], s[26:27], 0x24
	s_load_b128 s[60:63], s[24:25], 0x0
	s_add_u32 s26, s26, 48
	s_addc_u32 s27, s27, 0
	s_add_i32 s46, s46, 4
	s_add_u32 s24, s24, 16
	s_addc_u32 s25, s25, 0
	s_cmp_eq_u32 s40, s46
	s_waitcnt lgkmcnt(0)
	v_mul_hi_u32 v5, s49, v3
	s_delay_alu instid0(VALU_DEP_1) | instskip(NEXT) | instid1(VALU_DEP_1)
	v_add_nc_u32_e32 v5, v3, v5
	v_lshrrev_b32_e32 v5, s50, v5
	s_delay_alu instid0(VALU_DEP_1) | instskip(SKIP_1) | instid1(VALU_DEP_2)
	v_mul_hi_u32 v6, s52, v5
	v_mul_lo_u32 v27, v5, s48
	v_add_nc_u32_e32 v6, v5, v6
	s_delay_alu instid0(VALU_DEP_2) | instskip(NEXT) | instid1(VALU_DEP_2)
	v_sub_nc_u32_e32 v27, v3, v27
	v_lshrrev_b32_e32 v6, s53, v6
	s_delay_alu instid0(VALU_DEP_2) | instskip(NEXT) | instid1(VALU_DEP_2)
	v_mul_lo_u32 v27, v27, s60
	v_mul_hi_u32 v7, s55, v6
	v_mul_lo_u32 v28, v6, s51
	s_delay_alu instid0(VALU_DEP_2) | instskip(NEXT) | instid1(VALU_DEP_2)
	v_add_nc_u32_e32 v7, v6, v7
	v_sub_nc_u32_e32 v5, v5, v28
	s_delay_alu instid0(VALU_DEP_2) | instskip(NEXT) | instid1(VALU_DEP_2)
	v_lshrrev_b32_e32 v7, s56, v7
	v_mul_lo_u32 v5, v5, s61
	s_delay_alu instid0(VALU_DEP_2) | instskip(NEXT) | instid1(VALU_DEP_2)
	v_mul_hi_u32 v26, s58, v7
	v_add3_u32 v2, v27, v2, v5
	s_delay_alu instid0(VALU_DEP_2) | instskip(NEXT) | instid1(VALU_DEP_1)
	v_add_nc_u32_e32 v26, v7, v26
	v_lshrrev_b32_e32 v3, s59, v26
	v_mul_lo_u32 v26, v7, s54
	s_delay_alu instid0(VALU_DEP_2) | instskip(NEXT) | instid1(VALU_DEP_2)
	v_mul_lo_u32 v29, v3, s57
	v_sub_nc_u32_e32 v6, v6, v26
	s_delay_alu instid0(VALU_DEP_2) | instskip(NEXT) | instid1(VALU_DEP_2)
	v_sub_nc_u32_e32 v7, v7, v29
	v_mul_lo_u32 v6, v6, s62
	s_delay_alu instid0(VALU_DEP_2) | instskip(NEXT) | instid1(VALU_DEP_1)
	v_mul_lo_u32 v7, v7, s63
	v_add3_u32 v2, v6, v2, v7
	s_cbranch_scc0 .LBB7_613
	s_branch .LBB7_616
.LBB7_614:
	s_mov_b32 s24, -1
                                        ; implicit-def: $vgpr2
	s_branch .LBB7_620
.LBB7_615:
	v_mov_b32_e32 v3, v11
.LBB7_616:
	s_and_b32 s41, s41, 3
	s_delay_alu instid0(SALU_CYCLE_1)
	s_cmp_eq_u32 s41, 0
	s_cbranch_scc1 .LBB7_619
; %bb.617:
	s_lshl_b32 s24, s40, 2
	s_mul_i32 s26, s40, 12
	s_add_u32 s24, s24, s0
	s_addc_u32 s25, s1, 0
	s_add_u32 s24, s24, 0xc4
	s_addc_u32 s25, s25, 0
	;; [unrolled: 2-line block ×3, first 2 shown]
.LBB7_618:                              ; =>This Inner Loop Header: Depth=1
	s_clause 0x1
	s_load_b64 s[46:47], s[26:27], 0x4
	s_load_b32 s40, s[26:27], 0xc
	s_add_u32 s26, s26, 12
	s_addc_u32 s27, s27, 0
	s_waitcnt lgkmcnt(0)
	v_mul_hi_u32 v5, s47, v3
	s_load_b32 s47, s[24:25], 0x0
	s_add_u32 s24, s24, 4
	s_addc_u32 s25, s25, 0
	s_add_i32 s41, s41, -1
	s_delay_alu instid0(SALU_CYCLE_1) | instskip(NEXT) | instid1(VALU_DEP_1)
	s_cmp_lg_u32 s41, 0
	v_add_nc_u32_e32 v5, v3, v5
	s_delay_alu instid0(VALU_DEP_1) | instskip(NEXT) | instid1(VALU_DEP_1)
	v_lshrrev_b32_e32 v7, s40, v5
	v_mul_lo_u32 v5, v7, s46
	s_delay_alu instid0(VALU_DEP_1) | instskip(SKIP_1) | instid1(VALU_DEP_1)
	v_sub_nc_u32_e32 v3, v3, v5
	s_waitcnt lgkmcnt(0)
	v_mad_u64_u32 v[5:6], null, v3, s47, v[2:3]
	s_delay_alu instid0(VALU_DEP_1)
	v_dual_mov_b32 v3, v7 :: v_dual_mov_b32 v2, v5
	s_cbranch_scc1 .LBB7_618
.LBB7_619:
	s_mov_b32 s24, 0
.LBB7_620:
	s_delay_alu instid0(SALU_CYCLE_1)
	s_and_not1_b32 vcc_lo, exec_lo, s24
	s_cbranch_vccnz .LBB7_623
; %bb.621:
	v_mul_hi_u32 v2, s13, v11
	s_and_not1_b32 vcc_lo, exec_lo, s38
	s_delay_alu instid0(VALU_DEP_1) | instskip(NEXT) | instid1(VALU_DEP_1)
	v_add_nc_u32_e32 v2, v11, v2
	v_lshrrev_b32_e32 v3, s14, v2
	s_delay_alu instid0(VALU_DEP_1) | instskip(NEXT) | instid1(VALU_DEP_1)
	v_mul_lo_u32 v2, v3, s12
	v_sub_nc_u32_e32 v2, v11, v2
	s_delay_alu instid0(VALU_DEP_1)
	v_mul_lo_u32 v2, v2, s20
	s_cbranch_vccnz .LBB7_623
; %bb.622:
	v_mul_hi_u32 v5, s22, v3
	s_delay_alu instid0(VALU_DEP_1) | instskip(NEXT) | instid1(VALU_DEP_1)
	v_add_nc_u32_e32 v5, v3, v5
	v_lshrrev_b32_e32 v5, s23, v5
	s_delay_alu instid0(VALU_DEP_1) | instskip(NEXT) | instid1(VALU_DEP_1)
	v_mul_lo_u32 v5, v5, s15
	v_sub_nc_u32_e32 v3, v3, v5
	s_delay_alu instid0(VALU_DEP_1) | instskip(NEXT) | instid1(VALU_DEP_1)
	v_mad_u64_u32 v[5:6], null, v3, s21, v[2:3]
	v_mov_b32_e32 v2, v5
.LBB7_623:
	v_cmp_gt_i16_e32 vcc_lo, 11, v8
	s_delay_alu instid0(VALU_DEP_2) | instskip(NEXT) | instid1(VALU_DEP_1)
	v_add_co_u32 v6, s12, s18, v2
	v_add_co_ci_u32_e64 v7, null, s19, 0, s12
	s_mov_b32 s14, 0
	s_mov_b32 s13, -1
	s_mov_b32 s12, s28
	s_cbranch_vccnz .LBB7_673
; %bb.624:
	v_cmp_lt_i16_e32 vcc_lo, 25, v8
	s_mov_b32 s12, s28
	s_cbranch_vccz .LBB7_652
; %bb.625:
	v_cmp_lt_i16_e32 vcc_lo, 28, v8
	s_mov_b32 s12, s28
	s_cbranch_vccz .LBB7_639
	;; [unrolled: 4-line block ×4, first 2 shown]
; %bb.628:
	v_cmp_eq_u16_e32 vcc_lo, 46, v8
	s_mov_b32 s12, -1
	s_cbranch_vccz .LBB7_630
; %bb.629:
	s_mov_b32 s12, 0
	global_store_b32 v[6:7], v14, off
.LBB7_630:
	s_mov_b32 s13, 0
.LBB7_631:
	s_delay_alu instid0(SALU_CYCLE_1)
	s_and_b32 vcc_lo, exec_lo, s13
	s_cbranch_vccz .LBB7_634
; %bb.632:
	v_cmp_eq_u16_e32 vcc_lo, 44, v8
	s_mov_b32 s12, -1
	s_cbranch_vccz .LBB7_634
; %bb.633:
	v_cndmask_b32_e64 v2, v25, 0xff, s10
	s_mov_b32 s12, 0
	global_store_b8 v[6:7], v2, off
.LBB7_634:
	s_mov_b32 s13, 0
.LBB7_635:
	s_delay_alu instid0(SALU_CYCLE_1)
	s_and_b32 vcc_lo, exec_lo, s13
	s_cbranch_vccz .LBB7_638
; %bb.636:
	v_cmp_eq_u16_e32 vcc_lo, 29, v8
	s_mov_b32 s12, -1
	s_cbranch_vccz .LBB7_638
; %bb.637:
	v_dual_mov_b32 v2, s16 :: v_dual_mov_b32 v3, s17
	s_mov_b32 s12, 0
	global_store_b64 v[6:7], v[2:3], off
.LBB7_638:
	s_mov_b32 s13, 0
.LBB7_639:
	s_delay_alu instid0(SALU_CYCLE_1)
	s_and_b32 vcc_lo, exec_lo, s13
	s_cbranch_vccz .LBB7_651
; %bb.640:
	v_cmp_gt_i16_e32 vcc_lo, 27, v8
	s_mov_b32 s10, -1
	s_cbranch_vccnz .LBB7_646
; %bb.641:
	v_cmp_lt_i16_e32 vcc_lo, 27, v8
	s_cbranch_vccz .LBB7_643
; %bb.642:
	v_mov_b32_e32 v2, s16
	s_mov_b32 s10, 0
	global_store_b32 v[6:7], v2, off
.LBB7_643:
	s_and_not1_b32 vcc_lo, exec_lo, s10
	s_cbranch_vccnz .LBB7_645
; %bb.644:
	global_store_b16 v[6:7], v9, off
.LBB7_645:
	s_mov_b32 s10, 0
.LBB7_646:
	s_delay_alu instid0(SALU_CYCLE_1)
	s_and_not1_b32 vcc_lo, exec_lo, s10
	s_cbranch_vccnz .LBB7_651
; %bb.647:
	v_mov_b32_e32 v2, 0x80
	s_and_not1_b32 vcc_lo, exec_lo, s9
	s_cbranch_vccnz .LBB7_650
; %bb.648:
	v_mov_b32_e32 v2, 0
	s_or_b32 s9, s8, s37
	s_delay_alu instid0(SALU_CYCLE_1)
	s_and_not1_b32 vcc_lo, exec_lo, s9
	s_cbranch_vccnz .LBB7_650
; %bb.649:
	v_cndmask_b32_e64 v2, v23, v24, s8
.LBB7_650:
	global_store_b8 v[6:7], v2, off
.LBB7_651:
	s_mov_b32 s13, 0
.LBB7_652:
	s_delay_alu instid0(SALU_CYCLE_1)
	s_and_b32 vcc_lo, exec_lo, s13
	s_mov_b32 s13, 0
	s_cbranch_vccz .LBB7_673
; %bb.653:
	v_cmp_lt_i16_e32 vcc_lo, 22, v8
	s_mov_b32 s8, -1
	s_cbranch_vccz .LBB7_666
; %bb.654:
	v_cmp_gt_i16_e32 vcc_lo, 24, v8
	s_cbranch_vccnz .LBB7_663
; %bb.655:
	v_cmp_lt_i16_e32 vcc_lo, 24, v8
	s_cbranch_vccz .LBB7_660
; %bb.656:
	v_mov_b32_e32 v2, 0x80
	s_and_not1_b32 vcc_lo, exec_lo, s7
	s_cbranch_vccnz .LBB7_659
; %bb.657:
	v_mov_b32_e32 v2, 0
	s_or_b32 s7, s6, s36
	s_delay_alu instid0(SALU_CYCLE_1)
	s_and_not1_b32 vcc_lo, exec_lo, s7
	s_cbranch_vccnz .LBB7_659
; %bb.658:
	v_cndmask_b32_e64 v2, v16, v22, s6
.LBB7_659:
	s_mov_b32 s8, 0
	global_store_b8 v[6:7], v2, off
.LBB7_660:
	s_and_b32 vcc_lo, exec_lo, s8
	s_cbranch_vccz .LBB7_662
; %bb.661:
	v_cndmask_b32_e64 v2, v19, v20, s4
	s_delay_alu instid0(VALU_DEP_1)
	v_cndmask_b32_e64 v2, v2, v21, s3
	global_store_b8 v[6:7], v2, off
.LBB7_662:
	s_mov_b32 s8, 0
.LBB7_663:
	s_delay_alu instid0(SALU_CYCLE_1)
	s_and_not1_b32 vcc_lo, exec_lo, s8
	s_cbranch_vccnz .LBB7_665
; %bb.664:
	v_cndmask_b32_e64 v2, v15, v17, s5
	s_delay_alu instid0(VALU_DEP_1)
	v_cndmask_b32_e64 v2, v2, v18, s2
	global_store_b8 v[6:7], v2, off
.LBB7_665:
	s_mov_b32 s8, 0
.LBB7_666:
	s_delay_alu instid0(SALU_CYCLE_1)
	s_and_not1_b32 vcc_lo, exec_lo, s8
	s_cbranch_vccnz .LBB7_673
; %bb.667:
	v_cmp_lt_i16_e32 vcc_lo, 14, v8
	s_mov_b32 s2, -1
	s_cbranch_vccz .LBB7_671
; %bb.668:
	v_cmp_eq_u16_e32 vcc_lo, 15, v8
	s_mov_b32 s12, -1
	s_cbranch_vccz .LBB7_670
; %bb.669:
	s_mov_b32 s12, 0
	global_store_b16 v[6:7], v14, off
.LBB7_670:
	s_mov_b32 s2, 0
.LBB7_671:
	s_delay_alu instid0(SALU_CYCLE_1)
	s_and_b32 vcc_lo, exec_lo, s2
	s_cbranch_vccz .LBB7_673
; %bb.672:
	v_cmp_ne_u16_e32 vcc_lo, 11, v8
	s_and_not1_b32 s2, s12, exec_lo
	s_mov_b32 s14, -1
	s_and_b32 s3, vcc_lo, exec_lo
	s_delay_alu instid0(SALU_CYCLE_1)
	s_or_b32 s12, s2, s3
.LBB7_673:
	s_and_not1_b32 s2, s28, exec_lo
	s_and_b32 s3, s12, exec_lo
	s_and_b32 s27, s13, exec_lo
	;; [unrolled: 1-line block ×3, first 2 shown]
	s_or_b32 s46, s2, s3
.LBB7_674:
	s_or_b32 exec_lo, exec_lo, s39
	s_delay_alu instid0(SALU_CYCLE_1)
	s_and_not1_b32 s2, s28, exec_lo
	s_and_b32 s3, s46, exec_lo
	s_and_b32 s27, s27, exec_lo
	;; [unrolled: 1-line block ×3, first 2 shown]
	s_or_b32 s28, s2, s3
.LBB7_675:
	s_or_b32 exec_lo, exec_lo, s29
	s_delay_alu instid0(SALU_CYCLE_1)
	s_and_not1_b32 s2, s44, exec_lo
	s_and_b32 s3, s28, exec_lo
	s_and_b32 s27, s27, exec_lo
	;; [unrolled: 1-line block ×3, first 2 shown]
	s_or_b32 s44, s2, s3
.LBB7_676:
	s_or_b32 exec_lo, exec_lo, s45
	s_delay_alu instid0(SALU_CYCLE_1)
	s_and_not1_b32 s2, s42, exec_lo
	s_and_b32 s3, s44, exec_lo
	s_and_b32 s27, s27, exec_lo
	s_and_b32 s44, s26, exec_lo
	s_or_b32 s42, s2, s3
	s_or_b32 exec_lo, exec_lo, s43
	s_mov_b32 s2, 0
	s_and_saveexec_b32 s3, s42
	s_cbranch_execz .LBB7_118
.LBB7_677:
	s_cbranch_execnz .LBB7_679
; %bb.678:
	s_mov_b32 s2, exec_lo
	s_and_not1_b32 s44, s44, exec_lo
	s_or_b32 exec_lo, exec_lo, s3
	s_and_saveexec_b32 s3, s44
	s_delay_alu instid0(SALU_CYCLE_1)
	s_xor_b32 s3, exec_lo, s3
	s_cbranch_execnz .LBB7_119
	s_branch .LBB7_120
.LBB7_679:
	s_trap 2
	s_sendmsg_rtn_b32 s0, sendmsg(MSG_RTN_GET_DOORBELL)
	s_mov_b32 ttmp2, m0
	s_waitcnt lgkmcnt(0)
	s_and_b32 s0, s0, 0x3ff
	s_delay_alu instid0(SALU_CYCLE_1) | instskip(NEXT) | instid1(SALU_CYCLE_1)
	s_bitset1_b32 s0, 10
	s_mov_b32 m0, s0
	s_sendmsg sendmsg(MSG_INTERRUPT)
	s_mov_b32 m0, ttmp2
.LBB7_680:                              ; =>This Inner Loop Header: Depth=1
	s_sethalt 5
	s_branch .LBB7_680
.LBB7_681:
	s_mov_b32 s8, -1
	s_mov_b32 s5, 0
                                        ; implicit-def: $sgpr9
.LBB7_682:
	v_mov_b32_e32 v6, s9
	s_and_not1_b32 vcc_lo, exec_lo, s8
                                        ; implicit-def: $sgpr8
	s_cbranch_vccnz .LBB7_684
; %bb.683:
	v_add_f32_e32 v4, 0x42800000, v4
	s_mov_b32 s8, 0
	s_delay_alu instid0(VALU_DEP_1) | instskip(NEXT) | instid1(VALU_DEP_1)
	v_and_b32_e32 v6, 0xff, v4
	v_cmp_ne_u32_e64 s5, 0, v6
.LBB7_684:
	v_mov_b32_e32 v7, s8
	s_delay_alu instid0(VALU_DEP_2)
	s_and_not1_b32 vcc_lo, exec_lo, s5
	s_cbranch_vccnz .LBB7_686
; %bb.685:
	v_mov_b32_e32 v7, v6
.LBB7_686:
	s_mov_b32 s5, 0
	global_store_b8 v[2:3], v7, off
.LBB7_687:
	s_and_b32 vcc_lo, exec_lo, s5
	s_cbranch_vccz .LBB7_699
; %bb.688:
	v_cvt_f32_ubyte0_e32 v4, s2
	s_delay_alu instid0(VALU_DEP_1)
	v_cmp_gt_u32_e32 vcc_lo, 0x43f00000, v4
	v_readfirstlane_b32 s5, v4
	s_cbranch_vccz .LBB7_691
; %bb.689:
	s_delay_alu instid0(VALU_DEP_1)
	s_cmp_gt_u32 s5, 0x3c7fffff
	s_cbranch_scc0 .LBB7_692
; %bb.690:
	s_bfe_u32 s8, s5, 0x10014
	s_delay_alu instid0(SALU_CYCLE_1) | instskip(NEXT) | instid1(SALU_CYCLE_1)
	s_add_i32 s8, s5, s8
	s_add_i32 s8, s8, 0x407ffff
	s_delay_alu instid0(SALU_CYCLE_1)
	s_and_b32 s9, s8, 0xff00000
	s_lshr_b32 s8, s8, 20
	s_cmp_lg_u32 s9, 0x7f00000
	s_cselect_b32 s9, s8, 0x7e
	s_mov_b32 s8, 0
	s_branch .LBB7_693
.LBB7_691:
	s_mov_b32 s8, -1
                                        ; implicit-def: $vgpr6
	s_branch .LBB7_696
.LBB7_692:
	s_mov_b32 s8, -1
                                        ; implicit-def: $sgpr9
.LBB7_693:
	v_mov_b32_e32 v6, s9
	s_and_not1_b32 vcc_lo, exec_lo, s8
	s_cbranch_vccnz .LBB7_695
; %bb.694:
	v_add_f32_e32 v6, 0x46800000, v4
.LBB7_695:
	s_mov_b32 s8, 0
.LBB7_696:
	s_delay_alu instid0(SALU_CYCLE_1)
	s_and_not1_b32 vcc_lo, exec_lo, s8
	s_cbranch_vccnz .LBB7_698
; %bb.697:
	s_cmp_gt_u32 s5, 0x7f800000
	s_movk_i32 s5, 0x7f
	s_delay_alu instid0(SALU_CYCLE_1) | instskip(NEXT) | instid1(SALU_CYCLE_1)
	s_cselect_b32 s5, s5, 0x7e
	v_mov_b32_e32 v6, s5
.LBB7_698:
	global_store_b8 v[2:3], v6, off
.LBB7_699:
	s_mov_b32 s5, 0
.LBB7_700:
	s_delay_alu instid0(SALU_CYCLE_1)
	s_and_not1_b32 vcc_lo, exec_lo, s5
	s_cbranch_vccnz .LBB7_712
; %bb.701:
	v_cvt_f32_ubyte0_e32 v4, s2
	s_delay_alu instid0(VALU_DEP_1)
	v_cmp_gt_u32_e32 vcc_lo, 0x47800000, v4
	v_readfirstlane_b32 s5, v4
	s_cbranch_vccz .LBB7_704
; %bb.702:
	s_delay_alu instid0(VALU_DEP_1)
	s_cmp_gt_u32 s5, 0x387fffff
	s_cbranch_scc0 .LBB7_705
; %bb.703:
	s_bfe_u32 s8, s5, 0x10015
	s_delay_alu instid0(SALU_CYCLE_1) | instskip(NEXT) | instid1(SALU_CYCLE_1)
	s_add_i32 s8, s5, s8
	s_add_i32 s8, s8, 0x80fffff
	s_delay_alu instid0(SALU_CYCLE_1)
	s_lshr_b32 s9, s8, 21
	s_mov_b32 s8, 0
	s_branch .LBB7_706
.LBB7_704:
	s_mov_b32 s8, -1
                                        ; implicit-def: $vgpr6
	s_branch .LBB7_709
.LBB7_705:
	s_mov_b32 s8, -1
                                        ; implicit-def: $sgpr9
.LBB7_706:
	v_mov_b32_e32 v6, s9
	s_and_not1_b32 vcc_lo, exec_lo, s8
	s_cbranch_vccnz .LBB7_708
; %bb.707:
	v_add_f32_e32 v6, 0x43000000, v4
.LBB7_708:
	s_mov_b32 s8, 0
.LBB7_709:
	s_delay_alu instid0(SALU_CYCLE_1)
	s_and_not1_b32 vcc_lo, exec_lo, s8
	s_cbranch_vccnz .LBB7_711
; %bb.710:
	s_cmp_gt_u32 s5, 0x7f800000
	s_movk_i32 s5, 0x7f
	s_delay_alu instid0(SALU_CYCLE_1) | instskip(NEXT) | instid1(SALU_CYCLE_1)
	s_cselect_b32 s5, s5, 0x7c
	v_mov_b32_e32 v6, s5
.LBB7_711:
	global_store_b8 v[2:3], v6, off
.LBB7_712:
	s_mov_b32 s5, 0
	s_mov_b32 s8, -1
.LBB7_713:
	s_and_not1_b32 vcc_lo, exec_lo, s5
	s_mov_b32 s5, 0
	s_cbranch_vccnz .LBB7_720
; %bb.714:
	v_cmp_lt_i16_e32 vcc_lo, 14, v5
	s_mov_b32 s5, -1
	s_cbranch_vccz .LBB7_718
; %bb.715:
	v_cmp_eq_u16_e32 vcc_lo, 15, v5
	s_mov_b32 s4, -1
	s_cbranch_vccz .LBB7_717
; %bb.716:
	v_cvt_f32_ubyte0_e32 v4, s2
	s_mov_b32 s4, 0
	s_mov_b32 s8, -1
	s_delay_alu instid0(VALU_DEP_1) | instskip(NEXT) | instid1(VALU_DEP_1)
	v_bfe_u32 v6, v4, 16, 1
	v_add_nc_u32_e32 v4, v4, v6
	s_delay_alu instid0(VALU_DEP_1)
	v_add_nc_u32_e32 v4, 0x7fff, v4
	global_store_d16_hi_b16 v[2:3], v4, off
.LBB7_717:
	s_mov_b32 s5, 0
.LBB7_718:
	s_delay_alu instid0(SALU_CYCLE_1)
	s_and_b32 vcc_lo, exec_lo, s5
	s_mov_b32 s5, 0
	s_cbranch_vccz .LBB7_720
; %bb.719:
	v_cmp_ne_u16_e64 s4, 11, v5
	s_mov_b32 s5, -1
.LBB7_720:
	s_delay_alu instid0(VALU_DEP_1)
	s_and_b32 vcc_lo, exec_lo, s4
	s_cbranch_vccnz .LBB7_792
; %bb.721:
	s_and_not1_b32 vcc_lo, exec_lo, s5
	s_cbranch_vccnz .LBB7_723
.LBB7_722:
	v_and_b32_e64 v4, 0xff, s2
	s_mov_b32 s8, -1
	s_delay_alu instid0(VALU_DEP_1)
	v_cmp_ne_u16_e32 vcc_lo, 0, v4
	v_cndmask_b32_e64 v4, 0, 1, vcc_lo
	global_store_b8 v[2:3], v4, off
.LBB7_723:
	s_mov_b32 s4, 0
.LBB7_724:
	s_delay_alu instid0(SALU_CYCLE_1)
	s_and_b32 vcc_lo, exec_lo, s4
	s_cbranch_vccz .LBB7_763
; %bb.725:
	v_cmp_gt_i16_e32 vcc_lo, 5, v5
	s_mov_b32 s4, -1
	s_cbranch_vccnz .LBB7_746
; %bb.726:
	v_cmp_gt_i16_e32 vcc_lo, 8, v5
	s_cbranch_vccnz .LBB7_736
; %bb.727:
	v_cmp_gt_i16_e32 vcc_lo, 9, v5
	s_cbranch_vccnz .LBB7_733
; %bb.728:
	v_cmp_lt_i16_e32 vcc_lo, 9, v5
	s_cbranch_vccz .LBB7_730
; %bb.729:
	v_and_b32_e64 v4, 0xff, s2
	v_mov_b32_e32 v8, 0
	s_mov_b32 s4, 0
	s_delay_alu instid0(VALU_DEP_1) | instskip(NEXT) | instid1(VALU_DEP_1)
	v_dual_mov_b32 v9, v8 :: v_dual_and_b32 v4, 0xffff, v4
	v_cvt_f64_u32_e32 v[6:7], v4
	global_store_b128 v[2:3], v[6:9], off
.LBB7_730:
	s_and_not1_b32 vcc_lo, exec_lo, s4
	s_cbranch_vccnz .LBB7_732
; %bb.731:
	v_cvt_f32_ubyte0_e32 v6, s2
	v_mov_b32_e32 v7, 0
	global_store_b64 v[2:3], v[6:7], off
.LBB7_732:
	s_mov_b32 s4, 0
.LBB7_733:
	s_delay_alu instid0(SALU_CYCLE_1)
	s_and_not1_b32 vcc_lo, exec_lo, s4
	s_cbranch_vccnz .LBB7_735
; %bb.734:
	v_and_b32_e64 v4, 0xff, s2
	s_delay_alu instid0(VALU_DEP_1) | instskip(NEXT) | instid1(VALU_DEP_1)
	v_cvt_f16_u16_e32 v4, v4
	v_and_b32_e32 v4, 0xffff, v4
	global_store_b32 v[2:3], v4, off
.LBB7_735:
	s_mov_b32 s4, 0
.LBB7_736:
	s_delay_alu instid0(SALU_CYCLE_1)
	s_and_not1_b32 vcc_lo, exec_lo, s4
	s_cbranch_vccnz .LBB7_745
; %bb.737:
	v_cmp_gt_i16_e32 vcc_lo, 6, v5
	s_mov_b32 s4, -1
	s_cbranch_vccnz .LBB7_743
; %bb.738:
	v_cmp_lt_i16_e32 vcc_lo, 6, v5
	s_cbranch_vccz .LBB7_740
; %bb.739:
	v_and_b32_e64 v4, 0xff, s2
	s_mov_b32 s4, 0
	s_delay_alu instid0(VALU_DEP_1) | instskip(NEXT) | instid1(VALU_DEP_1)
	v_and_b32_e32 v4, 0xffff, v4
	v_cvt_f64_u32_e32 v[6:7], v4
	global_store_b64 v[2:3], v[6:7], off
.LBB7_740:
	s_and_not1_b32 vcc_lo, exec_lo, s4
	s_cbranch_vccnz .LBB7_742
; %bb.741:
	v_cvt_f32_ubyte0_e32 v4, s2
	global_store_b32 v[2:3], v4, off
.LBB7_742:
	s_mov_b32 s4, 0
.LBB7_743:
	s_delay_alu instid0(SALU_CYCLE_1)
	s_and_not1_b32 vcc_lo, exec_lo, s4
	s_cbranch_vccnz .LBB7_745
; %bb.744:
	v_and_b32_e64 v4, 0xff, s2
	s_delay_alu instid0(VALU_DEP_1)
	v_cvt_f16_u16_e32 v4, v4
	global_store_b16 v[2:3], v4, off
.LBB7_745:
	s_mov_b32 s4, 0
.LBB7_746:
	s_delay_alu instid0(SALU_CYCLE_1)
	s_and_not1_b32 vcc_lo, exec_lo, s4
	s_cbranch_vccnz .LBB7_762
; %bb.747:
	v_cmp_gt_i16_e32 vcc_lo, 2, v5
	s_mov_b32 s4, -1
	s_cbranch_vccnz .LBB7_757
; %bb.748:
	v_cmp_gt_i16_e32 vcc_lo, 3, v5
	s_cbranch_vccnz .LBB7_754
; %bb.749:
	v_cmp_lt_i16_e32 vcc_lo, 3, v5
	s_cbranch_vccz .LBB7_751
; %bb.750:
	s_and_b32 s4, s2, 0xff
	s_delay_alu instid0(SALU_CYCLE_1)
	v_dual_mov_b32 v7, 0 :: v_dual_mov_b32 v6, s4
	s_mov_b32 s4, 0
	global_store_b64 v[2:3], v[6:7], off
.LBB7_751:
	s_and_not1_b32 vcc_lo, exec_lo, s4
	s_cbranch_vccnz .LBB7_753
; %bb.752:
	s_and_b32 s4, s2, 0xff
	s_delay_alu instid0(SALU_CYCLE_1)
	v_mov_b32_e32 v4, s4
	global_store_b32 v[2:3], v4, off
.LBB7_753:
	s_mov_b32 s4, 0
.LBB7_754:
	s_delay_alu instid0(SALU_CYCLE_1)
	s_and_not1_b32 vcc_lo, exec_lo, s4
	s_cbranch_vccnz .LBB7_756
; %bb.755:
	v_and_b32_e64 v4, 0xff, s2
	global_store_b16 v[2:3], v4, off
.LBB7_756:
	s_mov_b32 s4, 0
.LBB7_757:
	s_delay_alu instid0(SALU_CYCLE_1)
	s_and_not1_b32 vcc_lo, exec_lo, s4
	s_cbranch_vccnz .LBB7_762
; %bb.758:
	v_cmp_lt_i16_e32 vcc_lo, 0, v5
	s_mov_b32 s4, -1
	s_cbranch_vccz .LBB7_760
; %bb.759:
	v_mov_b32_e32 v4, s2
	s_mov_b32 s4, 0
	global_store_b8 v[2:3], v4, off
.LBB7_760:
	s_and_not1_b32 vcc_lo, exec_lo, s4
	s_cbranch_vccnz .LBB7_762
; %bb.761:
	v_mov_b32_e32 v4, s2
	global_store_b8 v[2:3], v4, off
.LBB7_762:
	s_mov_b32 s8, -1
.LBB7_763:
	s_delay_alu instid0(SALU_CYCLE_1)
	s_and_not1_b32 vcc_lo, exec_lo, s8
	s_cbranch_vccnz .LBB7_923
; %bb.764:
	v_cmp_gt_i16_e32 vcc_lo, 11, v5
	v_add_co_u32 v1, s4, s0, v1
	s_delay_alu instid0(VALU_DEP_1)
	v_add_co_ci_u32_e64 v2, null, s1, 0, s4
	s_mov_b32 s8, 0
	s_mov_b32 s4, -1
	s_cbranch_vccnz .LBB7_854
; %bb.765:
	v_cmp_lt_i16_e32 vcc_lo, 25, v5
	s_mov_b32 s9, -1
	s_mov_b32 s5, 0
	s_mov_b32 s4, 0
	s_cbranch_vccz .LBB7_804
; %bb.766:
	v_cmp_lt_i16_e32 vcc_lo, 28, v5
	s_cbranch_vccz .LBB7_781
; %bb.767:
	v_cmp_lt_i16_e32 vcc_lo, 43, v5
	;; [unrolled: 3-line block ×3, first 2 shown]
	s_cbranch_vccz .LBB7_771
; %bb.769:
	v_cmp_eq_u16_e32 vcc_lo, 46, v5
	s_mov_b32 s4, -1
	s_mov_b32 s9, 0
	s_cbranch_vccz .LBB7_771
; %bb.770:
	v_cvt_f32_ubyte0_e32 v3, s2
	s_mov_b32 s4, 0
	s_mov_b32 s8, -1
	s_delay_alu instid0(VALU_DEP_1) | instskip(NEXT) | instid1(VALU_DEP_1)
	v_bfe_u32 v4, v3, 16, 1
	v_add_nc_u32_e32 v3, v3, v4
	s_delay_alu instid0(VALU_DEP_1) | instskip(NEXT) | instid1(VALU_DEP_1)
	v_add_nc_u32_e32 v3, 0x7fff, v3
	v_lshrrev_b32_e32 v3, 16, v3
	global_store_b32 v[1:2], v3, off
.LBB7_771:
	s_and_b32 vcc_lo, exec_lo, s9
	s_cbranch_vccz .LBB7_776
; %bb.772:
	v_cmp_eq_u16_e32 vcc_lo, 44, v5
	s_mov_b32 s4, -1
	s_cbranch_vccz .LBB7_776
; %bb.773:
	v_cvt_f32_ubyte0_e32 v3, s2
	s_delay_alu instid0(VALU_DEP_1) | instskip(SKIP_1) | instid1(VALU_DEP_2)
	v_readfirstlane_b32 s8, v3
	v_mov_b32_e32 v3, 0xff
	s_lshr_b32 s4, s8, 23
	s_delay_alu instid0(SALU_CYCLE_1)
	s_cmpk_eq_i32 s4, 0xff
	s_cbranch_scc1 .LBB7_775
; %bb.774:
	s_bitcmp1_b32 s8, 22
	s_cselect_b32 s9, -1, 0
	s_and_b32 s8, s8, 0x3fffff
	s_delay_alu instid0(SALU_CYCLE_1) | instskip(NEXT) | instid1(SALU_CYCLE_1)
	s_or_b32 s8, s4, s8
	s_cmp_lg_u32 s8, 0
	s_cselect_b32 s8, -1, 0
	s_delay_alu instid0(SALU_CYCLE_1) | instskip(NEXT) | instid1(SALU_CYCLE_1)
	s_and_b32 s8, s9, s8
	v_cndmask_b32_e64 v3, 0, 1, s8
	s_delay_alu instid0(VALU_DEP_1)
	v_add_nc_u32_e32 v3, s4, v3
.LBB7_775:
	s_mov_b32 s4, 0
	s_mov_b32 s8, -1
	global_store_b8 v[1:2], v3, off
.LBB7_776:
	s_mov_b32 s9, 0
.LBB7_777:
	s_delay_alu instid0(SALU_CYCLE_1)
	s_and_b32 vcc_lo, exec_lo, s9
	s_cbranch_vccz .LBB7_780
; %bb.778:
	v_cmp_eq_u16_e32 vcc_lo, 29, v5
	s_mov_b32 s4, -1
	s_cbranch_vccz .LBB7_780
; %bb.779:
	s_and_b32 s4, s2, 0xff
	s_mov_b32 s8, -1
	v_dual_mov_b32 v3, s4 :: v_dual_mov_b32 v4, 0
	s_mov_b32 s4, 0
	global_store_b64 v[1:2], v[3:4], off
.LBB7_780:
	s_mov_b32 s9, 0
.LBB7_781:
	s_delay_alu instid0(SALU_CYCLE_1)
	s_and_b32 vcc_lo, exec_lo, s9
	s_cbranch_vccz .LBB7_803
; %bb.782:
	v_cmp_gt_i16_e32 vcc_lo, 27, v5
	s_mov_b32 s8, -1
	s_cbranch_vccnz .LBB7_788
; %bb.783:
	v_cmp_lt_i16_e32 vcc_lo, 27, v5
	s_cbranch_vccz .LBB7_785
; %bb.784:
	s_and_b32 s8, s2, 0xff
	s_delay_alu instid0(SALU_CYCLE_1)
	v_mov_b32_e32 v3, s8
	s_mov_b32 s8, 0
	global_store_b32 v[1:2], v3, off
.LBB7_785:
	s_and_not1_b32 vcc_lo, exec_lo, s8
	s_cbranch_vccnz .LBB7_787
; %bb.786:
	v_and_b32_e64 v3, 0xff, s2
	global_store_b16 v[1:2], v3, off
.LBB7_787:
	s_mov_b32 s8, 0
.LBB7_788:
	s_delay_alu instid0(SALU_CYCLE_1)
	s_and_not1_b32 vcc_lo, exec_lo, s8
	s_cbranch_vccnz .LBB7_802
; %bb.789:
	v_cvt_f32_ubyte0_e32 v3, s2
	v_mov_b32_e32 v6, 0x80
	s_delay_alu instid0(VALU_DEP_2)
	v_cmp_lt_u32_e32 vcc_lo, 0x437fffff, v3
	v_readfirstlane_b32 s8, v3
	s_cbranch_vccnz .LBB7_801
; %bb.790:
	s_delay_alu instid0(VALU_DEP_1)
	s_cmp_gt_u32 s8, 0x3bffffff
	s_cbranch_scc0 .LBB7_796
; %bb.791:
	s_bfe_u32 s9, s8, 0x10014
	s_delay_alu instid0(SALU_CYCLE_1) | instskip(SKIP_2) | instid1(SALU_CYCLE_1)
	s_add_i32 s8, s8, s9
	s_mov_b32 s9, 0
	s_add_i32 s8, s8, 0x487ffff
	s_lshr_b32 s10, s8, 20
	s_mov_b32 s8, -1
	s_branch .LBB7_797
.LBB7_792:
	s_cbranch_execnz .LBB7_794
; %bb.793:
	s_or_b32 s3, s3, exec_lo
	s_cbranch_execz .LBB7_722
	s_branch .LBB7_723
.LBB7_794:
	s_trap 2
	s_sendmsg_rtn_b32 s0, sendmsg(MSG_RTN_GET_DOORBELL)
	s_mov_b32 ttmp2, m0
	s_waitcnt lgkmcnt(0)
	s_and_b32 s0, s0, 0x3ff
	s_delay_alu instid0(SALU_CYCLE_1) | instskip(NEXT) | instid1(SALU_CYCLE_1)
	s_bitset1_b32 s0, 10
	s_mov_b32 m0, s0
	s_sendmsg sendmsg(MSG_INTERRUPT)
	s_mov_b32 m0, ttmp2
.LBB7_795:                              ; =>This Inner Loop Header: Depth=1
	s_sethalt 5
	s_branch .LBB7_795
.LBB7_796:
	s_mov_b32 s9, -1
	s_mov_b32 s8, 0
                                        ; implicit-def: $sgpr10
.LBB7_797:
	v_mov_b32_e32 v4, s10
	s_and_not1_b32 vcc_lo, exec_lo, s9
                                        ; implicit-def: $sgpr9
	s_cbranch_vccnz .LBB7_799
; %bb.798:
	v_add_f32_e32 v3, 0x46000000, v3
	s_mov_b32 s9, 0
	s_delay_alu instid0(VALU_DEP_1) | instskip(NEXT) | instid1(VALU_DEP_1)
	v_and_b32_e32 v4, 0xff, v3
	v_cmp_ne_u32_e64 s8, 0, v4
.LBB7_799:
	v_mov_b32_e32 v6, s9
	s_delay_alu instid0(VALU_DEP_2)
	s_and_not1_b32 vcc_lo, exec_lo, s8
	s_cbranch_vccnz .LBB7_801
; %bb.800:
	v_mov_b32_e32 v6, v4
.LBB7_801:
	global_store_b8 v[1:2], v6, off
.LBB7_802:
	s_mov_b32 s8, -1
.LBB7_803:
	s_mov_b32 s9, 0
.LBB7_804:
	s_delay_alu instid0(SALU_CYCLE_1)
	s_and_b32 vcc_lo, exec_lo, s9
	s_cbranch_vccz .LBB7_850
; %bb.805:
	v_cmp_lt_i16_e32 vcc_lo, 22, v5
	s_mov_b32 s5, -1
	s_cbranch_vccz .LBB7_843
; %bb.806:
	v_cmp_gt_i16_e32 vcc_lo, 24, v5
	s_cbranch_vccnz .LBB7_830
; %bb.807:
	v_cmp_lt_i16_e32 vcc_lo, 24, v5
	s_cbranch_vccz .LBB7_817
; %bb.808:
	v_cvt_f32_ubyte0_e32 v3, s2
	v_mov_b32_e32 v6, 0x80
	s_delay_alu instid0(VALU_DEP_2)
	v_cmp_lt_u32_e32 vcc_lo, 0x477fffff, v3
	v_readfirstlane_b32 s5, v3
	s_cbranch_vccnz .LBB7_816
; %bb.809:
	s_delay_alu instid0(VALU_DEP_1)
	s_cmp_gt_u32 s5, 0x37ffffff
	s_cbranch_scc0 .LBB7_811
; %bb.810:
	s_bfe_u32 s8, s5, 0x10015
	s_delay_alu instid0(SALU_CYCLE_1) | instskip(SKIP_2) | instid1(SALU_CYCLE_1)
	s_add_i32 s5, s5, s8
	s_mov_b32 s8, 0
	s_add_i32 s5, s5, 0x88fffff
	s_lshr_b32 s9, s5, 21
	s_mov_b32 s5, -1
	s_branch .LBB7_812
.LBB7_811:
	s_mov_b32 s8, -1
	s_mov_b32 s5, 0
                                        ; implicit-def: $sgpr9
.LBB7_812:
	v_mov_b32_e32 v4, s9
	s_and_not1_b32 vcc_lo, exec_lo, s8
                                        ; implicit-def: $sgpr8
	s_cbranch_vccnz .LBB7_814
; %bb.813:
	v_add_f32_e32 v3, 0x42800000, v3
	s_mov_b32 s8, 0
	s_delay_alu instid0(VALU_DEP_1) | instskip(NEXT) | instid1(VALU_DEP_1)
	v_and_b32_e32 v4, 0xff, v3
	v_cmp_ne_u32_e64 s5, 0, v4
.LBB7_814:
	v_mov_b32_e32 v6, s8
	s_delay_alu instid0(VALU_DEP_2)
	s_and_not1_b32 vcc_lo, exec_lo, s5
	s_cbranch_vccnz .LBB7_816
; %bb.815:
	v_mov_b32_e32 v6, v4
.LBB7_816:
	s_mov_b32 s5, 0
	global_store_b8 v[1:2], v6, off
.LBB7_817:
	s_and_b32 vcc_lo, exec_lo, s5
	s_cbranch_vccz .LBB7_829
; %bb.818:
	v_cvt_f32_ubyte0_e32 v3, s2
	s_delay_alu instid0(VALU_DEP_1)
	v_cmp_gt_u32_e32 vcc_lo, 0x43f00000, v3
	v_readfirstlane_b32 s5, v3
	s_cbranch_vccz .LBB7_821
; %bb.819:
	s_delay_alu instid0(VALU_DEP_1)
	s_cmp_gt_u32 s5, 0x3c7fffff
	s_cbranch_scc0 .LBB7_822
; %bb.820:
	s_bfe_u32 s8, s5, 0x10014
	s_delay_alu instid0(SALU_CYCLE_1) | instskip(NEXT) | instid1(SALU_CYCLE_1)
	s_add_i32 s8, s5, s8
	s_add_i32 s8, s8, 0x407ffff
	s_delay_alu instid0(SALU_CYCLE_1)
	s_and_b32 s9, s8, 0xff00000
	s_lshr_b32 s8, s8, 20
	s_cmp_lg_u32 s9, 0x7f00000
	s_cselect_b32 s9, s8, 0x7e
	s_mov_b32 s8, 0
	s_branch .LBB7_823
.LBB7_821:
	s_mov_b32 s8, -1
                                        ; implicit-def: $vgpr4
	s_branch .LBB7_826
.LBB7_822:
	s_mov_b32 s8, -1
                                        ; implicit-def: $sgpr9
.LBB7_823:
	v_mov_b32_e32 v4, s9
	s_and_not1_b32 vcc_lo, exec_lo, s8
	s_cbranch_vccnz .LBB7_825
; %bb.824:
	v_add_f32_e32 v4, 0x46800000, v3
.LBB7_825:
	s_mov_b32 s8, 0
.LBB7_826:
	s_delay_alu instid0(SALU_CYCLE_1)
	s_and_not1_b32 vcc_lo, exec_lo, s8
	s_cbranch_vccnz .LBB7_828
; %bb.827:
	s_cmp_gt_u32 s5, 0x7f800000
	s_movk_i32 s5, 0x7f
	s_delay_alu instid0(SALU_CYCLE_1) | instskip(NEXT) | instid1(SALU_CYCLE_1)
	s_cselect_b32 s5, s5, 0x7e
	v_mov_b32_e32 v4, s5
.LBB7_828:
	global_store_b8 v[1:2], v4, off
.LBB7_829:
	s_mov_b32 s5, 0
.LBB7_830:
	s_delay_alu instid0(SALU_CYCLE_1)
	s_and_not1_b32 vcc_lo, exec_lo, s5
	s_cbranch_vccnz .LBB7_842
; %bb.831:
	v_cvt_f32_ubyte0_e32 v3, s2
	s_delay_alu instid0(VALU_DEP_1)
	v_cmp_gt_u32_e32 vcc_lo, 0x47800000, v3
	v_readfirstlane_b32 s5, v3
	s_cbranch_vccz .LBB7_834
; %bb.832:
	s_delay_alu instid0(VALU_DEP_1)
	s_cmp_gt_u32 s5, 0x387fffff
	s_cbranch_scc0 .LBB7_835
; %bb.833:
	s_bfe_u32 s8, s5, 0x10015
	s_delay_alu instid0(SALU_CYCLE_1) | instskip(NEXT) | instid1(SALU_CYCLE_1)
	s_add_i32 s8, s5, s8
	s_add_i32 s8, s8, 0x80fffff
	s_delay_alu instid0(SALU_CYCLE_1)
	s_lshr_b32 s9, s8, 21
	s_mov_b32 s8, 0
	s_branch .LBB7_836
.LBB7_834:
	s_mov_b32 s8, -1
                                        ; implicit-def: $vgpr4
	s_branch .LBB7_839
.LBB7_835:
	s_mov_b32 s8, -1
                                        ; implicit-def: $sgpr9
.LBB7_836:
	v_mov_b32_e32 v4, s9
	s_and_not1_b32 vcc_lo, exec_lo, s8
	s_cbranch_vccnz .LBB7_838
; %bb.837:
	v_add_f32_e32 v4, 0x43000000, v3
.LBB7_838:
	s_mov_b32 s8, 0
.LBB7_839:
	s_delay_alu instid0(SALU_CYCLE_1)
	s_and_not1_b32 vcc_lo, exec_lo, s8
	s_cbranch_vccnz .LBB7_841
; %bb.840:
	s_cmp_gt_u32 s5, 0x7f800000
	s_movk_i32 s5, 0x7f
	s_delay_alu instid0(SALU_CYCLE_1) | instskip(NEXT) | instid1(SALU_CYCLE_1)
	s_cselect_b32 s5, s5, 0x7c
	v_mov_b32_e32 v4, s5
.LBB7_841:
	global_store_b8 v[1:2], v4, off
.LBB7_842:
	s_mov_b32 s5, 0
	s_mov_b32 s8, -1
.LBB7_843:
	s_and_not1_b32 vcc_lo, exec_lo, s5
	s_mov_b32 s5, 0
	s_cbranch_vccnz .LBB7_850
; %bb.844:
	v_cmp_lt_i16_e32 vcc_lo, 14, v5
	s_mov_b32 s5, -1
	s_cbranch_vccz .LBB7_848
; %bb.845:
	v_cmp_eq_u16_e32 vcc_lo, 15, v5
	s_mov_b32 s4, -1
	s_cbranch_vccz .LBB7_847
; %bb.846:
	v_cvt_f32_ubyte0_e32 v3, s2
	s_mov_b32 s4, 0
	s_mov_b32 s8, -1
	s_delay_alu instid0(VALU_DEP_1) | instskip(NEXT) | instid1(VALU_DEP_1)
	v_bfe_u32 v4, v3, 16, 1
	v_add_nc_u32_e32 v3, v3, v4
	s_delay_alu instid0(VALU_DEP_1)
	v_add_nc_u32_e32 v3, 0x7fff, v3
	global_store_d16_hi_b16 v[1:2], v3, off
.LBB7_847:
	s_mov_b32 s5, 0
.LBB7_848:
	s_delay_alu instid0(SALU_CYCLE_1)
	s_and_b32 vcc_lo, exec_lo, s5
	s_mov_b32 s5, 0
	s_cbranch_vccz .LBB7_850
; %bb.849:
	v_cmp_ne_u16_e64 s4, 11, v5
	s_mov_b32 s5, -1
.LBB7_850:
	s_delay_alu instid0(VALU_DEP_1)
	s_and_b32 vcc_lo, exec_lo, s4
	s_cbranch_vccnz .LBB7_968
; %bb.851:
	s_and_not1_b32 vcc_lo, exec_lo, s5
	s_cbranch_vccnz .LBB7_853
.LBB7_852:
	v_and_b32_e64 v3, 0xff, s2
	s_mov_b32 s8, -1
	s_delay_alu instid0(VALU_DEP_1)
	v_cmp_ne_u16_e32 vcc_lo, 0, v3
	v_cndmask_b32_e64 v3, 0, 1, vcc_lo
	global_store_b8 v[1:2], v3, off
.LBB7_853:
	s_mov_b32 s4, 0
.LBB7_854:
	s_delay_alu instid0(SALU_CYCLE_1)
	s_and_b32 vcc_lo, exec_lo, s4
	s_cbranch_vccz .LBB7_893
; %bb.855:
	v_cmp_gt_i16_e32 vcc_lo, 5, v5
	s_mov_b32 s4, -1
	s_cbranch_vccnz .LBB7_876
; %bb.856:
	v_cmp_gt_i16_e32 vcc_lo, 8, v5
	s_cbranch_vccnz .LBB7_866
; %bb.857:
	v_cmp_gt_i16_e32 vcc_lo, 9, v5
	s_cbranch_vccnz .LBB7_863
; %bb.858:
	v_cmp_lt_i16_e32 vcc_lo, 9, v5
	s_cbranch_vccz .LBB7_860
; %bb.859:
	v_and_b32_e64 v3, 0xff, s2
	s_mov_b32 s4, 0
	s_delay_alu instid0(VALU_DEP_1) | instskip(NEXT) | instid1(VALU_DEP_1)
	v_dual_mov_b32 v8, 0 :: v_dual_and_b32 v3, 0xffff, v3
	v_mov_b32_e32 v9, v8
	s_delay_alu instid0(VALU_DEP_2)
	v_cvt_f64_u32_e32 v[6:7], v3
	global_store_b128 v[1:2], v[6:9], off
.LBB7_860:
	s_and_not1_b32 vcc_lo, exec_lo, s4
	s_cbranch_vccnz .LBB7_862
; %bb.861:
	v_cvt_f32_ubyte0_e32 v3, s2
	v_mov_b32_e32 v4, 0
	global_store_b64 v[1:2], v[3:4], off
.LBB7_862:
	s_mov_b32 s4, 0
.LBB7_863:
	s_delay_alu instid0(SALU_CYCLE_1)
	s_and_not1_b32 vcc_lo, exec_lo, s4
	s_cbranch_vccnz .LBB7_865
; %bb.864:
	v_and_b32_e64 v3, 0xff, s2
	s_delay_alu instid0(VALU_DEP_1) | instskip(NEXT) | instid1(VALU_DEP_1)
	v_cvt_f16_u16_e32 v3, v3
	v_and_b32_e32 v3, 0xffff, v3
	global_store_b32 v[1:2], v3, off
.LBB7_865:
	s_mov_b32 s4, 0
.LBB7_866:
	s_delay_alu instid0(SALU_CYCLE_1)
	s_and_not1_b32 vcc_lo, exec_lo, s4
	s_cbranch_vccnz .LBB7_875
; %bb.867:
	v_cmp_gt_i16_e32 vcc_lo, 6, v5
	s_mov_b32 s4, -1
	s_cbranch_vccnz .LBB7_873
; %bb.868:
	v_cmp_lt_i16_e32 vcc_lo, 6, v5
	s_cbranch_vccz .LBB7_870
; %bb.869:
	v_and_b32_e64 v3, 0xff, s2
	s_mov_b32 s4, 0
	s_delay_alu instid0(VALU_DEP_1) | instskip(NEXT) | instid1(VALU_DEP_1)
	v_and_b32_e32 v3, 0xffff, v3
	v_cvt_f64_u32_e32 v[3:4], v3
	global_store_b64 v[1:2], v[3:4], off
.LBB7_870:
	s_and_not1_b32 vcc_lo, exec_lo, s4
	s_cbranch_vccnz .LBB7_872
; %bb.871:
	v_cvt_f32_ubyte0_e32 v3, s2
	global_store_b32 v[1:2], v3, off
.LBB7_872:
	s_mov_b32 s4, 0
.LBB7_873:
	s_delay_alu instid0(SALU_CYCLE_1)
	s_and_not1_b32 vcc_lo, exec_lo, s4
	s_cbranch_vccnz .LBB7_875
; %bb.874:
	v_and_b32_e64 v3, 0xff, s2
	s_delay_alu instid0(VALU_DEP_1)
	v_cvt_f16_u16_e32 v3, v3
	global_store_b16 v[1:2], v3, off
.LBB7_875:
	s_mov_b32 s4, 0
.LBB7_876:
	s_delay_alu instid0(SALU_CYCLE_1)
	s_and_not1_b32 vcc_lo, exec_lo, s4
	s_cbranch_vccnz .LBB7_892
; %bb.877:
	v_cmp_gt_i16_e32 vcc_lo, 2, v5
	s_mov_b32 s4, -1
	s_cbranch_vccnz .LBB7_887
; %bb.878:
	v_cmp_gt_i16_e32 vcc_lo, 3, v5
	s_cbranch_vccnz .LBB7_884
; %bb.879:
	v_cmp_lt_i16_e32 vcc_lo, 3, v5
	s_cbranch_vccz .LBB7_881
; %bb.880:
	s_and_b32 s4, s2, 0xff
	s_delay_alu instid0(SALU_CYCLE_1)
	v_dual_mov_b32 v4, 0 :: v_dual_mov_b32 v3, s4
	s_mov_b32 s4, 0
	global_store_b64 v[1:2], v[3:4], off
.LBB7_881:
	s_and_not1_b32 vcc_lo, exec_lo, s4
	s_cbranch_vccnz .LBB7_883
; %bb.882:
	s_and_b32 s4, s2, 0xff
	s_delay_alu instid0(SALU_CYCLE_1)
	v_mov_b32_e32 v3, s4
	global_store_b32 v[1:2], v3, off
.LBB7_883:
	s_mov_b32 s4, 0
.LBB7_884:
	s_delay_alu instid0(SALU_CYCLE_1)
	s_and_not1_b32 vcc_lo, exec_lo, s4
	s_cbranch_vccnz .LBB7_886
; %bb.885:
	v_and_b32_e64 v3, 0xff, s2
	global_store_b16 v[1:2], v3, off
.LBB7_886:
	s_mov_b32 s4, 0
.LBB7_887:
	s_delay_alu instid0(SALU_CYCLE_1)
	s_and_not1_b32 vcc_lo, exec_lo, s4
	s_cbranch_vccnz .LBB7_892
; %bb.888:
	v_cmp_lt_i16_e32 vcc_lo, 0, v5
	s_mov_b32 s4, -1
	s_cbranch_vccz .LBB7_890
; %bb.889:
	v_mov_b32_e32 v3, s2
	s_mov_b32 s4, 0
	global_store_b8 v[1:2], v3, off
.LBB7_890:
	s_and_not1_b32 vcc_lo, exec_lo, s4
	s_cbranch_vccnz .LBB7_892
; %bb.891:
	v_mov_b32_e32 v3, s2
	global_store_b8 v[1:2], v3, off
.LBB7_892:
	s_mov_b32 s8, -1
.LBB7_893:
	s_delay_alu instid0(SALU_CYCLE_1)
	s_and_not1_b32 vcc_lo, exec_lo, s8
	s_cbranch_vccnz .LBB7_923
; %bb.894:
	v_cmp_gt_i16_e32 vcc_lo, 11, v5
	v_add_co_u32 v0, s0, s0, v0
	s_delay_alu instid0(VALU_DEP_1)
	v_add_co_ci_u32_e64 v1, null, s1, 0, s0
	s_mov_b32 s4, 0
	s_mov_b32 s0, -1
	s_cbranch_vccnz .LBB7_924
; %bb.895:
	v_cmp_lt_i16_e32 vcc_lo, 25, v5
	s_mov_b32 s1, -1
	s_mov_b32 s0, 0
	s_cbranch_vccz .LBB7_979
; %bb.896:
	v_cmp_lt_i16_e32 vcc_lo, 28, v5
	s_cbranch_vccz .LBB7_912
; %bb.897:
	v_cmp_lt_i16_e32 vcc_lo, 43, v5
	;; [unrolled: 3-line block ×3, first 2 shown]
	s_cbranch_vccz .LBB7_902
; %bb.899:
	v_cmp_eq_u16_e32 vcc_lo, 46, v5
	s_mov_b32 s0, -1
	s_cbranch_vccz .LBB7_901
; %bb.900:
	v_cvt_f32_ubyte0_e32 v2, s2
	s_mov_b32 s0, 0
	s_delay_alu instid0(VALU_DEP_1) | instskip(NEXT) | instid1(VALU_DEP_1)
	v_bfe_u32 v3, v2, 16, 1
	v_add_nc_u32_e32 v2, v2, v3
	s_delay_alu instid0(VALU_DEP_1) | instskip(NEXT) | instid1(VALU_DEP_1)
	v_add_nc_u32_e32 v2, 0x7fff, v2
	v_lshrrev_b32_e32 v2, 16, v2
	global_store_b32 v[0:1], v2, off
.LBB7_901:
	s_mov_b32 s1, 0
.LBB7_902:
	s_delay_alu instid0(SALU_CYCLE_1)
	s_and_b32 vcc_lo, exec_lo, s1
	s_cbranch_vccz .LBB7_907
; %bb.903:
	v_cmp_eq_u16_e32 vcc_lo, 44, v5
	s_mov_b32 s0, -1
	s_cbranch_vccz .LBB7_907
; %bb.904:
	v_cvt_f32_ubyte0_e32 v2, s2
	s_delay_alu instid0(VALU_DEP_1) | instskip(SKIP_1) | instid1(VALU_DEP_2)
	v_readfirstlane_b32 s1, v2
	v_mov_b32_e32 v2, 0xff
	s_lshr_b32 s0, s1, 23
	s_delay_alu instid0(SALU_CYCLE_1)
	s_cmpk_eq_i32 s0, 0xff
	s_cbranch_scc1 .LBB7_906
; %bb.905:
	s_bitcmp1_b32 s1, 22
	s_cselect_b32 s5, -1, 0
	s_and_b32 s1, s1, 0x3fffff
	s_delay_alu instid0(SALU_CYCLE_1) | instskip(NEXT) | instid1(SALU_CYCLE_1)
	s_or_b32 s1, s0, s1
	s_cmp_lg_u32 s1, 0
	s_cselect_b32 s1, -1, 0
	s_delay_alu instid0(SALU_CYCLE_1) | instskip(NEXT) | instid1(SALU_CYCLE_1)
	s_and_b32 s1, s5, s1
	v_cndmask_b32_e64 v2, 0, 1, s1
	s_delay_alu instid0(VALU_DEP_1)
	v_add_nc_u32_e32 v2, s0, v2
.LBB7_906:
	s_mov_b32 s0, 0
	global_store_b8 v[0:1], v2, off
.LBB7_907:
	s_mov_b32 s1, 0
.LBB7_908:
	s_delay_alu instid0(SALU_CYCLE_1)
	s_and_b32 vcc_lo, exec_lo, s1
	s_cbranch_vccz .LBB7_911
; %bb.909:
	v_cmp_eq_u16_e32 vcc_lo, 29, v5
	s_mov_b32 s0, -1
	s_cbranch_vccz .LBB7_911
; %bb.910:
	s_and_b32 s0, s2, 0xff
	s_delay_alu instid0(SALU_CYCLE_1)
	v_dual_mov_b32 v3, 0 :: v_dual_mov_b32 v2, s0
	s_mov_b32 s0, 0
	global_store_b64 v[0:1], v[2:3], off
.LBB7_911:
	s_mov_b32 s1, 0
.LBB7_912:
	s_delay_alu instid0(SALU_CYCLE_1)
	s_and_b32 vcc_lo, exec_lo, s1
	s_cbranch_vccz .LBB7_978
; %bb.913:
	v_cmp_gt_i16_e32 vcc_lo, 27, v5
	s_mov_b32 s1, -1
	s_cbranch_vccnz .LBB7_919
; %bb.914:
	v_cmp_lt_i16_e32 vcc_lo, 27, v5
	s_cbranch_vccz .LBB7_916
; %bb.915:
	s_and_b32 s1, s2, 0xff
	s_delay_alu instid0(SALU_CYCLE_1)
	v_mov_b32_e32 v2, s1
	s_mov_b32 s1, 0
	global_store_b32 v[0:1], v2, off
.LBB7_916:
	s_and_not1_b32 vcc_lo, exec_lo, s1
	s_cbranch_vccnz .LBB7_918
; %bb.917:
	v_and_b32_e64 v2, 0xff, s2
	global_store_b16 v[0:1], v2, off
.LBB7_918:
	s_mov_b32 s1, 0
.LBB7_919:
	s_delay_alu instid0(SALU_CYCLE_1)
	s_and_not1_b32 vcc_lo, exec_lo, s1
	s_cbranch_vccnz .LBB7_978
; %bb.920:
	v_cvt_f32_ubyte0_e32 v2, s2
	v_mov_b32_e32 v4, 0x80
	s_delay_alu instid0(VALU_DEP_2)
	v_cmp_lt_u32_e32 vcc_lo, 0x437fffff, v2
	v_readfirstlane_b32 s1, v2
	s_cbranch_vccnz .LBB7_977
; %bb.921:
	s_delay_alu instid0(VALU_DEP_1)
	s_cmp_gt_u32 s1, 0x3bffffff
	s_cbranch_scc0 .LBB7_972
; %bb.922:
	s_bfe_u32 s5, s1, 0x10014
	s_delay_alu instid0(SALU_CYCLE_1) | instskip(SKIP_2) | instid1(SALU_CYCLE_1)
	s_add_i32 s1, s1, s5
	s_mov_b32 s5, 0
	s_add_i32 s1, s1, 0x487ffff
	s_lshr_b32 s8, s1, 20
	s_mov_b32 s1, -1
	s_branch .LBB7_973
.LBB7_923:
	s_mov_b32 s0, 0
	s_mov_b32 s4, 0
                                        ; implicit-def: $vgpr5
                                        ; implicit-def: $vgpr0_vgpr1
.LBB7_924:
	s_and_b32 s5, s0, exec_lo
	s_and_not1_b32 s0, s6, exec_lo
	s_and_b32 s1, s3, exec_lo
	s_and_b32 s31, s4, exec_lo
	s_or_b32 s6, s0, s1
.LBB7_925:
	s_or_b32 exec_lo, exec_lo, s7
	s_and_saveexec_b32 s0, s6
	s_cbranch_execz .LBB7_928
; %bb.926:
	; divergent unreachable
	s_or_b32 exec_lo, exec_lo, s0
	s_and_saveexec_b32 s0, s31
	s_delay_alu instid0(SALU_CYCLE_1)
	s_xor_b32 s0, exec_lo, s0
	s_cbranch_execnz .LBB7_929
.LBB7_927:
	s_or_b32 exec_lo, exec_lo, s0
	s_and_saveexec_b32 s0, s5
	s_cbranch_execnz .LBB7_930
	s_branch .LBB7_967
.LBB7_928:
	s_or_b32 exec_lo, exec_lo, s0
	s_and_saveexec_b32 s0, s31
	s_delay_alu instid0(SALU_CYCLE_1)
	s_xor_b32 s0, exec_lo, s0
	s_cbranch_execz .LBB7_927
.LBB7_929:
	v_and_b32_e64 v2, 0xff, s2
	s_delay_alu instid0(VALU_DEP_1)
	v_cmp_ne_u16_e32 vcc_lo, 0, v2
	v_cndmask_b32_e64 v2, 0, 1, vcc_lo
	global_store_b8 v[0:1], v2, off
	s_or_b32 exec_lo, exec_lo, s0
	s_and_saveexec_b32 s0, s5
	s_cbranch_execz .LBB7_967
.LBB7_930:
	v_cmp_gt_i16_e32 vcc_lo, 5, v5
	s_mov_b32 s0, -1
	s_cbranch_vccnz .LBB7_951
; %bb.931:
	v_cmp_gt_i16_e32 vcc_lo, 8, v5
	s_cbranch_vccnz .LBB7_941
; %bb.932:
	v_cmp_gt_i16_e32 vcc_lo, 9, v5
	s_cbranch_vccnz .LBB7_938
; %bb.933:
	v_cmp_lt_i16_e32 vcc_lo, 9, v5
	s_cbranch_vccz .LBB7_935
; %bb.934:
	v_and_b32_e64 v2, 0xff, s2
	v_mov_b32_e32 v8, 0
	s_mov_b32 s0, 0
	s_delay_alu instid0(VALU_DEP_1) | instskip(NEXT) | instid1(VALU_DEP_1)
	v_dual_mov_b32 v9, v8 :: v_dual_and_b32 v2, 0xffff, v2
	v_cvt_f64_u32_e32 v[6:7], v2
	global_store_b128 v[0:1], v[6:9], off
.LBB7_935:
	s_and_not1_b32 vcc_lo, exec_lo, s0
	s_cbranch_vccnz .LBB7_937
; %bb.936:
	v_cvt_f32_ubyte0_e32 v2, s2
	v_mov_b32_e32 v3, 0
	global_store_b64 v[0:1], v[2:3], off
.LBB7_937:
	s_mov_b32 s0, 0
.LBB7_938:
	s_delay_alu instid0(SALU_CYCLE_1)
	s_and_not1_b32 vcc_lo, exec_lo, s0
	s_cbranch_vccnz .LBB7_940
; %bb.939:
	v_and_b32_e64 v2, 0xff, s2
	s_delay_alu instid0(VALU_DEP_1) | instskip(NEXT) | instid1(VALU_DEP_1)
	v_cvt_f16_u16_e32 v2, v2
	v_and_b32_e32 v2, 0xffff, v2
	global_store_b32 v[0:1], v2, off
.LBB7_940:
	s_mov_b32 s0, 0
.LBB7_941:
	s_delay_alu instid0(SALU_CYCLE_1)
	s_and_not1_b32 vcc_lo, exec_lo, s0
	s_cbranch_vccnz .LBB7_950
; %bb.942:
	v_cmp_gt_i16_e32 vcc_lo, 6, v5
	s_mov_b32 s0, -1
	s_cbranch_vccnz .LBB7_948
; %bb.943:
	v_cmp_lt_i16_e32 vcc_lo, 6, v5
	s_cbranch_vccz .LBB7_945
; %bb.944:
	v_and_b32_e64 v2, 0xff, s2
	s_mov_b32 s0, 0
	s_delay_alu instid0(VALU_DEP_1) | instskip(NEXT) | instid1(VALU_DEP_1)
	v_and_b32_e32 v2, 0xffff, v2
	v_cvt_f64_u32_e32 v[2:3], v2
	global_store_b64 v[0:1], v[2:3], off
.LBB7_945:
	s_and_not1_b32 vcc_lo, exec_lo, s0
	s_cbranch_vccnz .LBB7_947
; %bb.946:
	v_cvt_f32_ubyte0_e32 v2, s2
	global_store_b32 v[0:1], v2, off
.LBB7_947:
	s_mov_b32 s0, 0
.LBB7_948:
	s_delay_alu instid0(SALU_CYCLE_1)
	s_and_not1_b32 vcc_lo, exec_lo, s0
	s_cbranch_vccnz .LBB7_950
; %bb.949:
	v_and_b32_e64 v2, 0xff, s2
	s_delay_alu instid0(VALU_DEP_1)
	v_cvt_f16_u16_e32 v2, v2
	global_store_b16 v[0:1], v2, off
.LBB7_950:
	s_mov_b32 s0, 0
.LBB7_951:
	s_delay_alu instid0(SALU_CYCLE_1)
	s_and_not1_b32 vcc_lo, exec_lo, s0
	s_cbranch_vccnz .LBB7_967
; %bb.952:
	v_cmp_gt_i16_e32 vcc_lo, 2, v5
	s_mov_b32 s0, -1
	s_cbranch_vccnz .LBB7_962
; %bb.953:
	v_cmp_gt_i16_e32 vcc_lo, 3, v5
	s_cbranch_vccnz .LBB7_959
; %bb.954:
	v_cmp_lt_i16_e32 vcc_lo, 3, v5
	s_cbranch_vccz .LBB7_956
; %bb.955:
	s_and_b32 s0, s2, 0xff
	s_delay_alu instid0(SALU_CYCLE_1)
	v_dual_mov_b32 v3, 0 :: v_dual_mov_b32 v2, s0
	s_mov_b32 s0, 0
	global_store_b64 v[0:1], v[2:3], off
.LBB7_956:
	s_and_not1_b32 vcc_lo, exec_lo, s0
	s_cbranch_vccnz .LBB7_958
; %bb.957:
	s_and_b32 s0, s2, 0xff
	s_delay_alu instid0(SALU_CYCLE_1)
	v_mov_b32_e32 v2, s0
	global_store_b32 v[0:1], v2, off
.LBB7_958:
	s_mov_b32 s0, 0
.LBB7_959:
	s_delay_alu instid0(SALU_CYCLE_1)
	s_and_not1_b32 vcc_lo, exec_lo, s0
	s_cbranch_vccnz .LBB7_961
; %bb.960:
	v_and_b32_e64 v2, 0xff, s2
	global_store_b16 v[0:1], v2, off
.LBB7_961:
	s_mov_b32 s0, 0
.LBB7_962:
	s_delay_alu instid0(SALU_CYCLE_1)
	s_and_not1_b32 vcc_lo, exec_lo, s0
	s_cbranch_vccnz .LBB7_967
; %bb.963:
	v_cmp_lt_i16_e32 vcc_lo, 0, v5
	s_mov_b32 s0, -1
	s_cbranch_vccz .LBB7_965
; %bb.964:
	v_mov_b32_e32 v2, s2
	s_mov_b32 s0, 0
	global_store_b8 v[0:1], v2, off
.LBB7_965:
	s_and_not1_b32 vcc_lo, exec_lo, s0
	s_cbranch_vccnz .LBB7_967
; %bb.966:
	v_mov_b32_e32 v2, s2
	global_store_b8 v[0:1], v2, off
	s_nop 0
	s_sendmsg sendmsg(MSG_DEALLOC_VGPRS)
	s_endpgm
.LBB7_967:
	s_nop 0
	s_sendmsg sendmsg(MSG_DEALLOC_VGPRS)
	s_endpgm
.LBB7_968:
	s_cbranch_execnz .LBB7_970
; %bb.969:
	s_or_b32 s3, s3, exec_lo
	s_cbranch_execz .LBB7_852
	s_branch .LBB7_853
.LBB7_970:
	s_trap 2
	s_sendmsg_rtn_b32 s0, sendmsg(MSG_RTN_GET_DOORBELL)
	s_mov_b32 ttmp2, m0
	s_waitcnt lgkmcnt(0)
	s_and_b32 s0, s0, 0x3ff
	s_delay_alu instid0(SALU_CYCLE_1) | instskip(NEXT) | instid1(SALU_CYCLE_1)
	s_bitset1_b32 s0, 10
	s_mov_b32 m0, s0
	s_sendmsg sendmsg(MSG_INTERRUPT)
	s_mov_b32 m0, ttmp2
.LBB7_971:                              ; =>This Inner Loop Header: Depth=1
	s_sethalt 5
	s_branch .LBB7_971
.LBB7_972:
	s_mov_b32 s5, -1
	s_mov_b32 s1, 0
                                        ; implicit-def: $sgpr8
.LBB7_973:
	v_mov_b32_e32 v3, s8
	s_and_not1_b32 vcc_lo, exec_lo, s5
                                        ; implicit-def: $sgpr5
	s_cbranch_vccnz .LBB7_975
; %bb.974:
	v_add_f32_e32 v2, 0x46000000, v2
	s_mov_b32 s5, 0
	s_delay_alu instid0(VALU_DEP_1) | instskip(NEXT) | instid1(VALU_DEP_1)
	v_and_b32_e32 v3, 0xff, v2
	v_cmp_ne_u32_e64 s1, 0, v3
.LBB7_975:
	v_mov_b32_e32 v4, s5
	s_delay_alu instid0(VALU_DEP_2)
	s_and_not1_b32 vcc_lo, exec_lo, s1
	s_cbranch_vccnz .LBB7_977
; %bb.976:
	v_mov_b32_e32 v4, v3
.LBB7_977:
	global_store_b8 v[0:1], v4, off
.LBB7_978:
	s_mov_b32 s1, 0
.LBB7_979:
	s_delay_alu instid0(SALU_CYCLE_1)
	s_and_b32 vcc_lo, exec_lo, s1
	s_cbranch_vccz .LBB7_1025
; %bb.980:
	v_cmp_lt_i16_e32 vcc_lo, 22, v5
	s_mov_b32 s1, -1
	s_cbranch_vccz .LBB7_1018
; %bb.981:
	v_cmp_gt_i16_e32 vcc_lo, 24, v5
	s_cbranch_vccnz .LBB7_1005
; %bb.982:
	v_cmp_lt_i16_e32 vcc_lo, 24, v5
	s_cbranch_vccz .LBB7_992
; %bb.983:
	v_cvt_f32_ubyte0_e32 v2, s2
	v_mov_b32_e32 v4, 0x80
	s_delay_alu instid0(VALU_DEP_2)
	v_cmp_lt_u32_e32 vcc_lo, 0x477fffff, v2
	v_readfirstlane_b32 s1, v2
	s_cbranch_vccnz .LBB7_991
; %bb.984:
	s_delay_alu instid0(VALU_DEP_1)
	s_cmp_gt_u32 s1, 0x37ffffff
	s_cbranch_scc0 .LBB7_986
; %bb.985:
	s_bfe_u32 s4, s1, 0x10015
	s_delay_alu instid0(SALU_CYCLE_1) | instskip(SKIP_2) | instid1(SALU_CYCLE_1)
	s_add_i32 s1, s1, s4
	s_mov_b32 s4, 0
	s_add_i32 s1, s1, 0x88fffff
	s_lshr_b32 s5, s1, 21
	s_mov_b32 s1, -1
	s_branch .LBB7_987
.LBB7_986:
	s_mov_b32 s4, -1
	s_mov_b32 s1, 0
                                        ; implicit-def: $sgpr5
.LBB7_987:
	v_mov_b32_e32 v3, s5
	s_and_not1_b32 vcc_lo, exec_lo, s4
                                        ; implicit-def: $sgpr4
	s_cbranch_vccnz .LBB7_989
; %bb.988:
	v_add_f32_e32 v2, 0x42800000, v2
	s_mov_b32 s4, 0
	s_delay_alu instid0(VALU_DEP_1) | instskip(NEXT) | instid1(VALU_DEP_1)
	v_and_b32_e32 v3, 0xff, v2
	v_cmp_ne_u32_e64 s1, 0, v3
.LBB7_989:
	v_mov_b32_e32 v4, s4
	s_delay_alu instid0(VALU_DEP_2)
	s_and_not1_b32 vcc_lo, exec_lo, s1
	s_cbranch_vccnz .LBB7_991
; %bb.990:
	v_mov_b32_e32 v4, v3
.LBB7_991:
	s_mov_b32 s1, 0
	global_store_b8 v[0:1], v4, off
.LBB7_992:
	s_and_b32 vcc_lo, exec_lo, s1
	s_cbranch_vccz .LBB7_1004
; %bb.993:
	v_cvt_f32_ubyte0_e32 v2, s2
	s_delay_alu instid0(VALU_DEP_1)
	v_cmp_gt_u32_e32 vcc_lo, 0x43f00000, v2
	v_readfirstlane_b32 s1, v2
	s_cbranch_vccz .LBB7_996
; %bb.994:
	s_delay_alu instid0(VALU_DEP_1)
	s_cmp_gt_u32 s1, 0x3c7fffff
	s_cbranch_scc0 .LBB7_997
; %bb.995:
	s_bfe_u32 s4, s1, 0x10014
	s_delay_alu instid0(SALU_CYCLE_1) | instskip(NEXT) | instid1(SALU_CYCLE_1)
	s_add_i32 s4, s1, s4
	s_add_i32 s4, s4, 0x407ffff
	s_delay_alu instid0(SALU_CYCLE_1)
	s_and_b32 s5, s4, 0xff00000
	s_lshr_b32 s4, s4, 20
	s_cmp_lg_u32 s5, 0x7f00000
	s_cselect_b32 s5, s4, 0x7e
	s_mov_b32 s4, 0
	s_branch .LBB7_998
.LBB7_996:
	s_mov_b32 s4, -1
                                        ; implicit-def: $vgpr3
	s_branch .LBB7_1001
.LBB7_997:
	s_mov_b32 s4, -1
                                        ; implicit-def: $sgpr5
.LBB7_998:
	v_mov_b32_e32 v3, s5
	s_and_not1_b32 vcc_lo, exec_lo, s4
	s_cbranch_vccnz .LBB7_1000
; %bb.999:
	v_add_f32_e32 v3, 0x46800000, v2
.LBB7_1000:
	s_mov_b32 s4, 0
.LBB7_1001:
	s_delay_alu instid0(SALU_CYCLE_1)
	s_and_not1_b32 vcc_lo, exec_lo, s4
	s_cbranch_vccnz .LBB7_1003
; %bb.1002:
	s_cmp_gt_u32 s1, 0x7f800000
	s_movk_i32 s1, 0x7f
	s_delay_alu instid0(SALU_CYCLE_1) | instskip(NEXT) | instid1(SALU_CYCLE_1)
	s_cselect_b32 s1, s1, 0x7e
	v_mov_b32_e32 v3, s1
.LBB7_1003:
	global_store_b8 v[0:1], v3, off
.LBB7_1004:
	s_mov_b32 s1, 0
.LBB7_1005:
	s_delay_alu instid0(SALU_CYCLE_1)
	s_and_not1_b32 vcc_lo, exec_lo, s1
	s_cbranch_vccnz .LBB7_1017
; %bb.1006:
	v_cvt_f32_ubyte0_e32 v2, s2
	s_delay_alu instid0(VALU_DEP_1)
	v_cmp_gt_u32_e32 vcc_lo, 0x47800000, v2
	v_readfirstlane_b32 s1, v2
	s_cbranch_vccz .LBB7_1009
; %bb.1007:
	s_delay_alu instid0(VALU_DEP_1)
	s_cmp_gt_u32 s1, 0x387fffff
	s_cbranch_scc0 .LBB7_1010
; %bb.1008:
	s_bfe_u32 s4, s1, 0x10015
	s_delay_alu instid0(SALU_CYCLE_1) | instskip(NEXT) | instid1(SALU_CYCLE_1)
	s_add_i32 s4, s1, s4
	s_add_i32 s4, s4, 0x80fffff
	s_delay_alu instid0(SALU_CYCLE_1)
	s_lshr_b32 s5, s4, 21
	s_mov_b32 s4, 0
	s_branch .LBB7_1011
.LBB7_1009:
	s_mov_b32 s4, -1
                                        ; implicit-def: $vgpr3
	s_branch .LBB7_1014
.LBB7_1010:
	s_mov_b32 s4, -1
                                        ; implicit-def: $sgpr5
.LBB7_1011:
	v_mov_b32_e32 v3, s5
	s_and_not1_b32 vcc_lo, exec_lo, s4
	s_cbranch_vccnz .LBB7_1013
; %bb.1012:
	v_add_f32_e32 v3, 0x43000000, v2
.LBB7_1013:
	s_mov_b32 s4, 0
.LBB7_1014:
	s_delay_alu instid0(SALU_CYCLE_1)
	s_and_not1_b32 vcc_lo, exec_lo, s4
	s_cbranch_vccnz .LBB7_1016
; %bb.1015:
	s_cmp_gt_u32 s1, 0x7f800000
	s_movk_i32 s1, 0x7f
	s_delay_alu instid0(SALU_CYCLE_1) | instskip(NEXT) | instid1(SALU_CYCLE_1)
	s_cselect_b32 s1, s1, 0x7c
	v_mov_b32_e32 v3, s1
.LBB7_1016:
	global_store_b8 v[0:1], v3, off
.LBB7_1017:
	s_mov_b32 s1, 0
.LBB7_1018:
	s_delay_alu instid0(SALU_CYCLE_1)
	s_and_not1_b32 vcc_lo, exec_lo, s1
	s_mov_b32 s4, 0
	s_cbranch_vccnz .LBB7_1025
; %bb.1019:
	v_cmp_lt_i16_e32 vcc_lo, 14, v5
	s_mov_b32 s1, -1
	s_cbranch_vccz .LBB7_1023
; %bb.1020:
	v_cmp_eq_u16_e32 vcc_lo, 15, v5
	s_mov_b32 s0, -1
	s_cbranch_vccz .LBB7_1022
; %bb.1021:
	v_cvt_f32_ubyte0_e32 v2, s2
	s_mov_b32 s0, 0
	s_delay_alu instid0(VALU_DEP_1) | instskip(NEXT) | instid1(VALU_DEP_1)
	v_bfe_u32 v3, v2, 16, 1
	v_add_nc_u32_e32 v2, v2, v3
	s_delay_alu instid0(VALU_DEP_1)
	v_add_nc_u32_e32 v2, 0x7fff, v2
	global_store_d16_hi_b16 v[0:1], v2, off
.LBB7_1022:
	s_mov_b32 s1, 0
.LBB7_1023:
	s_delay_alu instid0(SALU_CYCLE_1)
	s_and_b32 vcc_lo, exec_lo, s1
	s_cbranch_vccz .LBB7_1025
; %bb.1024:
	v_cmp_ne_u16_e64 s0, 11, v5
	s_mov_b32 s4, -1
.LBB7_1025:
	s_delay_alu instid0(VALU_DEP_1)
	s_and_b32 vcc_lo, exec_lo, s0
	s_cbranch_vccnz .LBB7_1027
.LBB7_1026:
	s_mov_b32 s0, 0
	s_branch .LBB7_924
.LBB7_1027:
	s_cbranch_execnz .LBB7_1029
; %bb.1028:
	s_mov_b32 s4, 0
	s_or_b32 s3, s3, exec_lo
	s_branch .LBB7_1026
.LBB7_1029:
	s_trap 2
	s_sendmsg_rtn_b32 s0, sendmsg(MSG_RTN_GET_DOORBELL)
	s_mov_b32 ttmp2, m0
	s_waitcnt lgkmcnt(0)
	s_and_b32 s0, s0, 0x3ff
	s_delay_alu instid0(SALU_CYCLE_1) | instskip(NEXT) | instid1(SALU_CYCLE_1)
	s_bitset1_b32 s0, 10
	s_mov_b32 m0, s0
	s_sendmsg sendmsg(MSG_INTERRUPT)
	s_mov_b32 m0, ttmp2
.LBB7_1030:                             ; =>This Inner Loop Header: Depth=1
	s_sethalt 5
	s_branch .LBB7_1030
	.section	.rodata,"a",@progbits
	.p2align	6, 0x0
	.amdhsa_kernel _ZN2at6native32elementwise_kernel_manual_unrollILi128ELi4EZNS0_15gpu_kernel_implINS0_11FillFunctorIhEEEEvRNS_18TensorIteratorBaseERKT_EUlibE0_EEviT1_
		.amdhsa_group_segment_fixed_size 0
		.amdhsa_private_segment_fixed_size 0
		.amdhsa_kernarg_size 288
		.amdhsa_user_sgpr_count 15
		.amdhsa_user_sgpr_dispatch_ptr 0
		.amdhsa_user_sgpr_queue_ptr 0
		.amdhsa_user_sgpr_kernarg_segment_ptr 1
		.amdhsa_user_sgpr_dispatch_id 0
		.amdhsa_user_sgpr_private_segment_size 0
		.amdhsa_wavefront_size32 1
		.amdhsa_uses_dynamic_stack 0
		.amdhsa_enable_private_segment 0
		.amdhsa_system_sgpr_workgroup_id_x 1
		.amdhsa_system_sgpr_workgroup_id_y 0
		.amdhsa_system_sgpr_workgroup_id_z 0
		.amdhsa_system_sgpr_workgroup_info 0
		.amdhsa_system_vgpr_workitem_id 0
		.amdhsa_next_free_vgpr 30
		.amdhsa_next_free_sgpr 68
		.amdhsa_reserve_vcc 1
		.amdhsa_float_round_mode_32 0
		.amdhsa_float_round_mode_16_64 0
		.amdhsa_float_denorm_mode_32 3
		.amdhsa_float_denorm_mode_16_64 3
		.amdhsa_dx10_clamp 1
		.amdhsa_ieee_mode 1
		.amdhsa_fp16_overflow 0
		.amdhsa_workgroup_processor_mode 1
		.amdhsa_memory_ordered 1
		.amdhsa_forward_progress 0
		.amdhsa_shared_vgpr_count 0
		.amdhsa_exception_fp_ieee_invalid_op 0
		.amdhsa_exception_fp_denorm_src 0
		.amdhsa_exception_fp_ieee_div_zero 0
		.amdhsa_exception_fp_ieee_overflow 0
		.amdhsa_exception_fp_ieee_underflow 0
		.amdhsa_exception_fp_ieee_inexact 0
		.amdhsa_exception_int_div_zero 0
	.end_amdhsa_kernel
	.section	.text._ZN2at6native32elementwise_kernel_manual_unrollILi128ELi4EZNS0_15gpu_kernel_implINS0_11FillFunctorIhEEEEvRNS_18TensorIteratorBaseERKT_EUlibE0_EEviT1_,"axG",@progbits,_ZN2at6native32elementwise_kernel_manual_unrollILi128ELi4EZNS0_15gpu_kernel_implINS0_11FillFunctorIhEEEEvRNS_18TensorIteratorBaseERKT_EUlibE0_EEviT1_,comdat
.Lfunc_end7:
	.size	_ZN2at6native32elementwise_kernel_manual_unrollILi128ELi4EZNS0_15gpu_kernel_implINS0_11FillFunctorIhEEEEvRNS_18TensorIteratorBaseERKT_EUlibE0_EEviT1_, .Lfunc_end7-_ZN2at6native32elementwise_kernel_manual_unrollILi128ELi4EZNS0_15gpu_kernel_implINS0_11FillFunctorIhEEEEvRNS_18TensorIteratorBaseERKT_EUlibE0_EEviT1_
                                        ; -- End function
	.section	.AMDGPU.csdata,"",@progbits
; Kernel info:
; codeLenInByte = 18832
; NumSgprs: 70
; NumVgprs: 30
; ScratchSize: 0
; MemoryBound: 0
; FloatMode: 240
; IeeeMode: 1
; LDSByteSize: 0 bytes/workgroup (compile time only)
; SGPRBlocks: 8
; VGPRBlocks: 3
; NumSGPRsForWavesPerEU: 70
; NumVGPRsForWavesPerEU: 30
; Occupancy: 16
; WaveLimiterHint : 1
; COMPUTE_PGM_RSRC2:SCRATCH_EN: 0
; COMPUTE_PGM_RSRC2:USER_SGPR: 15
; COMPUTE_PGM_RSRC2:TRAP_HANDLER: 0
; COMPUTE_PGM_RSRC2:TGID_X_EN: 1
; COMPUTE_PGM_RSRC2:TGID_Y_EN: 0
; COMPUTE_PGM_RSRC2:TGID_Z_EN: 0
; COMPUTE_PGM_RSRC2:TIDIG_COMP_CNT: 0
	.section	.text._ZN2at6native29vectorized_elementwise_kernelILi16ENS0_11FillFunctorIaEESt5arrayIPcLm1EEEEviT0_T1_,"axG",@progbits,_ZN2at6native29vectorized_elementwise_kernelILi16ENS0_11FillFunctorIaEESt5arrayIPcLm1EEEEviT0_T1_,comdat
	.protected	_ZN2at6native29vectorized_elementwise_kernelILi16ENS0_11FillFunctorIaEESt5arrayIPcLm1EEEEviT0_T1_ ; -- Begin function _ZN2at6native29vectorized_elementwise_kernelILi16ENS0_11FillFunctorIaEESt5arrayIPcLm1EEEEviT0_T1_
	.globl	_ZN2at6native29vectorized_elementwise_kernelILi16ENS0_11FillFunctorIaEESt5arrayIPcLm1EEEEviT0_T1_
	.p2align	8
	.type	_ZN2at6native29vectorized_elementwise_kernelILi16ENS0_11FillFunctorIaEESt5arrayIPcLm1EEEEviT0_T1_,@function
_ZN2at6native29vectorized_elementwise_kernelILi16ENS0_11FillFunctorIaEESt5arrayIPcLm1EEEEviT0_T1_: ; @_ZN2at6native29vectorized_elementwise_kernelILi16ENS0_11FillFunctorIaEESt5arrayIPcLm1EEEEviT0_T1_
; %bb.0:
	s_load_b128 s[0:3], s[0:1], 0x0
	s_lshl_b32 s4, s15, 12
	s_waitcnt lgkmcnt(0)
	v_lshlrev_b16 v1, 8, s1
	v_and_b32_e64 v2, 0xff, s1
	s_sub_i32 s5, s0, s4
	s_mov_b32 s0, -1
	s_cmpk_gt_i32 s5, 0xfff
	s_cbranch_scc0 .LBB8_2
; %bb.1:
	v_or_b32_e32 v3, v2, v1
	s_ashr_i32 s0, s4, 31
	s_add_u32 s6, s2, s4
	s_addc_u32 s7, s3, s0
	s_mov_b32 s0, 0
	v_and_b32_e32 v4, 0xffff, v3
	v_lshlrev_b32_e32 v3, 16, v3
	s_delay_alu instid0(VALU_DEP_1) | instskip(NEXT) | instid1(VALU_DEP_1)
	v_or_b32_e32 v3, v4, v3
	v_dual_mov_b32 v4, v3 :: v_dual_lshlrev_b32 v7, 4, v0
	v_mov_b32_e32 v5, v3
	v_mov_b32_e32 v6, v3
	global_store_b128 v7, v[3:6], s[6:7]
.LBB8_2:
	s_and_not1_b32 vcc_lo, exec_lo, s0
	s_cbranch_vccnz .LBB8_20
; %bb.3:
	v_or_b32_e32 v3, v2, v1
	v_or_b32_e32 v4, 0x100, v0
	v_and_b32_e32 v5, 0xffff, v2
	v_or_b32_e32 v11, 0x900, v0
	v_or_b32_e32 v6, 0x200, v0
	v_and_b32_e32 v3, 0xffff, v3
	v_cmp_gt_i32_e64 s0, s5, v4
	v_lshlrev_b32_e32 v2, 16, v2
	v_or_b32_e32 v10, 0x400, v0
	v_perm_b32 v8, s1, 0, 0x3020104
	v_or_b32_e32 v15, 0xa00, v0
	v_cndmask_b32_e64 v9, v5, v3, s0
	v_cmp_gt_i32_e64 s0, s5, v11
	v_or_b32_e32 v12, 0x500, v0
	v_or_b32_e32 v13, 0x600, v0
	v_or_b32_e32 v7, 0x300, v0
	v_or_b32_e32 v14, v9, v2
	v_cndmask_b32_e64 v3, v5, v3, s0
	v_cmp_gt_i32_e64 s0, s5, v6
	v_or_b32_e32 v6, 0xc00, v0
	v_cmp_gt_i32_e32 vcc_lo, s5, v0
	s_delay_alu instid0(VALU_DEP_4) | instskip(NEXT) | instid1(VALU_DEP_4)
	v_or_b32_e32 v2, v3, v2
	v_cndmask_b32_e64 v5, v9, v14, s0
	v_cmp_gt_i32_e64 s0, s5, v10
	s_delay_alu instid0(VALU_DEP_2) | instskip(NEXT) | instid1(VALU_DEP_2)
	v_lshrrev_b32_e32 v10, 16, v5
	v_cndmask_b32_e64 v9, 0, v8, s0
	v_cmp_gt_i32_e64 s0, s5, v6
	s_delay_alu instid0(VALU_DEP_1) | instskip(SKIP_2) | instid1(VALU_DEP_3)
	v_cndmask_b32_e64 v6, 0, v8, s0
	v_cmp_gt_i32_e64 s0, s5, v15
	v_or_b32_e32 v8, 0xd00, v0
	v_perm_b32 v11, v6, s1, 0x7060004
	s_delay_alu instid0(VALU_DEP_3) | instskip(SKIP_3) | instid1(VALU_DEP_4)
	v_cndmask_b32_e64 v2, v3, v2, s0
	v_and_b32_e32 v3, 0xff, v10
	v_perm_b32 v10, v9, s1, 0x7060004
	v_cmp_gt_i32_e64 s0, s5, v12
	v_lshrrev_b32_e32 v14, 16, v2
	s_delay_alu instid0(VALU_DEP_4) | instskip(NEXT) | instid1(VALU_DEP_3)
	v_or_b32_e32 v3, v3, v1
	v_cndmask_b32_e64 v9, v9, v10, s0
	v_cmp_gt_i32_e64 s0, s5, v8
	s_delay_alu instid0(VALU_DEP_4) | instskip(NEXT) | instid1(VALU_DEP_4)
	v_and_b32_e32 v8, 0xff, v14
	v_lshlrev_b32_e32 v3, 16, v3
	v_or_b32_e32 v10, 0xe00, v0
	s_delay_alu instid0(VALU_DEP_4)
	v_cndmask_b32_e64 v6, v6, v11, s0
	v_perm_b32 v11, v9, s1, 0x7000504
	v_cmp_gt_i32_e64 s0, s5, v13
	v_and_or_b32 v3, 0xffff, v5, v3
	v_or_b32_e32 v1, v8, v1
	v_perm_b32 v12, v6, s1, 0x7000504
	s_delay_alu instid0(VALU_DEP_4) | instskip(SKIP_1) | instid1(VALU_DEP_4)
	v_cndmask_b32_e64 v8, v9, v11, s0
	v_cmp_gt_i32_e64 s0, s5, v7
	v_lshlrev_b32_e32 v1, 16, v1
	v_or_b32_e32 v9, 0xb00, v0
	s_delay_alu instid0(VALU_DEP_4) | instskip(NEXT) | instid1(VALU_DEP_4)
	v_perm_b32 v7, v8, s1, 0x60504
	v_cndmask_b32_e64 v5, v5, v3, s0
	v_or_b32_e32 v3, 0x700, v0
	v_cmp_gt_i32_e64 s0, s5, v10
	v_and_or_b32 v1, 0xffff, v2, v1
	v_or_b32_e32 v10, 0xf00, v0
	s_delay_alu instid0(VALU_DEP_3) | instskip(SKIP_1) | instid1(VALU_DEP_2)
	v_cndmask_b32_e64 v6, v6, v12, s0
	v_cmp_gt_i32_e64 s0, s5, v3
	v_perm_b32 v11, v6, s1, 0x60504
	s_delay_alu instid0(VALU_DEP_2) | instskip(SKIP_1) | instid1(VALU_DEP_1)
	v_cndmask_b32_e64 v3, v8, v7, s0
	v_cmp_gt_i32_e64 s0, s5, v9
	v_cndmask_b32_e64 v2, v2, v1, s0
	v_cmp_gt_i32_e64 s0, s5, v10
	s_delay_alu instid0(VALU_DEP_1)
	v_cndmask_b32_e64 v1, v6, v11, s0
	s_and_saveexec_b32 s0, vcc_lo
	s_cbranch_execnz .LBB8_21
; %bb.4:
	s_or_b32 exec_lo, exec_lo, s0
	s_delay_alu instid0(SALU_CYCLE_1)
	s_mov_b32 s0, exec_lo
	v_cmpx_gt_i32_e64 s5, v0
	s_cbranch_execnz .LBB8_22
.LBB8_5:
	s_or_b32 exec_lo, exec_lo, s0
	s_delay_alu instid0(SALU_CYCLE_1)
	s_mov_b32 s0, exec_lo
	v_cmpx_gt_i32_e64 s5, v0
	s_cbranch_execnz .LBB8_23
.LBB8_6:
	s_or_b32 exec_lo, exec_lo, s0
	s_delay_alu instid0(SALU_CYCLE_1)
	s_mov_b32 s0, exec_lo
	v_cmpx_gt_i32_e64 s5, v0
	s_cbranch_execnz .LBB8_24
.LBB8_7:
	s_or_b32 exec_lo, exec_lo, s0
	s_delay_alu instid0(SALU_CYCLE_1)
	s_mov_b32 s0, exec_lo
	v_cmpx_gt_i32_e64 s5, v0
	s_cbranch_execnz .LBB8_25
.LBB8_8:
	s_or_b32 exec_lo, exec_lo, s0
	s_delay_alu instid0(SALU_CYCLE_1)
	s_mov_b32 s0, exec_lo
	v_cmpx_gt_i32_e64 s5, v0
	s_cbranch_execnz .LBB8_26
.LBB8_9:
	s_or_b32 exec_lo, exec_lo, s0
	s_delay_alu instid0(SALU_CYCLE_1)
	s_mov_b32 s0, exec_lo
	v_cmpx_gt_i32_e64 s5, v0
	s_cbranch_execnz .LBB8_27
.LBB8_10:
	s_or_b32 exec_lo, exec_lo, s0
	s_delay_alu instid0(SALU_CYCLE_1)
	s_mov_b32 s0, exec_lo
	v_cmpx_gt_i32_e64 s5, v0
	s_cbranch_execnz .LBB8_28
.LBB8_11:
	s_or_b32 exec_lo, exec_lo, s0
	s_delay_alu instid0(SALU_CYCLE_1)
	s_mov_b32 s0, exec_lo
	v_cmpx_gt_i32_e64 s5, v0
	s_cbranch_execnz .LBB8_29
.LBB8_12:
	s_or_b32 exec_lo, exec_lo, s0
	s_delay_alu instid0(SALU_CYCLE_1)
	s_mov_b32 s0, exec_lo
	v_cmpx_gt_i32_e64 s5, v0
	s_cbranch_execnz .LBB8_30
.LBB8_13:
	s_or_b32 exec_lo, exec_lo, s0
	s_delay_alu instid0(SALU_CYCLE_1)
	s_mov_b32 s0, exec_lo
	v_cmpx_gt_i32_e64 s5, v0
	s_cbranch_execnz .LBB8_31
.LBB8_14:
	s_or_b32 exec_lo, exec_lo, s0
	s_delay_alu instid0(SALU_CYCLE_1)
	s_mov_b32 s0, exec_lo
	v_cmpx_gt_i32_e64 s5, v0
	s_cbranch_execnz .LBB8_32
.LBB8_15:
	s_or_b32 exec_lo, exec_lo, s0
	s_delay_alu instid0(SALU_CYCLE_1)
	s_mov_b32 s0, exec_lo
	v_cmpx_gt_i32_e64 s5, v0
	s_cbranch_execnz .LBB8_33
.LBB8_16:
	s_or_b32 exec_lo, exec_lo, s0
	s_delay_alu instid0(SALU_CYCLE_1)
	s_mov_b32 s0, exec_lo
	v_cmpx_gt_i32_e64 s5, v0
	s_cbranch_execnz .LBB8_34
.LBB8_17:
	s_or_b32 exec_lo, exec_lo, s0
	s_delay_alu instid0(SALU_CYCLE_1)
	s_mov_b32 s0, exec_lo
	v_cmpx_gt_i32_e64 s5, v0
	s_cbranch_execnz .LBB8_35
.LBB8_18:
	s_or_b32 exec_lo, exec_lo, s0
	s_delay_alu instid0(SALU_CYCLE_1)
	s_mov_b32 s0, exec_lo
	v_cmpx_gt_i32_e64 s5, v0
	s_cbranch_execz .LBB8_20
.LBB8_19:
	v_add_nc_u32_e32 v0, s4, v0
	v_lshrrev_b32_e32 v1, 24, v1
	global_store_b8 v0, v1, s[2:3]
.LBB8_20:
	s_nop 0
	s_sendmsg sendmsg(MSG_DEALLOC_VGPRS)
	s_endpgm
.LBB8_21:
	v_or_b32_e32 v6, s4, v0
	v_mov_b32_e32 v0, v4
	global_store_b8 v6, v5, s[2:3]
	s_or_b32 exec_lo, exec_lo, s0
	s_delay_alu instid0(SALU_CYCLE_1)
	s_mov_b32 s0, exec_lo
	v_cmpx_gt_i32_e64 s5, v0
	s_cbranch_execz .LBB8_5
.LBB8_22:
	v_add_nc_u32_e32 v4, s4, v0
	v_lshrrev_b32_e32 v6, 8, v5
	v_add_nc_u32_e32 v0, 0x100, v0
	global_store_b8 v4, v6, s[2:3]
	s_or_b32 exec_lo, exec_lo, s0
	s_delay_alu instid0(SALU_CYCLE_1)
	s_mov_b32 s0, exec_lo
	v_cmpx_gt_i32_e64 s5, v0
	s_cbranch_execz .LBB8_6
.LBB8_23:
	v_add_nc_u32_e32 v4, s4, v0
	v_add_nc_u32_e32 v0, 0x100, v0
	global_store_d16_hi_b8 v4, v5, s[2:3]
	s_or_b32 exec_lo, exec_lo, s0
	s_delay_alu instid0(SALU_CYCLE_1)
	s_mov_b32 s0, exec_lo
	v_cmpx_gt_i32_e64 s5, v0
	s_cbranch_execz .LBB8_7
.LBB8_24:
	v_add_nc_u32_e32 v4, s4, v0
	v_lshrrev_b32_e32 v5, 24, v5
	v_add_nc_u32_e32 v0, 0x100, v0
	global_store_b8 v4, v5, s[2:3]
	s_or_b32 exec_lo, exec_lo, s0
	s_delay_alu instid0(SALU_CYCLE_1)
	s_mov_b32 s0, exec_lo
	v_cmpx_gt_i32_e64 s5, v0
	s_cbranch_execz .LBB8_8
.LBB8_25:
	v_add_nc_u32_e32 v4, s4, v0
	v_add_nc_u32_e32 v0, 0x100, v0
	global_store_b8 v4, v3, s[2:3]
	s_or_b32 exec_lo, exec_lo, s0
	s_delay_alu instid0(SALU_CYCLE_1)
	s_mov_b32 s0, exec_lo
	v_cmpx_gt_i32_e64 s5, v0
	s_cbranch_execz .LBB8_9
.LBB8_26:
	v_add_nc_u32_e32 v4, s4, v0
	v_lshrrev_b32_e32 v5, 8, v3
	v_add_nc_u32_e32 v0, 0x100, v0
	global_store_b8 v4, v5, s[2:3]
	s_or_b32 exec_lo, exec_lo, s0
	s_delay_alu instid0(SALU_CYCLE_1)
	s_mov_b32 s0, exec_lo
	v_cmpx_gt_i32_e64 s5, v0
	s_cbranch_execz .LBB8_10
.LBB8_27:
	v_add_nc_u32_e32 v4, s4, v0
	v_add_nc_u32_e32 v0, 0x100, v0
	global_store_d16_hi_b8 v4, v3, s[2:3]
	s_or_b32 exec_lo, exec_lo, s0
	s_delay_alu instid0(SALU_CYCLE_1)
	s_mov_b32 s0, exec_lo
	v_cmpx_gt_i32_e64 s5, v0
	s_cbranch_execz .LBB8_11
.LBB8_28:
	v_add_nc_u32_e32 v4, s4, v0
	v_lshrrev_b32_e32 v3, 24, v3
	v_add_nc_u32_e32 v0, 0x100, v0
	global_store_b8 v4, v3, s[2:3]
	s_or_b32 exec_lo, exec_lo, s0
	s_delay_alu instid0(SALU_CYCLE_1)
	s_mov_b32 s0, exec_lo
	v_cmpx_gt_i32_e64 s5, v0
	s_cbranch_execz .LBB8_12
.LBB8_29:
	v_add_nc_u32_e32 v3, s4, v0
	v_add_nc_u32_e32 v0, 0x100, v0
	global_store_b8 v3, v2, s[2:3]
	s_or_b32 exec_lo, exec_lo, s0
	s_delay_alu instid0(SALU_CYCLE_1)
	s_mov_b32 s0, exec_lo
	v_cmpx_gt_i32_e64 s5, v0
	s_cbranch_execz .LBB8_13
.LBB8_30:
	v_add_nc_u32_e32 v3, s4, v0
	v_lshrrev_b32_e32 v4, 8, v2
	v_add_nc_u32_e32 v0, 0x100, v0
	global_store_b8 v3, v4, s[2:3]
	s_or_b32 exec_lo, exec_lo, s0
	s_delay_alu instid0(SALU_CYCLE_1)
	s_mov_b32 s0, exec_lo
	v_cmpx_gt_i32_e64 s5, v0
	s_cbranch_execz .LBB8_14
.LBB8_31:
	v_add_nc_u32_e32 v3, s4, v0
	v_add_nc_u32_e32 v0, 0x100, v0
	global_store_d16_hi_b8 v3, v2, s[2:3]
	s_or_b32 exec_lo, exec_lo, s0
	s_delay_alu instid0(SALU_CYCLE_1)
	s_mov_b32 s0, exec_lo
	v_cmpx_gt_i32_e64 s5, v0
	s_cbranch_execz .LBB8_15
.LBB8_32:
	v_add_nc_u32_e32 v3, s4, v0
	v_lshrrev_b32_e32 v2, 24, v2
	v_add_nc_u32_e32 v0, 0x100, v0
	global_store_b8 v3, v2, s[2:3]
	s_or_b32 exec_lo, exec_lo, s0
	s_delay_alu instid0(SALU_CYCLE_1)
	s_mov_b32 s0, exec_lo
	v_cmpx_gt_i32_e64 s5, v0
	s_cbranch_execz .LBB8_16
.LBB8_33:
	v_add_nc_u32_e32 v2, s4, v0
	v_add_nc_u32_e32 v0, 0x100, v0
	global_store_b8 v2, v1, s[2:3]
	s_or_b32 exec_lo, exec_lo, s0
	s_delay_alu instid0(SALU_CYCLE_1)
	s_mov_b32 s0, exec_lo
	v_cmpx_gt_i32_e64 s5, v0
	s_cbranch_execz .LBB8_17
.LBB8_34:
	v_add_nc_u32_e32 v2, s4, v0
	v_lshrrev_b32_e32 v3, 8, v1
	v_add_nc_u32_e32 v0, 0x100, v0
	global_store_b8 v2, v3, s[2:3]
	s_or_b32 exec_lo, exec_lo, s0
	s_delay_alu instid0(SALU_CYCLE_1)
	s_mov_b32 s0, exec_lo
	v_cmpx_gt_i32_e64 s5, v0
	s_cbranch_execz .LBB8_18
.LBB8_35:
	v_add_nc_u32_e32 v2, s4, v0
	v_add_nc_u32_e32 v0, 0x100, v0
	global_store_d16_hi_b8 v2, v1, s[2:3]
	s_or_b32 exec_lo, exec_lo, s0
	s_delay_alu instid0(SALU_CYCLE_1)
	s_mov_b32 s0, exec_lo
	v_cmpx_gt_i32_e64 s5, v0
	s_cbranch_execnz .LBB8_19
	s_branch .LBB8_20
	.section	.rodata,"a",@progbits
	.p2align	6, 0x0
	.amdhsa_kernel _ZN2at6native29vectorized_elementwise_kernelILi16ENS0_11FillFunctorIaEESt5arrayIPcLm1EEEEviT0_T1_
		.amdhsa_group_segment_fixed_size 0
		.amdhsa_private_segment_fixed_size 0
		.amdhsa_kernarg_size 16
		.amdhsa_user_sgpr_count 15
		.amdhsa_user_sgpr_dispatch_ptr 0
		.amdhsa_user_sgpr_queue_ptr 0
		.amdhsa_user_sgpr_kernarg_segment_ptr 1
		.amdhsa_user_sgpr_dispatch_id 0
		.amdhsa_user_sgpr_private_segment_size 0
		.amdhsa_wavefront_size32 1
		.amdhsa_uses_dynamic_stack 0
		.amdhsa_enable_private_segment 0
		.amdhsa_system_sgpr_workgroup_id_x 1
		.amdhsa_system_sgpr_workgroup_id_y 0
		.amdhsa_system_sgpr_workgroup_id_z 0
		.amdhsa_system_sgpr_workgroup_info 0
		.amdhsa_system_vgpr_workitem_id 0
		.amdhsa_next_free_vgpr 16
		.amdhsa_next_free_sgpr 16
		.amdhsa_reserve_vcc 1
		.amdhsa_float_round_mode_32 0
		.amdhsa_float_round_mode_16_64 0
		.amdhsa_float_denorm_mode_32 3
		.amdhsa_float_denorm_mode_16_64 3
		.amdhsa_dx10_clamp 1
		.amdhsa_ieee_mode 1
		.amdhsa_fp16_overflow 0
		.amdhsa_workgroup_processor_mode 1
		.amdhsa_memory_ordered 1
		.amdhsa_forward_progress 0
		.amdhsa_shared_vgpr_count 0
		.amdhsa_exception_fp_ieee_invalid_op 0
		.amdhsa_exception_fp_denorm_src 0
		.amdhsa_exception_fp_ieee_div_zero 0
		.amdhsa_exception_fp_ieee_overflow 0
		.amdhsa_exception_fp_ieee_underflow 0
		.amdhsa_exception_fp_ieee_inexact 0
		.amdhsa_exception_int_div_zero 0
	.end_amdhsa_kernel
	.section	.text._ZN2at6native29vectorized_elementwise_kernelILi16ENS0_11FillFunctorIaEESt5arrayIPcLm1EEEEviT0_T1_,"axG",@progbits,_ZN2at6native29vectorized_elementwise_kernelILi16ENS0_11FillFunctorIaEESt5arrayIPcLm1EEEEviT0_T1_,comdat
.Lfunc_end8:
	.size	_ZN2at6native29vectorized_elementwise_kernelILi16ENS0_11FillFunctorIaEESt5arrayIPcLm1EEEEviT0_T1_, .Lfunc_end8-_ZN2at6native29vectorized_elementwise_kernelILi16ENS0_11FillFunctorIaEESt5arrayIPcLm1EEEEviT0_T1_
                                        ; -- End function
	.section	.AMDGPU.csdata,"",@progbits
; Kernel info:
; codeLenInByte = 1776
; NumSgprs: 18
; NumVgprs: 16
; ScratchSize: 0
; MemoryBound: 0
; FloatMode: 240
; IeeeMode: 1
; LDSByteSize: 0 bytes/workgroup (compile time only)
; SGPRBlocks: 2
; VGPRBlocks: 1
; NumSGPRsForWavesPerEU: 18
; NumVGPRsForWavesPerEU: 16
; Occupancy: 16
; WaveLimiterHint : 0
; COMPUTE_PGM_RSRC2:SCRATCH_EN: 0
; COMPUTE_PGM_RSRC2:USER_SGPR: 15
; COMPUTE_PGM_RSRC2:TRAP_HANDLER: 0
; COMPUTE_PGM_RSRC2:TGID_X_EN: 1
; COMPUTE_PGM_RSRC2:TGID_Y_EN: 0
; COMPUTE_PGM_RSRC2:TGID_Z_EN: 0
; COMPUTE_PGM_RSRC2:TIDIG_COMP_CNT: 0
	.section	.text._ZN2at6native29vectorized_elementwise_kernelILi8ENS0_11FillFunctorIaEESt5arrayIPcLm1EEEEviT0_T1_,"axG",@progbits,_ZN2at6native29vectorized_elementwise_kernelILi8ENS0_11FillFunctorIaEESt5arrayIPcLm1EEEEviT0_T1_,comdat
	.protected	_ZN2at6native29vectorized_elementwise_kernelILi8ENS0_11FillFunctorIaEESt5arrayIPcLm1EEEEviT0_T1_ ; -- Begin function _ZN2at6native29vectorized_elementwise_kernelILi8ENS0_11FillFunctorIaEESt5arrayIPcLm1EEEEviT0_T1_
	.globl	_ZN2at6native29vectorized_elementwise_kernelILi8ENS0_11FillFunctorIaEESt5arrayIPcLm1EEEEviT0_T1_
	.p2align	8
	.type	_ZN2at6native29vectorized_elementwise_kernelILi8ENS0_11FillFunctorIaEESt5arrayIPcLm1EEEEviT0_T1_,@function
_ZN2at6native29vectorized_elementwise_kernelILi8ENS0_11FillFunctorIaEESt5arrayIPcLm1EEEEviT0_T1_: ; @_ZN2at6native29vectorized_elementwise_kernelILi8ENS0_11FillFunctorIaEESt5arrayIPcLm1EEEEviT0_T1_
; %bb.0:
	s_load_b128 s[0:3], s[0:1], 0x0
	s_lshl_b32 s4, s15, 12
	s_waitcnt lgkmcnt(0)
	s_sub_i32 s5, s0, s4
	s_mov_b32 s0, -1
	s_cmpk_gt_i32 s5, 0xfff
	s_cbranch_scc0 .LBB9_2
; %bb.1:
	s_ashr_i32 s0, s4, 31
	s_add_u32 s6, s2, s4
	s_addc_u32 s7, s3, s0
	s_and_b32 s0, s1, 0xff
	s_delay_alu instid0(SALU_CYCLE_1)
	s_mul_i32 s8, s0, 0x1010101
	s_mov_b32 s0, 0
	s_mov_b32 s9, s8
	v_mov_b32_e32 v1, s8
	v_dual_mov_b32 v2, s9 :: v_dual_lshlrev_b32 v3, 3, v0
	s_clause 0x1
	global_store_b64 v3, v[1:2], s[6:7]
	global_store_b64 v3, v[1:2], s[6:7] offset:2048
.LBB9_2:
	s_and_not1_b32 vcc_lo, exec_lo, s0
	s_cbranch_vccnz .LBB9_20
; %bb.3:
	v_lshlrev_b16 v1, 8, s1
	v_and_b32_e64 v2, 0xff, s1
	v_or_b32_e32 v4, 0x100, v0
	v_or_b32_e32 v11, 0x900, v0
	;; [unrolled: 1-line block ×5, first 2 shown]
	v_and_b32_e32 v7, 0xffff, v2
	v_cmp_gt_i32_e64 s0, s5, v4
	v_lshlrev_b32_e32 v2, 16, v2
	v_perm_b32 v8, s1, 0, 0x3020104
	v_and_b32_e32 v3, 0xffff, v3
	v_or_b32_e32 v12, 0x500, v0
	v_or_b32_e32 v13, 0x600, v0
	;; [unrolled: 1-line block ×4, first 2 shown]
	v_cndmask_b32_e64 v10, v7, v3, s0
	v_cmp_gt_i32_e64 s0, s5, v11
	v_cmp_gt_i32_e32 vcc_lo, s5, v0
	s_delay_alu instid0(VALU_DEP_3) | instskip(NEXT) | instid1(VALU_DEP_3)
	v_or_b32_e32 v15, v10, v2
	v_cndmask_b32_e64 v3, v7, v3, s0
	v_cmp_gt_i32_e64 s0, s5, v5
	v_or_b32_e32 v7, 0xa00, v0
	s_delay_alu instid0(VALU_DEP_3) | instskip(NEXT) | instid1(VALU_DEP_3)
	v_or_b32_e32 v2, v3, v2
	v_cndmask_b32_e64 v5, v10, v15, s0
	v_cmp_gt_i32_e64 s0, s5, v9
	v_or_b32_e32 v10, 0xc00, v0
	s_delay_alu instid0(VALU_DEP_3) | instskip(NEXT) | instid1(VALU_DEP_3)
	v_lshrrev_b32_e32 v11, 16, v5
	v_cndmask_b32_e64 v9, 0, v8, s0
	v_cmp_gt_i32_e64 s0, s5, v7
	s_delay_alu instid0(VALU_DEP_3) | instskip(NEXT) | instid1(VALU_DEP_2)
	v_and_b32_e32 v7, 0xff, v11
	v_cndmask_b32_e64 v2, v3, v2, s0
	v_cmp_gt_i32_e64 s0, s5, v10
	v_perm_b32 v10, v9, s1, 0x7060004
	s_delay_alu instid0(VALU_DEP_4) | instskip(NEXT) | instid1(VALU_DEP_4)
	v_or_b32_e32 v7, v7, v1
	v_lshrrev_b32_e32 v11, 16, v2
	s_delay_alu instid0(VALU_DEP_4) | instskip(SKIP_3) | instid1(VALU_DEP_4)
	v_cndmask_b32_e64 v3, 0, v8, s0
	v_or_b32_e32 v8, 0xd00, v0
	v_cmp_gt_i32_e64 s0, s5, v12
	v_lshlrev_b32_e32 v7, 16, v7
	v_perm_b32 v15, v3, s1, 0x7060004
	s_delay_alu instid0(VALU_DEP_3)
	v_cndmask_b32_e64 v9, v9, v10, s0
	v_cmp_gt_i32_e64 s0, s5, v8
	v_and_b32_e32 v10, 0xff, v11
	v_or_b32_e32 v8, 0xe00, v0
	v_and_or_b32 v7, 0xffff, v5, v7
	v_perm_b32 v11, v9, s1, 0x7000504
	v_cndmask_b32_e64 v3, v3, v15, s0
	v_cmp_gt_i32_e64 s0, s5, v13
	v_or_b32_e32 v1, v10, v1
	s_delay_alu instid0(VALU_DEP_3) | instskip(NEXT) | instid1(VALU_DEP_3)
	v_perm_b32 v10, v3, s1, 0x7000504
	v_cndmask_b32_e64 v9, v9, v11, s0
	v_cmp_gt_i32_e64 s0, s5, v6
	s_delay_alu instid0(VALU_DEP_4) | instskip(NEXT) | instid1(VALU_DEP_2)
	v_lshlrev_b32_e32 v1, 16, v1
	v_cndmask_b32_e64 v5, v5, v7, s0
	v_cmp_gt_i32_e64 s0, s5, v8
	v_or_b32_e32 v7, 0xb00, v0
	s_delay_alu instid0(VALU_DEP_4) | instskip(SKIP_1) | instid1(VALU_DEP_4)
	v_and_or_b32 v1, 0xffff, v2, v1
	v_or_b32_e32 v8, 0xf00, v0
	v_cndmask_b32_e64 v6, v3, v10, s0
	v_perm_b32 v3, v9, s1, 0x60504
	v_cmp_gt_i32_e64 s0, s5, v14
	s_delay_alu instid0(VALU_DEP_3) | instskip(NEXT) | instid1(VALU_DEP_2)
	v_perm_b32 v10, v6, s1, 0x60504
	v_cndmask_b32_e64 v3, v9, v3, s0
	v_cmp_gt_i32_e64 s0, s5, v7
	s_delay_alu instid0(VALU_DEP_1) | instskip(SKIP_1) | instid1(VALU_DEP_1)
	v_cndmask_b32_e64 v2, v2, v1, s0
	v_cmp_gt_i32_e64 s0, s5, v8
	v_cndmask_b32_e64 v1, v6, v10, s0
	s_and_saveexec_b32 s0, vcc_lo
	s_cbranch_execnz .LBB9_21
; %bb.4:
	s_or_b32 exec_lo, exec_lo, s0
	s_delay_alu instid0(SALU_CYCLE_1)
	s_mov_b32 s0, exec_lo
	v_cmpx_gt_i32_e64 s5, v0
	s_cbranch_execnz .LBB9_22
.LBB9_5:
	s_or_b32 exec_lo, exec_lo, s0
	s_delay_alu instid0(SALU_CYCLE_1)
	s_mov_b32 s0, exec_lo
	v_cmpx_gt_i32_e64 s5, v0
	s_cbranch_execnz .LBB9_23
.LBB9_6:
	s_or_b32 exec_lo, exec_lo, s0
	s_delay_alu instid0(SALU_CYCLE_1)
	s_mov_b32 s0, exec_lo
	v_cmpx_gt_i32_e64 s5, v0
	s_cbranch_execnz .LBB9_24
.LBB9_7:
	s_or_b32 exec_lo, exec_lo, s0
	s_delay_alu instid0(SALU_CYCLE_1)
	s_mov_b32 s0, exec_lo
	v_cmpx_gt_i32_e64 s5, v0
	s_cbranch_execnz .LBB9_25
.LBB9_8:
	s_or_b32 exec_lo, exec_lo, s0
	s_delay_alu instid0(SALU_CYCLE_1)
	s_mov_b32 s0, exec_lo
	v_cmpx_gt_i32_e64 s5, v0
	s_cbranch_execnz .LBB9_26
.LBB9_9:
	s_or_b32 exec_lo, exec_lo, s0
	s_delay_alu instid0(SALU_CYCLE_1)
	s_mov_b32 s0, exec_lo
	v_cmpx_gt_i32_e64 s5, v0
	s_cbranch_execnz .LBB9_27
.LBB9_10:
	s_or_b32 exec_lo, exec_lo, s0
	s_delay_alu instid0(SALU_CYCLE_1)
	s_mov_b32 s0, exec_lo
	v_cmpx_gt_i32_e64 s5, v0
	s_cbranch_execnz .LBB9_28
.LBB9_11:
	s_or_b32 exec_lo, exec_lo, s0
	s_delay_alu instid0(SALU_CYCLE_1)
	s_mov_b32 s0, exec_lo
	v_cmpx_gt_i32_e64 s5, v0
	s_cbranch_execnz .LBB9_29
.LBB9_12:
	s_or_b32 exec_lo, exec_lo, s0
	s_delay_alu instid0(SALU_CYCLE_1)
	s_mov_b32 s0, exec_lo
	v_cmpx_gt_i32_e64 s5, v0
	s_cbranch_execnz .LBB9_30
.LBB9_13:
	s_or_b32 exec_lo, exec_lo, s0
	s_delay_alu instid0(SALU_CYCLE_1)
	s_mov_b32 s0, exec_lo
	v_cmpx_gt_i32_e64 s5, v0
	s_cbranch_execnz .LBB9_31
.LBB9_14:
	s_or_b32 exec_lo, exec_lo, s0
	s_delay_alu instid0(SALU_CYCLE_1)
	s_mov_b32 s0, exec_lo
	v_cmpx_gt_i32_e64 s5, v0
	s_cbranch_execnz .LBB9_32
.LBB9_15:
	s_or_b32 exec_lo, exec_lo, s0
	s_delay_alu instid0(SALU_CYCLE_1)
	s_mov_b32 s0, exec_lo
	v_cmpx_gt_i32_e64 s5, v0
	s_cbranch_execnz .LBB9_33
.LBB9_16:
	s_or_b32 exec_lo, exec_lo, s0
	s_delay_alu instid0(SALU_CYCLE_1)
	s_mov_b32 s0, exec_lo
	v_cmpx_gt_i32_e64 s5, v0
	s_cbranch_execnz .LBB9_34
.LBB9_17:
	s_or_b32 exec_lo, exec_lo, s0
	s_delay_alu instid0(SALU_CYCLE_1)
	s_mov_b32 s0, exec_lo
	v_cmpx_gt_i32_e64 s5, v0
	s_cbranch_execnz .LBB9_35
.LBB9_18:
	s_or_b32 exec_lo, exec_lo, s0
	s_delay_alu instid0(SALU_CYCLE_1)
	s_mov_b32 s0, exec_lo
	v_cmpx_gt_i32_e64 s5, v0
	s_cbranch_execz .LBB9_20
.LBB9_19:
	v_add_nc_u32_e32 v0, s4, v0
	v_lshrrev_b32_e32 v1, 24, v1
	global_store_b8 v0, v1, s[2:3]
.LBB9_20:
	s_nop 0
	s_sendmsg sendmsg(MSG_DEALLOC_VGPRS)
	s_endpgm
.LBB9_21:
	v_or_b32_e32 v6, s4, v0
	v_mov_b32_e32 v0, v4
	global_store_b8 v6, v5, s[2:3]
	s_or_b32 exec_lo, exec_lo, s0
	s_delay_alu instid0(SALU_CYCLE_1)
	s_mov_b32 s0, exec_lo
	v_cmpx_gt_i32_e64 s5, v0
	s_cbranch_execz .LBB9_5
.LBB9_22:
	v_add_nc_u32_e32 v4, s4, v0
	v_lshrrev_b32_e32 v6, 8, v5
	v_add_nc_u32_e32 v0, 0x100, v0
	global_store_b8 v4, v6, s[2:3]
	s_or_b32 exec_lo, exec_lo, s0
	s_delay_alu instid0(SALU_CYCLE_1)
	s_mov_b32 s0, exec_lo
	v_cmpx_gt_i32_e64 s5, v0
	s_cbranch_execz .LBB9_6
.LBB9_23:
	v_add_nc_u32_e32 v4, s4, v0
	v_add_nc_u32_e32 v0, 0x100, v0
	global_store_d16_hi_b8 v4, v5, s[2:3]
	s_or_b32 exec_lo, exec_lo, s0
	s_delay_alu instid0(SALU_CYCLE_1)
	s_mov_b32 s0, exec_lo
	v_cmpx_gt_i32_e64 s5, v0
	s_cbranch_execz .LBB9_7
.LBB9_24:
	v_add_nc_u32_e32 v4, s4, v0
	v_lshrrev_b32_e32 v5, 24, v5
	v_add_nc_u32_e32 v0, 0x100, v0
	global_store_b8 v4, v5, s[2:3]
	s_or_b32 exec_lo, exec_lo, s0
	s_delay_alu instid0(SALU_CYCLE_1)
	s_mov_b32 s0, exec_lo
	v_cmpx_gt_i32_e64 s5, v0
	s_cbranch_execz .LBB9_8
.LBB9_25:
	v_add_nc_u32_e32 v4, s4, v0
	v_add_nc_u32_e32 v0, 0x100, v0
	global_store_b8 v4, v3, s[2:3]
	s_or_b32 exec_lo, exec_lo, s0
	s_delay_alu instid0(SALU_CYCLE_1)
	s_mov_b32 s0, exec_lo
	v_cmpx_gt_i32_e64 s5, v0
	s_cbranch_execz .LBB9_9
.LBB9_26:
	v_add_nc_u32_e32 v4, s4, v0
	v_lshrrev_b32_e32 v5, 8, v3
	v_add_nc_u32_e32 v0, 0x100, v0
	global_store_b8 v4, v5, s[2:3]
	s_or_b32 exec_lo, exec_lo, s0
	s_delay_alu instid0(SALU_CYCLE_1)
	s_mov_b32 s0, exec_lo
	v_cmpx_gt_i32_e64 s5, v0
	s_cbranch_execz .LBB9_10
.LBB9_27:
	v_add_nc_u32_e32 v4, s4, v0
	v_add_nc_u32_e32 v0, 0x100, v0
	global_store_d16_hi_b8 v4, v3, s[2:3]
	s_or_b32 exec_lo, exec_lo, s0
	s_delay_alu instid0(SALU_CYCLE_1)
	s_mov_b32 s0, exec_lo
	v_cmpx_gt_i32_e64 s5, v0
	s_cbranch_execz .LBB9_11
.LBB9_28:
	v_add_nc_u32_e32 v4, s4, v0
	v_lshrrev_b32_e32 v3, 24, v3
	v_add_nc_u32_e32 v0, 0x100, v0
	global_store_b8 v4, v3, s[2:3]
	s_or_b32 exec_lo, exec_lo, s0
	s_delay_alu instid0(SALU_CYCLE_1)
	s_mov_b32 s0, exec_lo
	v_cmpx_gt_i32_e64 s5, v0
	s_cbranch_execz .LBB9_12
.LBB9_29:
	v_add_nc_u32_e32 v3, s4, v0
	v_add_nc_u32_e32 v0, 0x100, v0
	global_store_b8 v3, v2, s[2:3]
	s_or_b32 exec_lo, exec_lo, s0
	s_delay_alu instid0(SALU_CYCLE_1)
	s_mov_b32 s0, exec_lo
	v_cmpx_gt_i32_e64 s5, v0
	s_cbranch_execz .LBB9_13
.LBB9_30:
	v_add_nc_u32_e32 v3, s4, v0
	v_lshrrev_b32_e32 v4, 8, v2
	v_add_nc_u32_e32 v0, 0x100, v0
	global_store_b8 v3, v4, s[2:3]
	s_or_b32 exec_lo, exec_lo, s0
	s_delay_alu instid0(SALU_CYCLE_1)
	s_mov_b32 s0, exec_lo
	v_cmpx_gt_i32_e64 s5, v0
	s_cbranch_execz .LBB9_14
.LBB9_31:
	v_add_nc_u32_e32 v3, s4, v0
	v_add_nc_u32_e32 v0, 0x100, v0
	global_store_d16_hi_b8 v3, v2, s[2:3]
	s_or_b32 exec_lo, exec_lo, s0
	s_delay_alu instid0(SALU_CYCLE_1)
	s_mov_b32 s0, exec_lo
	v_cmpx_gt_i32_e64 s5, v0
	s_cbranch_execz .LBB9_15
.LBB9_32:
	v_add_nc_u32_e32 v3, s4, v0
	v_lshrrev_b32_e32 v2, 24, v2
	v_add_nc_u32_e32 v0, 0x100, v0
	global_store_b8 v3, v2, s[2:3]
	s_or_b32 exec_lo, exec_lo, s0
	s_delay_alu instid0(SALU_CYCLE_1)
	s_mov_b32 s0, exec_lo
	v_cmpx_gt_i32_e64 s5, v0
	s_cbranch_execz .LBB9_16
.LBB9_33:
	v_add_nc_u32_e32 v2, s4, v0
	v_add_nc_u32_e32 v0, 0x100, v0
	global_store_b8 v2, v1, s[2:3]
	s_or_b32 exec_lo, exec_lo, s0
	s_delay_alu instid0(SALU_CYCLE_1)
	s_mov_b32 s0, exec_lo
	v_cmpx_gt_i32_e64 s5, v0
	s_cbranch_execz .LBB9_17
.LBB9_34:
	v_add_nc_u32_e32 v2, s4, v0
	v_lshrrev_b32_e32 v3, 8, v1
	v_add_nc_u32_e32 v0, 0x100, v0
	global_store_b8 v2, v3, s[2:3]
	s_or_b32 exec_lo, exec_lo, s0
	s_delay_alu instid0(SALU_CYCLE_1)
	s_mov_b32 s0, exec_lo
	v_cmpx_gt_i32_e64 s5, v0
	s_cbranch_execz .LBB9_18
.LBB9_35:
	v_add_nc_u32_e32 v2, s4, v0
	v_add_nc_u32_e32 v0, 0x100, v0
	global_store_d16_hi_b8 v2, v1, s[2:3]
	s_or_b32 exec_lo, exec_lo, s0
	s_delay_alu instid0(SALU_CYCLE_1)
	s_mov_b32 s0, exec_lo
	v_cmpx_gt_i32_e64 s5, v0
	s_cbranch_execnz .LBB9_19
	s_branch .LBB9_20
	.section	.rodata,"a",@progbits
	.p2align	6, 0x0
	.amdhsa_kernel _ZN2at6native29vectorized_elementwise_kernelILi8ENS0_11FillFunctorIaEESt5arrayIPcLm1EEEEviT0_T1_
		.amdhsa_group_segment_fixed_size 0
		.amdhsa_private_segment_fixed_size 0
		.amdhsa_kernarg_size 16
		.amdhsa_user_sgpr_count 15
		.amdhsa_user_sgpr_dispatch_ptr 0
		.amdhsa_user_sgpr_queue_ptr 0
		.amdhsa_user_sgpr_kernarg_segment_ptr 1
		.amdhsa_user_sgpr_dispatch_id 0
		.amdhsa_user_sgpr_private_segment_size 0
		.amdhsa_wavefront_size32 1
		.amdhsa_uses_dynamic_stack 0
		.amdhsa_enable_private_segment 0
		.amdhsa_system_sgpr_workgroup_id_x 1
		.amdhsa_system_sgpr_workgroup_id_y 0
		.amdhsa_system_sgpr_workgroup_id_z 0
		.amdhsa_system_sgpr_workgroup_info 0
		.amdhsa_system_vgpr_workitem_id 0
		.amdhsa_next_free_vgpr 16
		.amdhsa_next_free_sgpr 16
		.amdhsa_reserve_vcc 1
		.amdhsa_float_round_mode_32 0
		.amdhsa_float_round_mode_16_64 0
		.amdhsa_float_denorm_mode_32 3
		.amdhsa_float_denorm_mode_16_64 3
		.amdhsa_dx10_clamp 1
		.amdhsa_ieee_mode 1
		.amdhsa_fp16_overflow 0
		.amdhsa_workgroup_processor_mode 1
		.amdhsa_memory_ordered 1
		.amdhsa_forward_progress 0
		.amdhsa_shared_vgpr_count 0
		.amdhsa_exception_fp_ieee_invalid_op 0
		.amdhsa_exception_fp_denorm_src 0
		.amdhsa_exception_fp_ieee_div_zero 0
		.amdhsa_exception_fp_ieee_overflow 0
		.amdhsa_exception_fp_ieee_underflow 0
		.amdhsa_exception_fp_ieee_inexact 0
		.amdhsa_exception_int_div_zero 0
	.end_amdhsa_kernel
	.section	.text._ZN2at6native29vectorized_elementwise_kernelILi8ENS0_11FillFunctorIaEESt5arrayIPcLm1EEEEviT0_T1_,"axG",@progbits,_ZN2at6native29vectorized_elementwise_kernelILi8ENS0_11FillFunctorIaEESt5arrayIPcLm1EEEEviT0_T1_,comdat
.Lfunc_end9:
	.size	_ZN2at6native29vectorized_elementwise_kernelILi8ENS0_11FillFunctorIaEESt5arrayIPcLm1EEEEviT0_T1_, .Lfunc_end9-_ZN2at6native29vectorized_elementwise_kernelILi8ENS0_11FillFunctorIaEESt5arrayIPcLm1EEEEviT0_T1_
                                        ; -- End function
	.section	.AMDGPU.csdata,"",@progbits
; Kernel info:
; codeLenInByte = 1784
; NumSgprs: 18
; NumVgprs: 16
; ScratchSize: 0
; MemoryBound: 0
; FloatMode: 240
; IeeeMode: 1
; LDSByteSize: 0 bytes/workgroup (compile time only)
; SGPRBlocks: 2
; VGPRBlocks: 1
; NumSGPRsForWavesPerEU: 18
; NumVGPRsForWavesPerEU: 16
; Occupancy: 16
; WaveLimiterHint : 1
; COMPUTE_PGM_RSRC2:SCRATCH_EN: 0
; COMPUTE_PGM_RSRC2:USER_SGPR: 15
; COMPUTE_PGM_RSRC2:TRAP_HANDLER: 0
; COMPUTE_PGM_RSRC2:TGID_X_EN: 1
; COMPUTE_PGM_RSRC2:TGID_Y_EN: 0
; COMPUTE_PGM_RSRC2:TGID_Z_EN: 0
; COMPUTE_PGM_RSRC2:TIDIG_COMP_CNT: 0
	.section	.text._ZN2at6native29vectorized_elementwise_kernelILi4ENS0_11FillFunctorIaEESt5arrayIPcLm1EEEEviT0_T1_,"axG",@progbits,_ZN2at6native29vectorized_elementwise_kernelILi4ENS0_11FillFunctorIaEESt5arrayIPcLm1EEEEviT0_T1_,comdat
	.protected	_ZN2at6native29vectorized_elementwise_kernelILi4ENS0_11FillFunctorIaEESt5arrayIPcLm1EEEEviT0_T1_ ; -- Begin function _ZN2at6native29vectorized_elementwise_kernelILi4ENS0_11FillFunctorIaEESt5arrayIPcLm1EEEEviT0_T1_
	.globl	_ZN2at6native29vectorized_elementwise_kernelILi4ENS0_11FillFunctorIaEESt5arrayIPcLm1EEEEviT0_T1_
	.p2align	8
	.type	_ZN2at6native29vectorized_elementwise_kernelILi4ENS0_11FillFunctorIaEESt5arrayIPcLm1EEEEviT0_T1_,@function
_ZN2at6native29vectorized_elementwise_kernelILi4ENS0_11FillFunctorIaEESt5arrayIPcLm1EEEEviT0_T1_: ; @_ZN2at6native29vectorized_elementwise_kernelILi4ENS0_11FillFunctorIaEESt5arrayIPcLm1EEEEviT0_T1_
; %bb.0:
	s_load_b128 s[0:3], s[0:1], 0x0
	s_lshl_b32 s4, s15, 12
	s_waitcnt lgkmcnt(0)
	s_sub_i32 s5, s0, s4
	s_mov_b32 s0, -1
	s_cmpk_gt_i32 s5, 0xfff
	s_cbranch_scc0 .LBB10_2
; %bb.1:
	s_ashr_i32 s0, s4, 31
	s_add_u32 s6, s2, s4
	s_addc_u32 s7, s3, s0
	s_and_b32 s0, s1, 0xff
	s_delay_alu instid0(SALU_CYCLE_1) | instskip(NEXT) | instid1(SALU_CYCLE_1)
	s_mul_i32 s0, s0, 0x1010101
	v_dual_mov_b32 v2, s0 :: v_dual_lshlrev_b32 v1, 2, v0
	s_mov_b32 s0, 0
	s_clause 0x3
	global_store_b32 v1, v2, s[6:7]
	global_store_b32 v1, v2, s[6:7] offset:1024
	global_store_b32 v1, v2, s[6:7] offset:2048
	;; [unrolled: 1-line block ×3, first 2 shown]
.LBB10_2:
	s_and_not1_b32 vcc_lo, exec_lo, s0
	s_cbranch_vccnz .LBB10_20
; %bb.3:
	v_lshlrev_b16 v1, 8, s1
	v_and_b32_e64 v2, 0xff, s1
	v_or_b32_e32 v4, 0x100, v0
	v_or_b32_e32 v11, 0x900, v0
	;; [unrolled: 1-line block ×5, first 2 shown]
	v_and_b32_e32 v7, 0xffff, v2
	v_cmp_gt_i32_e64 s0, s5, v4
	v_lshlrev_b32_e32 v2, 16, v2
	v_perm_b32 v8, s1, 0, 0x3020104
	v_and_b32_e32 v3, 0xffff, v3
	v_or_b32_e32 v12, 0x500, v0
	v_or_b32_e32 v13, 0x600, v0
	;; [unrolled: 1-line block ×4, first 2 shown]
	v_cndmask_b32_e64 v10, v7, v3, s0
	v_cmp_gt_i32_e64 s0, s5, v11
	v_cmp_gt_i32_e32 vcc_lo, s5, v0
	s_delay_alu instid0(VALU_DEP_3) | instskip(NEXT) | instid1(VALU_DEP_3)
	v_or_b32_e32 v15, v10, v2
	v_cndmask_b32_e64 v3, v7, v3, s0
	v_cmp_gt_i32_e64 s0, s5, v5
	v_or_b32_e32 v7, 0xa00, v0
	s_delay_alu instid0(VALU_DEP_3) | instskip(NEXT) | instid1(VALU_DEP_3)
	v_or_b32_e32 v2, v3, v2
	v_cndmask_b32_e64 v5, v10, v15, s0
	v_cmp_gt_i32_e64 s0, s5, v9
	v_or_b32_e32 v10, 0xc00, v0
	s_delay_alu instid0(VALU_DEP_3) | instskip(NEXT) | instid1(VALU_DEP_3)
	v_lshrrev_b32_e32 v11, 16, v5
	v_cndmask_b32_e64 v9, 0, v8, s0
	v_cmp_gt_i32_e64 s0, s5, v7
	s_delay_alu instid0(VALU_DEP_3) | instskip(NEXT) | instid1(VALU_DEP_2)
	v_and_b32_e32 v7, 0xff, v11
	v_cndmask_b32_e64 v2, v3, v2, s0
	v_cmp_gt_i32_e64 s0, s5, v10
	v_perm_b32 v10, v9, s1, 0x7060004
	s_delay_alu instid0(VALU_DEP_4) | instskip(NEXT) | instid1(VALU_DEP_4)
	v_or_b32_e32 v7, v7, v1
	v_lshrrev_b32_e32 v11, 16, v2
	s_delay_alu instid0(VALU_DEP_4) | instskip(SKIP_3) | instid1(VALU_DEP_4)
	v_cndmask_b32_e64 v3, 0, v8, s0
	v_or_b32_e32 v8, 0xd00, v0
	v_cmp_gt_i32_e64 s0, s5, v12
	v_lshlrev_b32_e32 v7, 16, v7
	v_perm_b32 v15, v3, s1, 0x7060004
	s_delay_alu instid0(VALU_DEP_3)
	v_cndmask_b32_e64 v9, v9, v10, s0
	v_cmp_gt_i32_e64 s0, s5, v8
	v_and_b32_e32 v10, 0xff, v11
	v_or_b32_e32 v8, 0xe00, v0
	v_and_or_b32 v7, 0xffff, v5, v7
	v_perm_b32 v11, v9, s1, 0x7000504
	v_cndmask_b32_e64 v3, v3, v15, s0
	v_cmp_gt_i32_e64 s0, s5, v13
	v_or_b32_e32 v1, v10, v1
	s_delay_alu instid0(VALU_DEP_3) | instskip(NEXT) | instid1(VALU_DEP_3)
	v_perm_b32 v10, v3, s1, 0x7000504
	v_cndmask_b32_e64 v9, v9, v11, s0
	v_cmp_gt_i32_e64 s0, s5, v6
	s_delay_alu instid0(VALU_DEP_4) | instskip(NEXT) | instid1(VALU_DEP_2)
	v_lshlrev_b32_e32 v1, 16, v1
	v_cndmask_b32_e64 v5, v5, v7, s0
	v_cmp_gt_i32_e64 s0, s5, v8
	v_or_b32_e32 v7, 0xb00, v0
	s_delay_alu instid0(VALU_DEP_4) | instskip(SKIP_1) | instid1(VALU_DEP_4)
	v_and_or_b32 v1, 0xffff, v2, v1
	v_or_b32_e32 v8, 0xf00, v0
	v_cndmask_b32_e64 v6, v3, v10, s0
	v_perm_b32 v3, v9, s1, 0x60504
	v_cmp_gt_i32_e64 s0, s5, v14
	s_delay_alu instid0(VALU_DEP_3) | instskip(NEXT) | instid1(VALU_DEP_2)
	v_perm_b32 v10, v6, s1, 0x60504
	v_cndmask_b32_e64 v3, v9, v3, s0
	v_cmp_gt_i32_e64 s0, s5, v7
	s_delay_alu instid0(VALU_DEP_1) | instskip(SKIP_1) | instid1(VALU_DEP_1)
	v_cndmask_b32_e64 v2, v2, v1, s0
	v_cmp_gt_i32_e64 s0, s5, v8
	v_cndmask_b32_e64 v1, v6, v10, s0
	s_and_saveexec_b32 s0, vcc_lo
	s_cbranch_execnz .LBB10_21
; %bb.4:
	s_or_b32 exec_lo, exec_lo, s0
	s_delay_alu instid0(SALU_CYCLE_1)
	s_mov_b32 s0, exec_lo
	v_cmpx_gt_i32_e64 s5, v0
	s_cbranch_execnz .LBB10_22
.LBB10_5:
	s_or_b32 exec_lo, exec_lo, s0
	s_delay_alu instid0(SALU_CYCLE_1)
	s_mov_b32 s0, exec_lo
	v_cmpx_gt_i32_e64 s5, v0
	s_cbranch_execnz .LBB10_23
.LBB10_6:
	s_or_b32 exec_lo, exec_lo, s0
	s_delay_alu instid0(SALU_CYCLE_1)
	s_mov_b32 s0, exec_lo
	v_cmpx_gt_i32_e64 s5, v0
	s_cbranch_execnz .LBB10_24
.LBB10_7:
	s_or_b32 exec_lo, exec_lo, s0
	s_delay_alu instid0(SALU_CYCLE_1)
	s_mov_b32 s0, exec_lo
	v_cmpx_gt_i32_e64 s5, v0
	s_cbranch_execnz .LBB10_25
.LBB10_8:
	s_or_b32 exec_lo, exec_lo, s0
	s_delay_alu instid0(SALU_CYCLE_1)
	s_mov_b32 s0, exec_lo
	v_cmpx_gt_i32_e64 s5, v0
	s_cbranch_execnz .LBB10_26
.LBB10_9:
	s_or_b32 exec_lo, exec_lo, s0
	s_delay_alu instid0(SALU_CYCLE_1)
	s_mov_b32 s0, exec_lo
	v_cmpx_gt_i32_e64 s5, v0
	s_cbranch_execnz .LBB10_27
.LBB10_10:
	s_or_b32 exec_lo, exec_lo, s0
	s_delay_alu instid0(SALU_CYCLE_1)
	s_mov_b32 s0, exec_lo
	v_cmpx_gt_i32_e64 s5, v0
	s_cbranch_execnz .LBB10_28
.LBB10_11:
	s_or_b32 exec_lo, exec_lo, s0
	s_delay_alu instid0(SALU_CYCLE_1)
	s_mov_b32 s0, exec_lo
	v_cmpx_gt_i32_e64 s5, v0
	s_cbranch_execnz .LBB10_29
.LBB10_12:
	s_or_b32 exec_lo, exec_lo, s0
	s_delay_alu instid0(SALU_CYCLE_1)
	s_mov_b32 s0, exec_lo
	v_cmpx_gt_i32_e64 s5, v0
	s_cbranch_execnz .LBB10_30
.LBB10_13:
	s_or_b32 exec_lo, exec_lo, s0
	s_delay_alu instid0(SALU_CYCLE_1)
	s_mov_b32 s0, exec_lo
	v_cmpx_gt_i32_e64 s5, v0
	s_cbranch_execnz .LBB10_31
.LBB10_14:
	s_or_b32 exec_lo, exec_lo, s0
	s_delay_alu instid0(SALU_CYCLE_1)
	s_mov_b32 s0, exec_lo
	v_cmpx_gt_i32_e64 s5, v0
	s_cbranch_execnz .LBB10_32
.LBB10_15:
	s_or_b32 exec_lo, exec_lo, s0
	s_delay_alu instid0(SALU_CYCLE_1)
	s_mov_b32 s0, exec_lo
	v_cmpx_gt_i32_e64 s5, v0
	s_cbranch_execnz .LBB10_33
.LBB10_16:
	s_or_b32 exec_lo, exec_lo, s0
	s_delay_alu instid0(SALU_CYCLE_1)
	s_mov_b32 s0, exec_lo
	v_cmpx_gt_i32_e64 s5, v0
	s_cbranch_execnz .LBB10_34
.LBB10_17:
	s_or_b32 exec_lo, exec_lo, s0
	s_delay_alu instid0(SALU_CYCLE_1)
	s_mov_b32 s0, exec_lo
	v_cmpx_gt_i32_e64 s5, v0
	s_cbranch_execnz .LBB10_35
.LBB10_18:
	s_or_b32 exec_lo, exec_lo, s0
	s_delay_alu instid0(SALU_CYCLE_1)
	s_mov_b32 s0, exec_lo
	v_cmpx_gt_i32_e64 s5, v0
	s_cbranch_execz .LBB10_20
.LBB10_19:
	v_add_nc_u32_e32 v0, s4, v0
	v_lshrrev_b32_e32 v1, 24, v1
	global_store_b8 v0, v1, s[2:3]
.LBB10_20:
	s_nop 0
	s_sendmsg sendmsg(MSG_DEALLOC_VGPRS)
	s_endpgm
.LBB10_21:
	v_or_b32_e32 v6, s4, v0
	v_mov_b32_e32 v0, v4
	global_store_b8 v6, v5, s[2:3]
	s_or_b32 exec_lo, exec_lo, s0
	s_delay_alu instid0(SALU_CYCLE_1)
	s_mov_b32 s0, exec_lo
	v_cmpx_gt_i32_e64 s5, v0
	s_cbranch_execz .LBB10_5
.LBB10_22:
	v_add_nc_u32_e32 v4, s4, v0
	v_lshrrev_b32_e32 v6, 8, v5
	v_add_nc_u32_e32 v0, 0x100, v0
	global_store_b8 v4, v6, s[2:3]
	s_or_b32 exec_lo, exec_lo, s0
	s_delay_alu instid0(SALU_CYCLE_1)
	s_mov_b32 s0, exec_lo
	v_cmpx_gt_i32_e64 s5, v0
	s_cbranch_execz .LBB10_6
.LBB10_23:
	v_add_nc_u32_e32 v4, s4, v0
	v_add_nc_u32_e32 v0, 0x100, v0
	global_store_d16_hi_b8 v4, v5, s[2:3]
	s_or_b32 exec_lo, exec_lo, s0
	s_delay_alu instid0(SALU_CYCLE_1)
	s_mov_b32 s0, exec_lo
	v_cmpx_gt_i32_e64 s5, v0
	s_cbranch_execz .LBB10_7
.LBB10_24:
	v_add_nc_u32_e32 v4, s4, v0
	v_lshrrev_b32_e32 v5, 24, v5
	v_add_nc_u32_e32 v0, 0x100, v0
	global_store_b8 v4, v5, s[2:3]
	s_or_b32 exec_lo, exec_lo, s0
	s_delay_alu instid0(SALU_CYCLE_1)
	s_mov_b32 s0, exec_lo
	v_cmpx_gt_i32_e64 s5, v0
	s_cbranch_execz .LBB10_8
.LBB10_25:
	v_add_nc_u32_e32 v4, s4, v0
	v_add_nc_u32_e32 v0, 0x100, v0
	global_store_b8 v4, v3, s[2:3]
	s_or_b32 exec_lo, exec_lo, s0
	s_delay_alu instid0(SALU_CYCLE_1)
	s_mov_b32 s0, exec_lo
	v_cmpx_gt_i32_e64 s5, v0
	s_cbranch_execz .LBB10_9
.LBB10_26:
	v_add_nc_u32_e32 v4, s4, v0
	v_lshrrev_b32_e32 v5, 8, v3
	v_add_nc_u32_e32 v0, 0x100, v0
	global_store_b8 v4, v5, s[2:3]
	s_or_b32 exec_lo, exec_lo, s0
	s_delay_alu instid0(SALU_CYCLE_1)
	s_mov_b32 s0, exec_lo
	v_cmpx_gt_i32_e64 s5, v0
	s_cbranch_execz .LBB10_10
.LBB10_27:
	v_add_nc_u32_e32 v4, s4, v0
	v_add_nc_u32_e32 v0, 0x100, v0
	global_store_d16_hi_b8 v4, v3, s[2:3]
	s_or_b32 exec_lo, exec_lo, s0
	s_delay_alu instid0(SALU_CYCLE_1)
	s_mov_b32 s0, exec_lo
	v_cmpx_gt_i32_e64 s5, v0
	s_cbranch_execz .LBB10_11
.LBB10_28:
	v_add_nc_u32_e32 v4, s4, v0
	v_lshrrev_b32_e32 v3, 24, v3
	v_add_nc_u32_e32 v0, 0x100, v0
	global_store_b8 v4, v3, s[2:3]
	s_or_b32 exec_lo, exec_lo, s0
	s_delay_alu instid0(SALU_CYCLE_1)
	s_mov_b32 s0, exec_lo
	v_cmpx_gt_i32_e64 s5, v0
	s_cbranch_execz .LBB10_12
.LBB10_29:
	v_add_nc_u32_e32 v3, s4, v0
	v_add_nc_u32_e32 v0, 0x100, v0
	global_store_b8 v3, v2, s[2:3]
	s_or_b32 exec_lo, exec_lo, s0
	s_delay_alu instid0(SALU_CYCLE_1)
	s_mov_b32 s0, exec_lo
	v_cmpx_gt_i32_e64 s5, v0
	s_cbranch_execz .LBB10_13
.LBB10_30:
	v_add_nc_u32_e32 v3, s4, v0
	v_lshrrev_b32_e32 v4, 8, v2
	v_add_nc_u32_e32 v0, 0x100, v0
	global_store_b8 v3, v4, s[2:3]
	s_or_b32 exec_lo, exec_lo, s0
	s_delay_alu instid0(SALU_CYCLE_1)
	s_mov_b32 s0, exec_lo
	v_cmpx_gt_i32_e64 s5, v0
	s_cbranch_execz .LBB10_14
.LBB10_31:
	v_add_nc_u32_e32 v3, s4, v0
	v_add_nc_u32_e32 v0, 0x100, v0
	global_store_d16_hi_b8 v3, v2, s[2:3]
	s_or_b32 exec_lo, exec_lo, s0
	s_delay_alu instid0(SALU_CYCLE_1)
	s_mov_b32 s0, exec_lo
	v_cmpx_gt_i32_e64 s5, v0
	s_cbranch_execz .LBB10_15
.LBB10_32:
	v_add_nc_u32_e32 v3, s4, v0
	v_lshrrev_b32_e32 v2, 24, v2
	v_add_nc_u32_e32 v0, 0x100, v0
	global_store_b8 v3, v2, s[2:3]
	s_or_b32 exec_lo, exec_lo, s0
	s_delay_alu instid0(SALU_CYCLE_1)
	s_mov_b32 s0, exec_lo
	v_cmpx_gt_i32_e64 s5, v0
	s_cbranch_execz .LBB10_16
.LBB10_33:
	v_add_nc_u32_e32 v2, s4, v0
	v_add_nc_u32_e32 v0, 0x100, v0
	global_store_b8 v2, v1, s[2:3]
	s_or_b32 exec_lo, exec_lo, s0
	s_delay_alu instid0(SALU_CYCLE_1)
	s_mov_b32 s0, exec_lo
	v_cmpx_gt_i32_e64 s5, v0
	s_cbranch_execz .LBB10_17
.LBB10_34:
	v_add_nc_u32_e32 v2, s4, v0
	v_lshrrev_b32_e32 v3, 8, v1
	v_add_nc_u32_e32 v0, 0x100, v0
	global_store_b8 v2, v3, s[2:3]
	s_or_b32 exec_lo, exec_lo, s0
	s_delay_alu instid0(SALU_CYCLE_1)
	s_mov_b32 s0, exec_lo
	v_cmpx_gt_i32_e64 s5, v0
	s_cbranch_execz .LBB10_18
.LBB10_35:
	v_add_nc_u32_e32 v2, s4, v0
	v_add_nc_u32_e32 v0, 0x100, v0
	global_store_d16_hi_b8 v2, v1, s[2:3]
	s_or_b32 exec_lo, exec_lo, s0
	s_delay_alu instid0(SALU_CYCLE_1)
	s_mov_b32 s0, exec_lo
	v_cmpx_gt_i32_e64 s5, v0
	s_cbranch_execnz .LBB10_19
	s_branch .LBB10_20
	.section	.rodata,"a",@progbits
	.p2align	6, 0x0
	.amdhsa_kernel _ZN2at6native29vectorized_elementwise_kernelILi4ENS0_11FillFunctorIaEESt5arrayIPcLm1EEEEviT0_T1_
		.amdhsa_group_segment_fixed_size 0
		.amdhsa_private_segment_fixed_size 0
		.amdhsa_kernarg_size 16
		.amdhsa_user_sgpr_count 15
		.amdhsa_user_sgpr_dispatch_ptr 0
		.amdhsa_user_sgpr_queue_ptr 0
		.amdhsa_user_sgpr_kernarg_segment_ptr 1
		.amdhsa_user_sgpr_dispatch_id 0
		.amdhsa_user_sgpr_private_segment_size 0
		.amdhsa_wavefront_size32 1
		.amdhsa_uses_dynamic_stack 0
		.amdhsa_enable_private_segment 0
		.amdhsa_system_sgpr_workgroup_id_x 1
		.amdhsa_system_sgpr_workgroup_id_y 0
		.amdhsa_system_sgpr_workgroup_id_z 0
		.amdhsa_system_sgpr_workgroup_info 0
		.amdhsa_system_vgpr_workitem_id 0
		.amdhsa_next_free_vgpr 16
		.amdhsa_next_free_sgpr 16
		.amdhsa_reserve_vcc 1
		.amdhsa_float_round_mode_32 0
		.amdhsa_float_round_mode_16_64 0
		.amdhsa_float_denorm_mode_32 3
		.amdhsa_float_denorm_mode_16_64 3
		.amdhsa_dx10_clamp 1
		.amdhsa_ieee_mode 1
		.amdhsa_fp16_overflow 0
		.amdhsa_workgroup_processor_mode 1
		.amdhsa_memory_ordered 1
		.amdhsa_forward_progress 0
		.amdhsa_shared_vgpr_count 0
		.amdhsa_exception_fp_ieee_invalid_op 0
		.amdhsa_exception_fp_denorm_src 0
		.amdhsa_exception_fp_ieee_div_zero 0
		.amdhsa_exception_fp_ieee_overflow 0
		.amdhsa_exception_fp_ieee_underflow 0
		.amdhsa_exception_fp_ieee_inexact 0
		.amdhsa_exception_int_div_zero 0
	.end_amdhsa_kernel
	.section	.text._ZN2at6native29vectorized_elementwise_kernelILi4ENS0_11FillFunctorIaEESt5arrayIPcLm1EEEEviT0_T1_,"axG",@progbits,_ZN2at6native29vectorized_elementwise_kernelILi4ENS0_11FillFunctorIaEESt5arrayIPcLm1EEEEviT0_T1_,comdat
.Lfunc_end10:
	.size	_ZN2at6native29vectorized_elementwise_kernelILi4ENS0_11FillFunctorIaEESt5arrayIPcLm1EEEEviT0_T1_, .Lfunc_end10-_ZN2at6native29vectorized_elementwise_kernelILi4ENS0_11FillFunctorIaEESt5arrayIPcLm1EEEEviT0_T1_
                                        ; -- End function
	.section	.AMDGPU.csdata,"",@progbits
; Kernel info:
; codeLenInByte = 1792
; NumSgprs: 18
; NumVgprs: 16
; ScratchSize: 0
; MemoryBound: 0
; FloatMode: 240
; IeeeMode: 1
; LDSByteSize: 0 bytes/workgroup (compile time only)
; SGPRBlocks: 2
; VGPRBlocks: 1
; NumSGPRsForWavesPerEU: 18
; NumVGPRsForWavesPerEU: 16
; Occupancy: 16
; WaveLimiterHint : 1
; COMPUTE_PGM_RSRC2:SCRATCH_EN: 0
; COMPUTE_PGM_RSRC2:USER_SGPR: 15
; COMPUTE_PGM_RSRC2:TRAP_HANDLER: 0
; COMPUTE_PGM_RSRC2:TGID_X_EN: 1
; COMPUTE_PGM_RSRC2:TGID_Y_EN: 0
; COMPUTE_PGM_RSRC2:TGID_Z_EN: 0
; COMPUTE_PGM_RSRC2:TIDIG_COMP_CNT: 0
	.section	.text._ZN2at6native29vectorized_elementwise_kernelILi2ENS0_11FillFunctorIaEESt5arrayIPcLm1EEEEviT0_T1_,"axG",@progbits,_ZN2at6native29vectorized_elementwise_kernelILi2ENS0_11FillFunctorIaEESt5arrayIPcLm1EEEEviT0_T1_,comdat
	.protected	_ZN2at6native29vectorized_elementwise_kernelILi2ENS0_11FillFunctorIaEESt5arrayIPcLm1EEEEviT0_T1_ ; -- Begin function _ZN2at6native29vectorized_elementwise_kernelILi2ENS0_11FillFunctorIaEESt5arrayIPcLm1EEEEviT0_T1_
	.globl	_ZN2at6native29vectorized_elementwise_kernelILi2ENS0_11FillFunctorIaEESt5arrayIPcLm1EEEEviT0_T1_
	.p2align	8
	.type	_ZN2at6native29vectorized_elementwise_kernelILi2ENS0_11FillFunctorIaEESt5arrayIPcLm1EEEEviT0_T1_,@function
_ZN2at6native29vectorized_elementwise_kernelILi2ENS0_11FillFunctorIaEESt5arrayIPcLm1EEEEviT0_T1_: ; @_ZN2at6native29vectorized_elementwise_kernelILi2ENS0_11FillFunctorIaEESt5arrayIPcLm1EEEEviT0_T1_
; %bb.0:
	s_load_b128 s[0:3], s[0:1], 0x0
	s_lshl_b32 s4, s15, 12
	s_waitcnt lgkmcnt(0)
	v_and_b32_e64 v1, 0xff, s1
	s_sub_i32 s5, s0, s4
	s_mov_b32 s0, -1
	s_cmpk_gt_i32 s5, 0xfff
	s_cbranch_scc0 .LBB11_2
; %bb.1:
	v_lshlrev_b32_e32 v2, 1, v0
	v_mul_lo_u16 v3, 0x101, v1
	s_ashr_i32 s0, s4, 31
	s_add_u32 s6, s2, s4
	s_addc_u32 s7, s3, s0
	s_mov_b32 s0, 0
	s_clause 0x7
	global_store_b16 v2, v3, s[6:7]
	global_store_b16 v2, v3, s[6:7] offset:512
	global_store_b16 v2, v3, s[6:7] offset:1024
	;; [unrolled: 1-line block ×7, first 2 shown]
.LBB11_2:
	s_and_not1_b32 vcc_lo, exec_lo, s0
	s_cbranch_vccnz .LBB11_20
; %bb.3:
	v_lshlrev_b16 v2, 8, s1
	v_or_b32_e32 v4, 0x100, v0
	v_and_b32_e32 v5, 0xffff, v1
	v_or_b32_e32 v13, 0x900, v0
	v_or_b32_e32 v6, 0x200, v0
	;; [unrolled: 1-line block ×3, first 2 shown]
	v_cmp_gt_i32_e64 s0, s5, v4
	v_lshlrev_b32_e32 v1, 16, v1
	v_or_b32_e32 v9, 0x400, v0
	v_perm_b32 v8, s1, 0, 0x3020104
	v_and_b32_e32 v3, 0xffff, v3
	v_or_b32_e32 v17, 0xc00, v0
	v_or_b32_e32 v15, 0xa00, v0
	;; [unrolled: 1-line block ×4, first 2 shown]
	v_cndmask_b32_e64 v11, v5, v3, s0
	v_cmp_gt_i32_e64 s0, s5, v13
	v_or_b32_e32 v7, 0x300, v0
	v_or_b32_e32 v14, 0x700, v0
	v_cmp_gt_i32_e32 vcc_lo, s5, v0
	v_or_b32_e32 v16, v11, v1
	v_cndmask_b32_e64 v3, v5, v3, s0
	v_cmp_gt_i32_e64 s0, s5, v6
	s_delay_alu instid0(VALU_DEP_2) | instskip(NEXT) | instid1(VALU_DEP_2)
	v_or_b32_e32 v1, v3, v1
	v_cndmask_b32_e64 v5, v11, v16, s0
	v_cmp_gt_i32_e64 s0, s5, v9
	s_delay_alu instid0(VALU_DEP_2) | instskip(NEXT) | instid1(VALU_DEP_2)
	v_lshrrev_b32_e32 v9, 16, v5
	v_cndmask_b32_e64 v6, 0, v8, s0
	v_cmp_gt_i32_e64 s0, s5, v17
	s_delay_alu instid0(VALU_DEP_3) | instskip(NEXT) | instid1(VALU_DEP_3)
	v_and_b32_e32 v9, 0xff, v9
	v_perm_b32 v11, v6, s1, 0x7060004
	s_delay_alu instid0(VALU_DEP_3) | instskip(SKIP_1) | instid1(VALU_DEP_4)
	v_cndmask_b32_e64 v8, 0, v8, s0
	v_cmp_gt_i32_e64 s0, s5, v15
	v_or_b32_e32 v9, v9, v2
	s_delay_alu instid0(VALU_DEP_3) | instskip(NEXT) | instid1(VALU_DEP_3)
	v_perm_b32 v13, v8, s1, 0x7060004
	v_cndmask_b32_e64 v1, v3, v1, s0
	v_or_b32_e32 v3, 0xd00, v0
	v_cmp_gt_i32_e64 s0, s5, v10
	v_or_b32_e32 v10, 0xe00, v0
	v_lshlrev_b32_e32 v9, 16, v9
	v_lshrrev_b32_e32 v15, 16, v1
	s_delay_alu instid0(VALU_DEP_4) | instskip(SKIP_1) | instid1(VALU_DEP_2)
	v_cndmask_b32_e64 v6, v6, v11, s0
	v_cmp_gt_i32_e64 s0, s5, v3
	v_perm_b32 v11, v6, s1, 0x7000504
	s_delay_alu instid0(VALU_DEP_2) | instskip(SKIP_2) | instid1(VALU_DEP_3)
	v_cndmask_b32_e64 v3, v8, v13, s0
	v_cmp_gt_i32_e64 s0, s5, v12
	v_and_b32_e32 v8, 0xff, v15
	v_perm_b32 v13, v3, s1, 0x7000504
	s_delay_alu instid0(VALU_DEP_3) | instskip(SKIP_1) | instid1(VALU_DEP_4)
	v_cndmask_b32_e64 v6, v6, v11, s0
	v_cmp_gt_i32_e64 s0, s5, v10
	v_or_b32_e32 v2, v8, v2
	v_and_or_b32 v8, 0xffff, v5, v9
	s_delay_alu instid0(VALU_DEP_3) | instskip(SKIP_1) | instid1(VALU_DEP_4)
	v_cndmask_b32_e64 v9, v3, v13, s0
	v_cmp_gt_i32_e64 s0, s5, v7
	v_lshlrev_b32_e32 v2, 16, v2
	v_perm_b32 v3, v6, s1, 0x60504
	v_or_b32_e32 v7, 0xb00, v0
	v_perm_b32 v10, v9, s1, 0x60504
	v_cndmask_b32_e64 v5, v5, v8, s0
	v_cmp_gt_i32_e64 s0, s5, v14
	v_and_or_b32 v2, 0xffff, v1, v2
	v_or_b32_e32 v8, 0xf00, v0
	s_delay_alu instid0(VALU_DEP_3) | instskip(SKIP_1) | instid1(VALU_DEP_1)
	v_cndmask_b32_e64 v3, v6, v3, s0
	v_cmp_gt_i32_e64 s0, s5, v7
	v_cndmask_b32_e64 v2, v1, v2, s0
	s_delay_alu instid0(VALU_DEP_4) | instskip(NEXT) | instid1(VALU_DEP_1)
	v_cmp_gt_i32_e64 s0, s5, v8
	v_cndmask_b32_e64 v1, v9, v10, s0
	s_and_saveexec_b32 s0, vcc_lo
	s_cbranch_execnz .LBB11_21
; %bb.4:
	s_or_b32 exec_lo, exec_lo, s0
	s_delay_alu instid0(SALU_CYCLE_1)
	s_mov_b32 s0, exec_lo
	v_cmpx_gt_i32_e64 s5, v0
	s_cbranch_execnz .LBB11_22
.LBB11_5:
	s_or_b32 exec_lo, exec_lo, s0
	s_delay_alu instid0(SALU_CYCLE_1)
	s_mov_b32 s0, exec_lo
	v_cmpx_gt_i32_e64 s5, v0
	s_cbranch_execnz .LBB11_23
.LBB11_6:
	s_or_b32 exec_lo, exec_lo, s0
	s_delay_alu instid0(SALU_CYCLE_1)
	s_mov_b32 s0, exec_lo
	v_cmpx_gt_i32_e64 s5, v0
	s_cbranch_execnz .LBB11_24
.LBB11_7:
	s_or_b32 exec_lo, exec_lo, s0
	s_delay_alu instid0(SALU_CYCLE_1)
	s_mov_b32 s0, exec_lo
	v_cmpx_gt_i32_e64 s5, v0
	s_cbranch_execnz .LBB11_25
.LBB11_8:
	s_or_b32 exec_lo, exec_lo, s0
	s_delay_alu instid0(SALU_CYCLE_1)
	s_mov_b32 s0, exec_lo
	v_cmpx_gt_i32_e64 s5, v0
	s_cbranch_execnz .LBB11_26
.LBB11_9:
	s_or_b32 exec_lo, exec_lo, s0
	s_delay_alu instid0(SALU_CYCLE_1)
	s_mov_b32 s0, exec_lo
	v_cmpx_gt_i32_e64 s5, v0
	s_cbranch_execnz .LBB11_27
.LBB11_10:
	s_or_b32 exec_lo, exec_lo, s0
	s_delay_alu instid0(SALU_CYCLE_1)
	s_mov_b32 s0, exec_lo
	v_cmpx_gt_i32_e64 s5, v0
	s_cbranch_execnz .LBB11_28
.LBB11_11:
	s_or_b32 exec_lo, exec_lo, s0
	s_delay_alu instid0(SALU_CYCLE_1)
	s_mov_b32 s0, exec_lo
	v_cmpx_gt_i32_e64 s5, v0
	s_cbranch_execnz .LBB11_29
.LBB11_12:
	s_or_b32 exec_lo, exec_lo, s0
	s_delay_alu instid0(SALU_CYCLE_1)
	s_mov_b32 s0, exec_lo
	v_cmpx_gt_i32_e64 s5, v0
	s_cbranch_execnz .LBB11_30
.LBB11_13:
	s_or_b32 exec_lo, exec_lo, s0
	s_delay_alu instid0(SALU_CYCLE_1)
	s_mov_b32 s0, exec_lo
	v_cmpx_gt_i32_e64 s5, v0
	s_cbranch_execnz .LBB11_31
.LBB11_14:
	s_or_b32 exec_lo, exec_lo, s0
	s_delay_alu instid0(SALU_CYCLE_1)
	s_mov_b32 s0, exec_lo
	v_cmpx_gt_i32_e64 s5, v0
	s_cbranch_execnz .LBB11_32
.LBB11_15:
	s_or_b32 exec_lo, exec_lo, s0
	s_delay_alu instid0(SALU_CYCLE_1)
	s_mov_b32 s0, exec_lo
	v_cmpx_gt_i32_e64 s5, v0
	s_cbranch_execnz .LBB11_33
.LBB11_16:
	s_or_b32 exec_lo, exec_lo, s0
	s_delay_alu instid0(SALU_CYCLE_1)
	s_mov_b32 s0, exec_lo
	v_cmpx_gt_i32_e64 s5, v0
	s_cbranch_execnz .LBB11_34
.LBB11_17:
	s_or_b32 exec_lo, exec_lo, s0
	s_delay_alu instid0(SALU_CYCLE_1)
	s_mov_b32 s0, exec_lo
	v_cmpx_gt_i32_e64 s5, v0
	s_cbranch_execnz .LBB11_35
.LBB11_18:
	s_or_b32 exec_lo, exec_lo, s0
	s_delay_alu instid0(SALU_CYCLE_1)
	s_mov_b32 s0, exec_lo
	v_cmpx_gt_i32_e64 s5, v0
	s_cbranch_execz .LBB11_20
.LBB11_19:
	v_add_nc_u32_e32 v0, s4, v0
	v_lshrrev_b32_e32 v1, 24, v1
	global_store_b8 v0, v1, s[2:3]
.LBB11_20:
	s_nop 0
	s_sendmsg sendmsg(MSG_DEALLOC_VGPRS)
	s_endpgm
.LBB11_21:
	v_or_b32_e32 v6, s4, v0
	v_mov_b32_e32 v0, v4
	global_store_b8 v6, v5, s[2:3]
	s_or_b32 exec_lo, exec_lo, s0
	s_delay_alu instid0(SALU_CYCLE_1)
	s_mov_b32 s0, exec_lo
	v_cmpx_gt_i32_e64 s5, v0
	s_cbranch_execz .LBB11_5
.LBB11_22:
	v_add_nc_u32_e32 v4, s4, v0
	v_lshrrev_b32_e32 v6, 8, v5
	v_add_nc_u32_e32 v0, 0x100, v0
	global_store_b8 v4, v6, s[2:3]
	s_or_b32 exec_lo, exec_lo, s0
	s_delay_alu instid0(SALU_CYCLE_1)
	s_mov_b32 s0, exec_lo
	v_cmpx_gt_i32_e64 s5, v0
	s_cbranch_execz .LBB11_6
.LBB11_23:
	v_add_nc_u32_e32 v4, s4, v0
	v_add_nc_u32_e32 v0, 0x100, v0
	global_store_d16_hi_b8 v4, v5, s[2:3]
	s_or_b32 exec_lo, exec_lo, s0
	s_delay_alu instid0(SALU_CYCLE_1)
	s_mov_b32 s0, exec_lo
	v_cmpx_gt_i32_e64 s5, v0
	s_cbranch_execz .LBB11_7
.LBB11_24:
	v_add_nc_u32_e32 v4, s4, v0
	v_lshrrev_b32_e32 v5, 24, v5
	v_add_nc_u32_e32 v0, 0x100, v0
	global_store_b8 v4, v5, s[2:3]
	s_or_b32 exec_lo, exec_lo, s0
	s_delay_alu instid0(SALU_CYCLE_1)
	s_mov_b32 s0, exec_lo
	v_cmpx_gt_i32_e64 s5, v0
	s_cbranch_execz .LBB11_8
.LBB11_25:
	v_add_nc_u32_e32 v4, s4, v0
	v_add_nc_u32_e32 v0, 0x100, v0
	global_store_b8 v4, v3, s[2:3]
	s_or_b32 exec_lo, exec_lo, s0
	s_delay_alu instid0(SALU_CYCLE_1)
	s_mov_b32 s0, exec_lo
	v_cmpx_gt_i32_e64 s5, v0
	s_cbranch_execz .LBB11_9
.LBB11_26:
	v_add_nc_u32_e32 v4, s4, v0
	v_lshrrev_b32_e32 v5, 8, v3
	v_add_nc_u32_e32 v0, 0x100, v0
	global_store_b8 v4, v5, s[2:3]
	s_or_b32 exec_lo, exec_lo, s0
	s_delay_alu instid0(SALU_CYCLE_1)
	s_mov_b32 s0, exec_lo
	v_cmpx_gt_i32_e64 s5, v0
	s_cbranch_execz .LBB11_10
.LBB11_27:
	v_add_nc_u32_e32 v4, s4, v0
	v_add_nc_u32_e32 v0, 0x100, v0
	global_store_d16_hi_b8 v4, v3, s[2:3]
	s_or_b32 exec_lo, exec_lo, s0
	s_delay_alu instid0(SALU_CYCLE_1)
	s_mov_b32 s0, exec_lo
	v_cmpx_gt_i32_e64 s5, v0
	s_cbranch_execz .LBB11_11
.LBB11_28:
	v_add_nc_u32_e32 v4, s4, v0
	v_lshrrev_b32_e32 v3, 24, v3
	v_add_nc_u32_e32 v0, 0x100, v0
	global_store_b8 v4, v3, s[2:3]
	s_or_b32 exec_lo, exec_lo, s0
	s_delay_alu instid0(SALU_CYCLE_1)
	s_mov_b32 s0, exec_lo
	v_cmpx_gt_i32_e64 s5, v0
	s_cbranch_execz .LBB11_12
.LBB11_29:
	v_add_nc_u32_e32 v3, s4, v0
	v_add_nc_u32_e32 v0, 0x100, v0
	global_store_b8 v3, v2, s[2:3]
	s_or_b32 exec_lo, exec_lo, s0
	s_delay_alu instid0(SALU_CYCLE_1)
	s_mov_b32 s0, exec_lo
	v_cmpx_gt_i32_e64 s5, v0
	s_cbranch_execz .LBB11_13
.LBB11_30:
	v_add_nc_u32_e32 v3, s4, v0
	v_lshrrev_b32_e32 v4, 8, v2
	v_add_nc_u32_e32 v0, 0x100, v0
	global_store_b8 v3, v4, s[2:3]
	s_or_b32 exec_lo, exec_lo, s0
	s_delay_alu instid0(SALU_CYCLE_1)
	s_mov_b32 s0, exec_lo
	v_cmpx_gt_i32_e64 s5, v0
	s_cbranch_execz .LBB11_14
.LBB11_31:
	v_add_nc_u32_e32 v3, s4, v0
	v_add_nc_u32_e32 v0, 0x100, v0
	global_store_d16_hi_b8 v3, v2, s[2:3]
	s_or_b32 exec_lo, exec_lo, s0
	s_delay_alu instid0(SALU_CYCLE_1)
	s_mov_b32 s0, exec_lo
	v_cmpx_gt_i32_e64 s5, v0
	s_cbranch_execz .LBB11_15
.LBB11_32:
	v_add_nc_u32_e32 v3, s4, v0
	v_lshrrev_b32_e32 v2, 24, v2
	v_add_nc_u32_e32 v0, 0x100, v0
	global_store_b8 v3, v2, s[2:3]
	s_or_b32 exec_lo, exec_lo, s0
	s_delay_alu instid0(SALU_CYCLE_1)
	s_mov_b32 s0, exec_lo
	v_cmpx_gt_i32_e64 s5, v0
	s_cbranch_execz .LBB11_16
.LBB11_33:
	v_add_nc_u32_e32 v2, s4, v0
	v_add_nc_u32_e32 v0, 0x100, v0
	global_store_b8 v2, v1, s[2:3]
	s_or_b32 exec_lo, exec_lo, s0
	s_delay_alu instid0(SALU_CYCLE_1)
	s_mov_b32 s0, exec_lo
	v_cmpx_gt_i32_e64 s5, v0
	s_cbranch_execz .LBB11_17
.LBB11_34:
	v_add_nc_u32_e32 v2, s4, v0
	v_lshrrev_b32_e32 v3, 8, v1
	v_add_nc_u32_e32 v0, 0x100, v0
	global_store_b8 v2, v3, s[2:3]
	s_or_b32 exec_lo, exec_lo, s0
	s_delay_alu instid0(SALU_CYCLE_1)
	s_mov_b32 s0, exec_lo
	v_cmpx_gt_i32_e64 s5, v0
	s_cbranch_execz .LBB11_18
.LBB11_35:
	v_add_nc_u32_e32 v2, s4, v0
	v_add_nc_u32_e32 v0, 0x100, v0
	global_store_d16_hi_b8 v2, v1, s[2:3]
	s_or_b32 exec_lo, exec_lo, s0
	s_delay_alu instid0(SALU_CYCLE_1)
	s_mov_b32 s0, exec_lo
	v_cmpx_gt_i32_e64 s5, v0
	s_cbranch_execnz .LBB11_19
	s_branch .LBB11_20
	.section	.rodata,"a",@progbits
	.p2align	6, 0x0
	.amdhsa_kernel _ZN2at6native29vectorized_elementwise_kernelILi2ENS0_11FillFunctorIaEESt5arrayIPcLm1EEEEviT0_T1_
		.amdhsa_group_segment_fixed_size 0
		.amdhsa_private_segment_fixed_size 0
		.amdhsa_kernarg_size 16
		.amdhsa_user_sgpr_count 15
		.amdhsa_user_sgpr_dispatch_ptr 0
		.amdhsa_user_sgpr_queue_ptr 0
		.amdhsa_user_sgpr_kernarg_segment_ptr 1
		.amdhsa_user_sgpr_dispatch_id 0
		.amdhsa_user_sgpr_private_segment_size 0
		.amdhsa_wavefront_size32 1
		.amdhsa_uses_dynamic_stack 0
		.amdhsa_enable_private_segment 0
		.amdhsa_system_sgpr_workgroup_id_x 1
		.amdhsa_system_sgpr_workgroup_id_y 0
		.amdhsa_system_sgpr_workgroup_id_z 0
		.amdhsa_system_sgpr_workgroup_info 0
		.amdhsa_system_vgpr_workitem_id 0
		.amdhsa_next_free_vgpr 18
		.amdhsa_next_free_sgpr 16
		.amdhsa_reserve_vcc 1
		.amdhsa_float_round_mode_32 0
		.amdhsa_float_round_mode_16_64 0
		.amdhsa_float_denorm_mode_32 3
		.amdhsa_float_denorm_mode_16_64 3
		.amdhsa_dx10_clamp 1
		.amdhsa_ieee_mode 1
		.amdhsa_fp16_overflow 0
		.amdhsa_workgroup_processor_mode 1
		.amdhsa_memory_ordered 1
		.amdhsa_forward_progress 0
		.amdhsa_shared_vgpr_count 0
		.amdhsa_exception_fp_ieee_invalid_op 0
		.amdhsa_exception_fp_denorm_src 0
		.amdhsa_exception_fp_ieee_div_zero 0
		.amdhsa_exception_fp_ieee_overflow 0
		.amdhsa_exception_fp_ieee_underflow 0
		.amdhsa_exception_fp_ieee_inexact 0
		.amdhsa_exception_int_div_zero 0
	.end_amdhsa_kernel
	.section	.text._ZN2at6native29vectorized_elementwise_kernelILi2ENS0_11FillFunctorIaEESt5arrayIPcLm1EEEEviT0_T1_,"axG",@progbits,_ZN2at6native29vectorized_elementwise_kernelILi2ENS0_11FillFunctorIaEESt5arrayIPcLm1EEEEviT0_T1_,comdat
.Lfunc_end11:
	.size	_ZN2at6native29vectorized_elementwise_kernelILi2ENS0_11FillFunctorIaEESt5arrayIPcLm1EEEEviT0_T1_, .Lfunc_end11-_ZN2at6native29vectorized_elementwise_kernelILi2ENS0_11FillFunctorIaEESt5arrayIPcLm1EEEEviT0_T1_
                                        ; -- End function
	.section	.AMDGPU.csdata,"",@progbits
; Kernel info:
; codeLenInByte = 1808
; NumSgprs: 18
; NumVgprs: 18
; ScratchSize: 0
; MemoryBound: 0
; FloatMode: 240
; IeeeMode: 1
; LDSByteSize: 0 bytes/workgroup (compile time only)
; SGPRBlocks: 2
; VGPRBlocks: 2
; NumSGPRsForWavesPerEU: 18
; NumVGPRsForWavesPerEU: 18
; Occupancy: 16
; WaveLimiterHint : 1
; COMPUTE_PGM_RSRC2:SCRATCH_EN: 0
; COMPUTE_PGM_RSRC2:USER_SGPR: 15
; COMPUTE_PGM_RSRC2:TRAP_HANDLER: 0
; COMPUTE_PGM_RSRC2:TGID_X_EN: 1
; COMPUTE_PGM_RSRC2:TGID_Y_EN: 0
; COMPUTE_PGM_RSRC2:TGID_Z_EN: 0
; COMPUTE_PGM_RSRC2:TIDIG_COMP_CNT: 0
	.section	.text._ZN2at6native27unrolled_elementwise_kernelINS0_11FillFunctorIaEESt5arrayIPcLm1EELi4E23TrivialOffsetCalculatorILi0EjES7_ILi1EjENS0_6memory15LoadWithoutCastENSA_16StoreWithoutCastEEEviT_T0_T2_T3_T4_T5_,"axG",@progbits,_ZN2at6native27unrolled_elementwise_kernelINS0_11FillFunctorIaEESt5arrayIPcLm1EELi4E23TrivialOffsetCalculatorILi0EjES7_ILi1EjENS0_6memory15LoadWithoutCastENSA_16StoreWithoutCastEEEviT_T0_T2_T3_T4_T5_,comdat
	.protected	_ZN2at6native27unrolled_elementwise_kernelINS0_11FillFunctorIaEESt5arrayIPcLm1EELi4E23TrivialOffsetCalculatorILi0EjES7_ILi1EjENS0_6memory15LoadWithoutCastENSA_16StoreWithoutCastEEEviT_T0_T2_T3_T4_T5_ ; -- Begin function _ZN2at6native27unrolled_elementwise_kernelINS0_11FillFunctorIaEESt5arrayIPcLm1EELi4E23TrivialOffsetCalculatorILi0EjES7_ILi1EjENS0_6memory15LoadWithoutCastENSA_16StoreWithoutCastEEEviT_T0_T2_T3_T4_T5_
	.globl	_ZN2at6native27unrolled_elementwise_kernelINS0_11FillFunctorIaEESt5arrayIPcLm1EELi4E23TrivialOffsetCalculatorILi0EjES7_ILi1EjENS0_6memory15LoadWithoutCastENSA_16StoreWithoutCastEEEviT_T0_T2_T3_T4_T5_
	.p2align	8
	.type	_ZN2at6native27unrolled_elementwise_kernelINS0_11FillFunctorIaEESt5arrayIPcLm1EELi4E23TrivialOffsetCalculatorILi0EjES7_ILi1EjENS0_6memory15LoadWithoutCastENSA_16StoreWithoutCastEEEviT_T0_T2_T3_T4_T5_,@function
_ZN2at6native27unrolled_elementwise_kernelINS0_11FillFunctorIaEESt5arrayIPcLm1EELi4E23TrivialOffsetCalculatorILi0EjES7_ILi1EjENS0_6memory15LoadWithoutCastENSA_16StoreWithoutCastEEEviT_T0_T2_T3_T4_T5_: ; @_ZN2at6native27unrolled_elementwise_kernelINS0_11FillFunctorIaEESt5arrayIPcLm1EELi4E23TrivialOffsetCalculatorILi0EjES7_ILi1EjENS0_6memory15LoadWithoutCastENSA_16StoreWithoutCastEEEviT_T0_T2_T3_T4_T5_
; %bb.0:
	s_load_b128 s[0:3], s[0:1], 0x0
	s_waitcnt lgkmcnt(0)
	v_and_b32_e64 v1, 0xff, s1
	v_lshlrev_b16 v3, 8, s1
	s_and_b32 s4, s1, 0xffff0000
	s_delay_alu instid0(VALU_DEP_1) | instskip(NEXT) | instid1(VALU_DEP_1)
	v_or_b32_e32 v2, v1, v3
	v_and_b32_e32 v4, 0xffff, v2
	v_or_b32_e32 v2, 0x100, v0
	s_delay_alu instid0(VALU_DEP_2) | instskip(SKIP_1) | instid1(SALU_CYCLE_1)
	v_or_b32_e32 v4, s4, v4
	s_lshl_b32 s4, s15, 10
	s_sub_i32 s5, s0, s4
	s_delay_alu instid0(VALU_DEP_2) | instid1(SALU_CYCLE_1)
	v_cmp_gt_i32_e32 vcc_lo, s5, v2
	s_delay_alu instid0(VALU_DEP_2) | instskip(NEXT) | instid1(VALU_DEP_1)
	v_cndmask_b32_e32 v4, s1, v4, vcc_lo
	v_lshrrev_b32_e32 v5, 16, v4
	s_delay_alu instid0(VALU_DEP_1) | instskip(NEXT) | instid1(VALU_DEP_1)
	v_and_b32_e32 v5, 0xffffff00, v5
	v_or_b32_e32 v1, v1, v5
	v_or_b32_e32 v5, 0x200, v0
	s_delay_alu instid0(VALU_DEP_2) | instskip(NEXT) | instid1(VALU_DEP_2)
	v_lshlrev_b32_e32 v1, 16, v1
	v_cmp_gt_i32_e32 vcc_lo, s5, v5
	s_delay_alu instid0(VALU_DEP_2) | instskip(NEXT) | instid1(VALU_DEP_1)
	v_and_or_b32 v1, 0xffff, v4, v1
	v_cndmask_b32_e32 v1, v4, v1, vcc_lo
	s_delay_alu instid0(VALU_DEP_1) | instskip(NEXT) | instid1(VALU_DEP_1)
	v_lshrrev_b32_e32 v4, 16, v1
	v_and_b32_e32 v4, 0xff, v4
	s_delay_alu instid0(VALU_DEP_1) | instskip(SKIP_1) | instid1(VALU_DEP_2)
	v_or_b32_e32 v3, v4, v3
	v_or_b32_e32 v4, 0x300, v0
	v_lshlrev_b32_e32 v3, 16, v3
	s_delay_alu instid0(VALU_DEP_2) | instskip(NEXT) | instid1(VALU_DEP_2)
	v_cmp_gt_i32_e64 s0, s5, v4
	v_and_or_b32 v3, 0xffff, v1, v3
	s_delay_alu instid0(VALU_DEP_1)
	v_cndmask_b32_e64 v1, v1, v3, s0
	s_mov_b32 s0, exec_lo
	v_cmpx_gt_i32_e64 s5, v0
	s_cbranch_execnz .LBB12_5
; %bb.1:
	s_or_b32 exec_lo, exec_lo, s0
	s_delay_alu instid0(SALU_CYCLE_1)
	s_mov_b32 s0, exec_lo
	v_cmpx_gt_i32_e64 s5, v0
	s_cbranch_execnz .LBB12_6
.LBB12_2:
	s_or_b32 exec_lo, exec_lo, s0
	s_delay_alu instid0(SALU_CYCLE_1)
	s_mov_b32 s0, exec_lo
	v_cmpx_gt_i32_e64 s5, v0
	s_cbranch_execnz .LBB12_7
.LBB12_3:
	s_or_b32 exec_lo, exec_lo, s0
	s_delay_alu instid0(SALU_CYCLE_1)
	s_mov_b32 s0, exec_lo
	v_cmpx_gt_i32_e64 s5, v0
	s_cbranch_execnz .LBB12_8
.LBB12_4:
	s_nop 0
	s_sendmsg sendmsg(MSG_DEALLOC_VGPRS)
	s_endpgm
.LBB12_5:
	v_or_b32_e32 v3, s4, v0
	v_mov_b32_e32 v0, v2
	global_store_b8 v3, v1, s[2:3]
	s_or_b32 exec_lo, exec_lo, s0
	s_delay_alu instid0(SALU_CYCLE_1)
	s_mov_b32 s0, exec_lo
	v_cmpx_gt_i32_e64 s5, v0
	s_cbranch_execz .LBB12_2
.LBB12_6:
	v_add_nc_u32_e32 v2, 0x100, v0
	v_lshrrev_b32_e32 v3, 8, v1
	v_add_nc_u32_e32 v4, s4, v0
	s_delay_alu instid0(VALU_DEP_3) | instskip(SKIP_2) | instid1(SALU_CYCLE_1)
	v_mov_b32_e32 v0, v2
	global_store_b8 v4, v3, s[2:3]
	s_or_b32 exec_lo, exec_lo, s0
	s_mov_b32 s0, exec_lo
	v_cmpx_gt_i32_e64 s5, v0
	s_cbranch_execz .LBB12_3
.LBB12_7:
	v_add_nc_u32_e32 v2, 0x100, v0
	s_delay_alu instid0(VALU_DEP_1) | instskip(SKIP_2) | instid1(SALU_CYCLE_1)
	v_dual_mov_b32 v0, v2 :: v_dual_add_nc_u32 v3, s4, v0
	global_store_d16_hi_b8 v3, v1, s[2:3]
	s_or_b32 exec_lo, exec_lo, s0
	s_mov_b32 s0, exec_lo
	v_cmpx_gt_i32_e64 s5, v0
	s_cbranch_execz .LBB12_4
.LBB12_8:
	v_lshrrev_b32_e32 v1, 24, v1
	v_add_nc_u32_e32 v0, s4, v0
	global_store_b8 v0, v1, s[2:3]
	s_nop 0
	s_sendmsg sendmsg(MSG_DEALLOC_VGPRS)
	s_endpgm
	.section	.rodata,"a",@progbits
	.p2align	6, 0x0
	.amdhsa_kernel _ZN2at6native27unrolled_elementwise_kernelINS0_11FillFunctorIaEESt5arrayIPcLm1EELi4E23TrivialOffsetCalculatorILi0EjES7_ILi1EjENS0_6memory15LoadWithoutCastENSA_16StoreWithoutCastEEEviT_T0_T2_T3_T4_T5_
		.amdhsa_group_segment_fixed_size 0
		.amdhsa_private_segment_fixed_size 0
		.amdhsa_kernarg_size 20
		.amdhsa_user_sgpr_count 15
		.amdhsa_user_sgpr_dispatch_ptr 0
		.amdhsa_user_sgpr_queue_ptr 0
		.amdhsa_user_sgpr_kernarg_segment_ptr 1
		.amdhsa_user_sgpr_dispatch_id 0
		.amdhsa_user_sgpr_private_segment_size 0
		.amdhsa_wavefront_size32 1
		.amdhsa_uses_dynamic_stack 0
		.amdhsa_enable_private_segment 0
		.amdhsa_system_sgpr_workgroup_id_x 1
		.amdhsa_system_sgpr_workgroup_id_y 0
		.amdhsa_system_sgpr_workgroup_id_z 0
		.amdhsa_system_sgpr_workgroup_info 0
		.amdhsa_system_vgpr_workitem_id 0
		.amdhsa_next_free_vgpr 6
		.amdhsa_next_free_sgpr 16
		.amdhsa_reserve_vcc 1
		.amdhsa_float_round_mode_32 0
		.amdhsa_float_round_mode_16_64 0
		.amdhsa_float_denorm_mode_32 3
		.amdhsa_float_denorm_mode_16_64 3
		.amdhsa_dx10_clamp 1
		.amdhsa_ieee_mode 1
		.amdhsa_fp16_overflow 0
		.amdhsa_workgroup_processor_mode 1
		.amdhsa_memory_ordered 1
		.amdhsa_forward_progress 0
		.amdhsa_shared_vgpr_count 0
		.amdhsa_exception_fp_ieee_invalid_op 0
		.amdhsa_exception_fp_denorm_src 0
		.amdhsa_exception_fp_ieee_div_zero 0
		.amdhsa_exception_fp_ieee_overflow 0
		.amdhsa_exception_fp_ieee_underflow 0
		.amdhsa_exception_fp_ieee_inexact 0
		.amdhsa_exception_int_div_zero 0
	.end_amdhsa_kernel
	.section	.text._ZN2at6native27unrolled_elementwise_kernelINS0_11FillFunctorIaEESt5arrayIPcLm1EELi4E23TrivialOffsetCalculatorILi0EjES7_ILi1EjENS0_6memory15LoadWithoutCastENSA_16StoreWithoutCastEEEviT_T0_T2_T3_T4_T5_,"axG",@progbits,_ZN2at6native27unrolled_elementwise_kernelINS0_11FillFunctorIaEESt5arrayIPcLm1EELi4E23TrivialOffsetCalculatorILi0EjES7_ILi1EjENS0_6memory15LoadWithoutCastENSA_16StoreWithoutCastEEEviT_T0_T2_T3_T4_T5_,comdat
.Lfunc_end12:
	.size	_ZN2at6native27unrolled_elementwise_kernelINS0_11FillFunctorIaEESt5arrayIPcLm1EELi4E23TrivialOffsetCalculatorILi0EjES7_ILi1EjENS0_6memory15LoadWithoutCastENSA_16StoreWithoutCastEEEviT_T0_T2_T3_T4_T5_, .Lfunc_end12-_ZN2at6native27unrolled_elementwise_kernelINS0_11FillFunctorIaEESt5arrayIPcLm1EELi4E23TrivialOffsetCalculatorILi0EjES7_ILi1EjENS0_6memory15LoadWithoutCastENSA_16StoreWithoutCastEEEviT_T0_T2_T3_T4_T5_
                                        ; -- End function
	.section	.AMDGPU.csdata,"",@progbits
; Kernel info:
; codeLenInByte = 496
; NumSgprs: 18
; NumVgprs: 6
; ScratchSize: 0
; MemoryBound: 0
; FloatMode: 240
; IeeeMode: 1
; LDSByteSize: 0 bytes/workgroup (compile time only)
; SGPRBlocks: 2
; VGPRBlocks: 0
; NumSGPRsForWavesPerEU: 18
; NumVGPRsForWavesPerEU: 6
; Occupancy: 16
; WaveLimiterHint : 0
; COMPUTE_PGM_RSRC2:SCRATCH_EN: 0
; COMPUTE_PGM_RSRC2:USER_SGPR: 15
; COMPUTE_PGM_RSRC2:TRAP_HANDLER: 0
; COMPUTE_PGM_RSRC2:TGID_X_EN: 1
; COMPUTE_PGM_RSRC2:TGID_Y_EN: 0
; COMPUTE_PGM_RSRC2:TGID_Z_EN: 0
; COMPUTE_PGM_RSRC2:TIDIG_COMP_CNT: 0
	.section	.text._ZN2at6native32elementwise_kernel_manual_unrollILi128ELi8EZNS0_22gpu_kernel_impl_nocastINS0_11FillFunctorIaEEEEvRNS_18TensorIteratorBaseERKT_EUlibE_EEviT1_,"axG",@progbits,_ZN2at6native32elementwise_kernel_manual_unrollILi128ELi8EZNS0_22gpu_kernel_impl_nocastINS0_11FillFunctorIaEEEEvRNS_18TensorIteratorBaseERKT_EUlibE_EEviT1_,comdat
	.protected	_ZN2at6native32elementwise_kernel_manual_unrollILi128ELi8EZNS0_22gpu_kernel_impl_nocastINS0_11FillFunctorIaEEEEvRNS_18TensorIteratorBaseERKT_EUlibE_EEviT1_ ; -- Begin function _ZN2at6native32elementwise_kernel_manual_unrollILi128ELi8EZNS0_22gpu_kernel_impl_nocastINS0_11FillFunctorIaEEEEvRNS_18TensorIteratorBaseERKT_EUlibE_EEviT1_
	.globl	_ZN2at6native32elementwise_kernel_manual_unrollILi128ELi8EZNS0_22gpu_kernel_impl_nocastINS0_11FillFunctorIaEEEEvRNS_18TensorIteratorBaseERKT_EUlibE_EEviT1_
	.p2align	8
	.type	_ZN2at6native32elementwise_kernel_manual_unrollILi128ELi8EZNS0_22gpu_kernel_impl_nocastINS0_11FillFunctorIaEEEEvRNS_18TensorIteratorBaseERKT_EUlibE_EEviT1_,@function
_ZN2at6native32elementwise_kernel_manual_unrollILi128ELi8EZNS0_22gpu_kernel_impl_nocastINS0_11FillFunctorIaEEEEvRNS_18TensorIteratorBaseERKT_EUlibE_EEviT1_: ; @_ZN2at6native32elementwise_kernel_manual_unrollILi128ELi8EZNS0_22gpu_kernel_impl_nocastINS0_11FillFunctorIaEEEEvRNS_18TensorIteratorBaseERKT_EUlibE_EEviT1_
; %bb.0:
	s_clause 0x1
	s_load_b32 s18, s[0:1], 0x8
	s_load_b32 s24, s[0:1], 0x0
	v_lshl_or_b32 v6, s15, 10, v0
	s_or_b32 s0, s0, 8
	s_mov_b32 s2, exec_lo
	s_delay_alu instid0(VALU_DEP_1) | instskip(SKIP_2) | instid1(SALU_CYCLE_1)
	v_or_b32_e32 v8, 0x380, v6
	s_waitcnt lgkmcnt(0)
	s_add_i32 s19, s18, -1
	s_cmp_gt_u32 s19, 1
	s_cselect_b32 s20, -1, 0
	v_cmpx_le_i32_e64 s24, v8
	s_xor_b32 s21, exec_lo, s2
	s_cbranch_execz .LBB13_7
; %bb.1:
	s_clause 0x4
	s_load_b128 s[4:7], s[0:1], 0x4
	s_load_b64 s[10:11], s[0:1], 0x14
	s_load_b64 s[8:9], s[0:1], 0xc4
	;; [unrolled: 1-line block ×3, first 2 shown]
	s_load_b32 s22, s[0:1], 0x110
	s_cmp_lg_u32 s18, 0
	s_mov_b32 s27, exec_lo
	s_cselect_b32 s26, -1, 0
	s_add_u32 s12, s0, 0xc4
	s_addc_u32 s13, s1, 0
	s_min_u32 s25, s19, 15
	s_cmp_gt_u32 s18, 1
	s_cselect_b32 s23, -1, 0
	v_cmpx_gt_i32_e64 s24, v6
	s_cbranch_execz .LBB13_14
; %bb.2:
	s_and_not1_b32 vcc_lo, exec_lo, s20
	s_cbranch_vccnz .LBB13_21
; %bb.3:
	v_mov_b32_e32 v0, 0
	s_and_not1_b32 vcc_lo, exec_lo, s26
	s_cbranch_vccnz .LBB13_125
; %bb.4:
	s_add_i32 s29, s25, 1
	s_cmp_eq_u32 s19, 2
	s_mov_b32 s28, 0
	s_cbranch_scc1 .LBB13_121
; %bb.5:
	v_dual_mov_b32 v0, 0 :: v_dual_mov_b32 v1, v6
	s_and_b32 s28, s29, 28
	s_mov_b32 s30, 0
	s_mov_b64 s[14:15], s[0:1]
	s_mov_b64 s[16:17], s[12:13]
.LBB13_6:                               ; =>This Inner Loop Header: Depth=1
	s_clause 0x1
	s_load_b256 s[36:43], s[14:15], 0x4
	s_load_b128 s[44:47], s[14:15], 0x24
	s_load_b128 s[48:51], s[16:17], 0x0
	s_add_u32 s14, s14, 48
	s_addc_u32 s15, s15, 0
	s_add_i32 s30, s30, 4
	s_add_u32 s16, s16, 16
	s_addc_u32 s17, s17, 0
	s_cmp_lg_u32 s28, s30
	s_waitcnt lgkmcnt(0)
	v_mul_hi_u32 v2, s37, v1
	s_delay_alu instid0(VALU_DEP_1) | instskip(NEXT) | instid1(VALU_DEP_1)
	v_add_nc_u32_e32 v2, v1, v2
	v_lshrrev_b32_e32 v2, s38, v2
	s_delay_alu instid0(VALU_DEP_1) | instskip(SKIP_1) | instid1(VALU_DEP_2)
	v_mul_hi_u32 v3, s40, v2
	v_mul_lo_u32 v7, v2, s36
	v_add_nc_u32_e32 v3, v2, v3
	s_delay_alu instid0(VALU_DEP_2) | instskip(NEXT) | instid1(VALU_DEP_2)
	v_sub_nc_u32_e32 v7, v1, v7
	v_lshrrev_b32_e32 v3, s41, v3
	s_delay_alu instid0(VALU_DEP_2) | instskip(NEXT) | instid1(VALU_DEP_2)
	v_mul_lo_u32 v7, v7, s48
	v_mul_hi_u32 v4, s43, v3
	v_mul_lo_u32 v8, v3, s39
	s_delay_alu instid0(VALU_DEP_2) | instskip(NEXT) | instid1(VALU_DEP_2)
	v_add_nc_u32_e32 v4, v3, v4
	v_sub_nc_u32_e32 v2, v2, v8
	s_delay_alu instid0(VALU_DEP_2) | instskip(NEXT) | instid1(VALU_DEP_2)
	v_lshrrev_b32_e32 v4, s44, v4
	v_mul_lo_u32 v2, v2, s49
	s_delay_alu instid0(VALU_DEP_2) | instskip(NEXT) | instid1(VALU_DEP_2)
	v_mul_hi_u32 v5, s46, v4
	v_add3_u32 v0, v7, v0, v2
	s_delay_alu instid0(VALU_DEP_2) | instskip(NEXT) | instid1(VALU_DEP_1)
	v_add_nc_u32_e32 v5, v4, v5
	v_lshrrev_b32_e32 v1, s47, v5
	v_mul_lo_u32 v5, v4, s42
	s_delay_alu instid0(VALU_DEP_2) | instskip(NEXT) | instid1(VALU_DEP_2)
	v_mul_lo_u32 v9, v1, s45
	v_sub_nc_u32_e32 v3, v3, v5
	s_delay_alu instid0(VALU_DEP_2) | instskip(NEXT) | instid1(VALU_DEP_2)
	v_sub_nc_u32_e32 v4, v4, v9
	v_mul_lo_u32 v3, v3, s50
	s_delay_alu instid0(VALU_DEP_2) | instskip(NEXT) | instid1(VALU_DEP_1)
	v_mul_lo_u32 v4, v4, s51
	v_add3_u32 v0, v3, v0, v4
	s_cbranch_scc1 .LBB13_6
	s_branch .LBB13_122
.LBB13_7:
	s_and_not1_saveexec_b32 s2, s21
	s_cbranch_execz .LBB13_206
.LBB13_8:
	v_cndmask_b32_e64 v7, 0, 1, s20
	s_and_not1_b32 vcc_lo, exec_lo, s20
	s_cbranch_vccnz .LBB13_20
; %bb.9:
	v_mov_b32_e32 v0, 0
	s_cmp_eq_u32 s18, 0
	s_mov_b32 s6, 0
	s_cbranch_scc1 .LBB13_26
; %bb.10:
	s_min_u32 s7, s19, 15
	v_mov_b32_e32 v0, 0
	s_add_i32 s7, s7, 1
	s_cmp_eq_u32 s19, 2
	s_mov_b32 s8, 0
	s_cbranch_scc1 .LBB13_23
; %bb.11:
	v_dual_mov_b32 v0, 0 :: v_dual_mov_b32 v1, v6
	s_add_u32 s2, s0, 0xc4
	s_addc_u32 s3, s1, 0
	s_and_b32 s8, s7, 28
	s_mov_b32 s9, 0
	s_mov_b64 s[4:5], s[0:1]
.LBB13_12:                              ; =>This Inner Loop Header: Depth=1
	s_clause 0x1
	s_load_b256 s[20:27], s[4:5], 0x4
	s_load_b128 s[12:15], s[4:5], 0x24
	s_load_b128 s[28:31], s[2:3], 0x0
	s_add_u32 s4, s4, 48
	s_addc_u32 s5, s5, 0
	s_add_i32 s9, s9, 4
	s_add_u32 s2, s2, 16
	s_addc_u32 s3, s3, 0
	s_cmp_lg_u32 s8, s9
	s_waitcnt lgkmcnt(0)
	v_mul_hi_u32 v2, s21, v1
	s_delay_alu instid0(VALU_DEP_1) | instskip(NEXT) | instid1(VALU_DEP_1)
	v_add_nc_u32_e32 v2, v1, v2
	v_lshrrev_b32_e32 v2, s22, v2
	s_delay_alu instid0(VALU_DEP_1) | instskip(SKIP_1) | instid1(VALU_DEP_2)
	v_mul_hi_u32 v3, s24, v2
	v_mul_lo_u32 v9, v2, s20
	v_add_nc_u32_e32 v3, v2, v3
	s_delay_alu instid0(VALU_DEP_2) | instskip(NEXT) | instid1(VALU_DEP_2)
	v_sub_nc_u32_e32 v9, v1, v9
	v_lshrrev_b32_e32 v3, s25, v3
	s_delay_alu instid0(VALU_DEP_2) | instskip(NEXT) | instid1(VALU_DEP_2)
	v_mul_lo_u32 v9, v9, s28
	v_mul_hi_u32 v4, s27, v3
	v_mul_lo_u32 v10, v3, s23
	s_delay_alu instid0(VALU_DEP_2) | instskip(NEXT) | instid1(VALU_DEP_2)
	v_add_nc_u32_e32 v4, v3, v4
	v_sub_nc_u32_e32 v2, v2, v10
	s_delay_alu instid0(VALU_DEP_2) | instskip(NEXT) | instid1(VALU_DEP_2)
	v_lshrrev_b32_e32 v4, s12, v4
	v_mul_lo_u32 v2, v2, s29
	s_delay_alu instid0(VALU_DEP_2) | instskip(NEXT) | instid1(VALU_DEP_2)
	v_mul_hi_u32 v5, s14, v4
	v_add3_u32 v0, v9, v0, v2
	s_delay_alu instid0(VALU_DEP_2) | instskip(NEXT) | instid1(VALU_DEP_1)
	v_add_nc_u32_e32 v5, v4, v5
	v_lshrrev_b32_e32 v1, s15, v5
	v_mul_lo_u32 v5, v4, s26
	s_delay_alu instid0(VALU_DEP_2) | instskip(NEXT) | instid1(VALU_DEP_2)
	v_mul_lo_u32 v11, v1, s13
	v_sub_nc_u32_e32 v3, v3, v5
	s_delay_alu instid0(VALU_DEP_2) | instskip(NEXT) | instid1(VALU_DEP_2)
	v_sub_nc_u32_e32 v4, v4, v11
	v_mul_lo_u32 v3, v3, s30
	s_delay_alu instid0(VALU_DEP_2) | instskip(NEXT) | instid1(VALU_DEP_1)
	v_mul_lo_u32 v4, v4, s31
	v_add3_u32 v0, v3, v0, v4
	s_cbranch_scc1 .LBB13_12
; %bb.13:
	s_and_b32 s7, s7, 3
	s_delay_alu instid0(SALU_CYCLE_1)
	s_cmp_eq_u32 s7, 0
	s_cbranch_scc0 .LBB13_24
	s_branch .LBB13_26
.LBB13_14:
	s_or_b32 exec_lo, exec_lo, s27
	s_delay_alu instid0(SALU_CYCLE_1)
	s_mov_b32 s27, exec_lo
	v_cmpx_gt_i32_e64 s24, v6
	s_cbranch_execz .LBB13_129
.LBB13_15:
	s_and_not1_b32 vcc_lo, exec_lo, s20
	s_cbranch_vccnz .LBB13_22
; %bb.16:
	v_mov_b32_e32 v0, 0
	s_and_not1_b32 vcc_lo, exec_lo, s26
	s_cbranch_vccnz .LBB13_140
; %bb.17:
	s_add_i32 s29, s25, 1
	s_cmp_eq_u32 s19, 2
	s_mov_b32 s28, 0
	s_cbranch_scc1 .LBB13_136
; %bb.18:
	v_dual_mov_b32 v0, 0 :: v_dual_mov_b32 v1, v6
	s_and_b32 s28, s29, 28
	s_mov_b32 s30, 0
	s_mov_b64 s[14:15], s[0:1]
	s_mov_b64 s[16:17], s[12:13]
.LBB13_19:                              ; =>This Inner Loop Header: Depth=1
	s_clause 0x1
	s_load_b256 s[36:43], s[14:15], 0x4
	s_load_b128 s[44:47], s[14:15], 0x24
	s_load_b128 s[48:51], s[16:17], 0x0
	s_add_u32 s14, s14, 48
	s_addc_u32 s15, s15, 0
	s_add_i32 s30, s30, 4
	s_add_u32 s16, s16, 16
	s_addc_u32 s17, s17, 0
	s_cmp_eq_u32 s28, s30
	s_waitcnt lgkmcnt(0)
	v_mul_hi_u32 v2, s37, v1
	s_delay_alu instid0(VALU_DEP_1) | instskip(NEXT) | instid1(VALU_DEP_1)
	v_add_nc_u32_e32 v2, v1, v2
	v_lshrrev_b32_e32 v2, s38, v2
	s_delay_alu instid0(VALU_DEP_1) | instskip(SKIP_1) | instid1(VALU_DEP_2)
	v_mul_hi_u32 v3, s40, v2
	v_mul_lo_u32 v7, v2, s36
	v_add_nc_u32_e32 v3, v2, v3
	s_delay_alu instid0(VALU_DEP_2) | instskip(NEXT) | instid1(VALU_DEP_2)
	v_sub_nc_u32_e32 v7, v1, v7
	v_lshrrev_b32_e32 v3, s41, v3
	s_delay_alu instid0(VALU_DEP_2) | instskip(NEXT) | instid1(VALU_DEP_2)
	v_mul_lo_u32 v7, v7, s48
	v_mul_hi_u32 v4, s43, v3
	v_mul_lo_u32 v8, v3, s39
	s_delay_alu instid0(VALU_DEP_2) | instskip(NEXT) | instid1(VALU_DEP_2)
	v_add_nc_u32_e32 v4, v3, v4
	v_sub_nc_u32_e32 v2, v2, v8
	s_delay_alu instid0(VALU_DEP_2) | instskip(NEXT) | instid1(VALU_DEP_2)
	v_lshrrev_b32_e32 v4, s44, v4
	v_mul_lo_u32 v2, v2, s49
	s_delay_alu instid0(VALU_DEP_2) | instskip(NEXT) | instid1(VALU_DEP_2)
	v_mul_hi_u32 v5, s46, v4
	v_add3_u32 v0, v7, v0, v2
	s_delay_alu instid0(VALU_DEP_2) | instskip(NEXT) | instid1(VALU_DEP_1)
	v_add_nc_u32_e32 v5, v4, v5
	v_lshrrev_b32_e32 v1, s47, v5
	v_mul_lo_u32 v5, v4, s42
	s_delay_alu instid0(VALU_DEP_2) | instskip(NEXT) | instid1(VALU_DEP_2)
	v_mul_lo_u32 v9, v1, s45
	v_sub_nc_u32_e32 v3, v3, v5
	s_delay_alu instid0(VALU_DEP_2) | instskip(NEXT) | instid1(VALU_DEP_2)
	v_sub_nc_u32_e32 v4, v4, v9
	v_mul_lo_u32 v3, v3, s50
	s_delay_alu instid0(VALU_DEP_2) | instskip(NEXT) | instid1(VALU_DEP_1)
	v_mul_lo_u32 v4, v4, s51
	v_add3_u32 v0, v3, v0, v4
	s_cbranch_scc0 .LBB13_19
	s_branch .LBB13_137
.LBB13_20:
	s_mov_b32 s6, -1
                                        ; implicit-def: $vgpr0
	s_branch .LBB13_26
.LBB13_21:
                                        ; implicit-def: $vgpr0
	s_branch .LBB13_126
.LBB13_22:
                                        ; implicit-def: $vgpr0
	s_branch .LBB13_141
.LBB13_23:
	v_mov_b32_e32 v1, v6
	s_and_b32 s7, s7, 3
	s_delay_alu instid0(SALU_CYCLE_1)
	s_cmp_eq_u32 s7, 0
	s_cbranch_scc1 .LBB13_26
.LBB13_24:
	s_lshl_b32 s2, s8, 2
	s_mul_i32 s4, s8, 12
	s_add_u32 s2, s2, s0
	s_addc_u32 s3, 0, s1
	s_add_u32 s2, s2, 0xc4
	s_addc_u32 s3, s3, 0
	;; [unrolled: 2-line block ×3, first 2 shown]
	.p2align	6
.LBB13_25:                              ; =>This Inner Loop Header: Depth=1
	s_clause 0x1
	s_load_b64 s[8:9], s[4:5], 0x4
	s_load_b32 s10, s[4:5], 0xc
	s_add_u32 s4, s4, 12
	s_addc_u32 s5, s5, 0
	s_waitcnt lgkmcnt(0)
	v_mul_hi_u32 v2, s9, v1
	s_load_b32 s9, s[2:3], 0x0
	s_add_u32 s2, s2, 4
	s_addc_u32 s3, s3, 0
	s_add_i32 s7, s7, -1
	s_delay_alu instid0(SALU_CYCLE_1) | instskip(NEXT) | instid1(VALU_DEP_1)
	s_cmp_lg_u32 s7, 0
	v_add_nc_u32_e32 v2, v1, v2
	s_delay_alu instid0(VALU_DEP_1) | instskip(NEXT) | instid1(VALU_DEP_1)
	v_lshrrev_b32_e32 v4, s10, v2
	v_mul_lo_u32 v2, v4, s8
	s_delay_alu instid0(VALU_DEP_1) | instskip(SKIP_1) | instid1(VALU_DEP_1)
	v_sub_nc_u32_e32 v1, v1, v2
	s_waitcnt lgkmcnt(0)
	v_mad_u64_u32 v[2:3], null, v1, s9, v[0:1]
	s_delay_alu instid0(VALU_DEP_1)
	v_dual_mov_b32 v1, v4 :: v_dual_mov_b32 v0, v2
	s_cbranch_scc1 .LBB13_25
.LBB13_26:
	s_and_not1_b32 vcc_lo, exec_lo, s6
	s_cbranch_vccnz .LBB13_29
; %bb.27:
	s_clause 0x1
	s_load_b128 s[4:7], s[0:1], 0x4
	s_load_b32 s2, s[0:1], 0xc4
	s_cmp_lt_u32 s18, 2
	s_waitcnt lgkmcnt(0)
	v_mul_hi_u32 v0, s5, v6
	s_delay_alu instid0(VALU_DEP_1) | instskip(NEXT) | instid1(VALU_DEP_1)
	v_add_nc_u32_e32 v0, v6, v0
	v_lshrrev_b32_e32 v1, s6, v0
	s_delay_alu instid0(VALU_DEP_1) | instskip(NEXT) | instid1(VALU_DEP_1)
	v_mul_lo_u32 v0, v1, s4
	v_sub_nc_u32_e32 v0, v6, v0
	s_delay_alu instid0(VALU_DEP_1)
	v_mul_lo_u32 v0, v0, s2
	s_cbranch_scc1 .LBB13_29
; %bb.28:
	s_clause 0x1
	s_load_b128 s[4:7], s[0:1], 0x10
	s_load_b32 s2, s[0:1], 0xc8
	s_waitcnt lgkmcnt(0)
	v_mul_hi_u32 v2, s5, v1
	s_delay_alu instid0(VALU_DEP_1) | instskip(NEXT) | instid1(VALU_DEP_1)
	v_add_nc_u32_e32 v2, v1, v2
	v_lshrrev_b32_e32 v2, s6, v2
	s_delay_alu instid0(VALU_DEP_1) | instskip(NEXT) | instid1(VALU_DEP_1)
	v_mul_lo_u32 v2, v2, s4
	v_sub_nc_u32_e32 v3, v1, v2
	s_delay_alu instid0(VALU_DEP_1) | instskip(NEXT) | instid1(VALU_DEP_1)
	v_mad_u64_u32 v[1:2], null, v3, s2, v[0:1]
	v_mov_b32_e32 v0, v1
.LBB13_29:
	v_cmp_ne_u32_e32 vcc_lo, 1, v7
	v_add_nc_u32_e32 v2, 0x80, v6
	s_cbranch_vccnz .LBB13_35
; %bb.30:
	v_mov_b32_e32 v1, 0
	s_cmp_eq_u32 s18, 0
	s_mov_b32 s6, 0
	s_cbranch_scc1 .LBB13_39
; %bb.31:
	s_min_u32 s7, s19, 15
	v_mov_b32_e32 v1, 0
	s_add_i32 s7, s7, 1
	s_cmp_eq_u32 s19, 2
	s_mov_b32 s8, 0
	s_cbranch_scc1 .LBB13_36
; %bb.32:
	v_mov_b32_e32 v1, 0
	v_mov_b32_e32 v3, v2
	s_add_u32 s2, s0, 0xc4
	s_addc_u32 s3, s1, 0
	s_and_b32 s8, s7, 28
	s_mov_b32 s9, 0
	s_mov_b64 s[4:5], s[0:1]
.LBB13_33:                              ; =>This Inner Loop Header: Depth=1
	s_clause 0x1
	s_load_b256 s[20:27], s[4:5], 0x4
	s_load_b128 s[12:15], s[4:5], 0x24
	s_load_b128 s[28:31], s[2:3], 0x0
	s_add_u32 s4, s4, 48
	s_addc_u32 s5, s5, 0
	s_add_i32 s9, s9, 4
	s_add_u32 s2, s2, 16
	s_addc_u32 s3, s3, 0
	s_cmp_lg_u32 s8, s9
	s_waitcnt lgkmcnt(0)
	v_mul_hi_u32 v4, s21, v3
	s_delay_alu instid0(VALU_DEP_1) | instskip(NEXT) | instid1(VALU_DEP_1)
	v_add_nc_u32_e32 v4, v3, v4
	v_lshrrev_b32_e32 v4, s22, v4
	s_delay_alu instid0(VALU_DEP_1) | instskip(SKIP_1) | instid1(VALU_DEP_2)
	v_mul_hi_u32 v5, s24, v4
	v_mul_lo_u32 v11, v4, s20
	v_add_nc_u32_e32 v5, v4, v5
	s_delay_alu instid0(VALU_DEP_2) | instskip(NEXT) | instid1(VALU_DEP_2)
	v_sub_nc_u32_e32 v11, v3, v11
	v_lshrrev_b32_e32 v5, s25, v5
	s_delay_alu instid0(VALU_DEP_2) | instskip(NEXT) | instid1(VALU_DEP_2)
	v_mul_lo_u32 v11, v11, s28
	v_mul_hi_u32 v9, s27, v5
	v_mul_lo_u32 v12, v5, s23
	s_delay_alu instid0(VALU_DEP_2) | instskip(NEXT) | instid1(VALU_DEP_2)
	v_add_nc_u32_e32 v9, v5, v9
	v_sub_nc_u32_e32 v4, v4, v12
	s_delay_alu instid0(VALU_DEP_2) | instskip(NEXT) | instid1(VALU_DEP_2)
	v_lshrrev_b32_e32 v9, s12, v9
	v_mul_lo_u32 v4, v4, s29
	s_delay_alu instid0(VALU_DEP_2) | instskip(NEXT) | instid1(VALU_DEP_2)
	v_mul_hi_u32 v10, s14, v9
	v_add3_u32 v1, v11, v1, v4
	s_delay_alu instid0(VALU_DEP_2) | instskip(NEXT) | instid1(VALU_DEP_1)
	v_add_nc_u32_e32 v10, v9, v10
	v_lshrrev_b32_e32 v3, s15, v10
	v_mul_lo_u32 v10, v9, s26
	s_delay_alu instid0(VALU_DEP_2) | instskip(NEXT) | instid1(VALU_DEP_2)
	v_mul_lo_u32 v13, v3, s13
	v_sub_nc_u32_e32 v5, v5, v10
	s_delay_alu instid0(VALU_DEP_2) | instskip(NEXT) | instid1(VALU_DEP_2)
	v_sub_nc_u32_e32 v9, v9, v13
	v_mul_lo_u32 v5, v5, s30
	s_delay_alu instid0(VALU_DEP_2) | instskip(NEXT) | instid1(VALU_DEP_1)
	v_mul_lo_u32 v9, v9, s31
	v_add3_u32 v1, v5, v1, v9
	s_cbranch_scc1 .LBB13_33
; %bb.34:
	s_and_b32 s7, s7, 3
	s_delay_alu instid0(SALU_CYCLE_1)
	s_cmp_eq_u32 s7, 0
	s_cbranch_scc0 .LBB13_37
	s_branch .LBB13_39
.LBB13_35:
	s_mov_b32 s6, -1
                                        ; implicit-def: $vgpr1
	s_branch .LBB13_39
.LBB13_36:
	v_mov_b32_e32 v3, v2
	s_and_b32 s7, s7, 3
	s_delay_alu instid0(SALU_CYCLE_1)
	s_cmp_eq_u32 s7, 0
	s_cbranch_scc1 .LBB13_39
.LBB13_37:
	s_lshl_b32 s2, s8, 2
	s_mul_i32 s4, s8, 12
	s_add_u32 s2, s2, s0
	s_addc_u32 s3, 0, s1
	s_add_u32 s2, s2, 0xc4
	s_addc_u32 s3, s3, 0
	;; [unrolled: 2-line block ×3, first 2 shown]
	.p2align	6
.LBB13_38:                              ; =>This Inner Loop Header: Depth=1
	s_clause 0x1
	s_load_b64 s[8:9], s[4:5], 0x4
	s_load_b32 s10, s[4:5], 0xc
	s_add_u32 s4, s4, 12
	s_addc_u32 s5, s5, 0
	s_waitcnt lgkmcnt(0)
	v_mul_hi_u32 v4, s9, v3
	s_load_b32 s9, s[2:3], 0x0
	s_add_u32 s2, s2, 4
	s_addc_u32 s3, s3, 0
	s_add_i32 s7, s7, -1
	s_delay_alu instid0(SALU_CYCLE_1) | instskip(NEXT) | instid1(VALU_DEP_1)
	s_cmp_lg_u32 s7, 0
	v_add_nc_u32_e32 v4, v3, v4
	s_delay_alu instid0(VALU_DEP_1) | instskip(NEXT) | instid1(VALU_DEP_1)
	v_lshrrev_b32_e32 v9, s10, v4
	v_mul_lo_u32 v4, v9, s8
	s_delay_alu instid0(VALU_DEP_1) | instskip(SKIP_1) | instid1(VALU_DEP_1)
	v_sub_nc_u32_e32 v3, v3, v4
	s_waitcnt lgkmcnt(0)
	v_mad_u64_u32 v[4:5], null, v3, s9, v[1:2]
	v_mov_b32_e32 v3, v9
	s_delay_alu instid0(VALU_DEP_2)
	v_mov_b32_e32 v1, v4
	s_cbranch_scc1 .LBB13_38
.LBB13_39:
	s_and_not1_b32 vcc_lo, exec_lo, s6
	s_cbranch_vccnz .LBB13_42
; %bb.40:
	s_clause 0x1
	s_load_b128 s[4:7], s[0:1], 0x4
	s_load_b32 s2, s[0:1], 0xc4
	s_cmp_lt_u32 s18, 2
	s_waitcnt lgkmcnt(0)
	v_mul_hi_u32 v1, s5, v2
	s_delay_alu instid0(VALU_DEP_1) | instskip(NEXT) | instid1(VALU_DEP_1)
	v_add_nc_u32_e32 v1, v2, v1
	v_lshrrev_b32_e32 v3, s6, v1
	s_delay_alu instid0(VALU_DEP_1) | instskip(NEXT) | instid1(VALU_DEP_1)
	v_mul_lo_u32 v1, v3, s4
	v_sub_nc_u32_e32 v1, v2, v1
	s_delay_alu instid0(VALU_DEP_1)
	v_mul_lo_u32 v1, v1, s2
	s_cbranch_scc1 .LBB13_42
; %bb.41:
	s_clause 0x1
	s_load_b128 s[4:7], s[0:1], 0x10
	s_load_b32 s2, s[0:1], 0xc8
	s_waitcnt lgkmcnt(0)
	v_mul_hi_u32 v2, s5, v3
	s_delay_alu instid0(VALU_DEP_1) | instskip(NEXT) | instid1(VALU_DEP_1)
	v_add_nc_u32_e32 v2, v3, v2
	v_lshrrev_b32_e32 v2, s6, v2
	s_delay_alu instid0(VALU_DEP_1) | instskip(NEXT) | instid1(VALU_DEP_1)
	v_mul_lo_u32 v2, v2, s4
	v_sub_nc_u32_e32 v4, v3, v2
	s_delay_alu instid0(VALU_DEP_1) | instskip(NEXT) | instid1(VALU_DEP_1)
	v_mad_u64_u32 v[2:3], null, v4, s2, v[1:2]
	v_mov_b32_e32 v1, v2
.LBB13_42:
	v_cmp_ne_u32_e32 vcc_lo, 1, v7
	v_add_nc_u32_e32 v3, 0x100, v6
	s_cbranch_vccnz .LBB13_48
; %bb.43:
	v_mov_b32_e32 v2, 0
	s_cmp_eq_u32 s18, 0
	s_mov_b32 s6, 0
	s_cbranch_scc1 .LBB13_52
; %bb.44:
	s_min_u32 s7, s19, 15
	v_mov_b32_e32 v2, 0
	s_add_i32 s7, s7, 1
	s_cmp_eq_u32 s19, 2
	s_mov_b32 s8, 0
	s_cbranch_scc1 .LBB13_49
; %bb.45:
	v_mov_b32_e32 v2, 0
	v_mov_b32_e32 v4, v3
	s_add_u32 s2, s0, 0xc4
	s_addc_u32 s3, s1, 0
	s_and_b32 s8, s7, 28
	s_mov_b32 s9, 0
	s_mov_b64 s[4:5], s[0:1]
.LBB13_46:                              ; =>This Inner Loop Header: Depth=1
	s_clause 0x1
	s_load_b256 s[20:27], s[4:5], 0x4
	s_load_b128 s[12:15], s[4:5], 0x24
	s_load_b128 s[28:31], s[2:3], 0x0
	s_add_u32 s4, s4, 48
	s_addc_u32 s5, s5, 0
	s_add_i32 s9, s9, 4
	s_add_u32 s2, s2, 16
	s_addc_u32 s3, s3, 0
	s_cmp_lg_u32 s8, s9
	s_waitcnt lgkmcnt(0)
	v_mul_hi_u32 v5, s21, v4
	s_delay_alu instid0(VALU_DEP_1) | instskip(NEXT) | instid1(VALU_DEP_1)
	v_add_nc_u32_e32 v5, v4, v5
	v_lshrrev_b32_e32 v5, s22, v5
	s_delay_alu instid0(VALU_DEP_1) | instskip(SKIP_1) | instid1(VALU_DEP_2)
	v_mul_hi_u32 v9, s24, v5
	v_mul_lo_u32 v12, v5, s20
	v_add_nc_u32_e32 v9, v5, v9
	s_delay_alu instid0(VALU_DEP_2) | instskip(NEXT) | instid1(VALU_DEP_2)
	v_sub_nc_u32_e32 v12, v4, v12
	v_lshrrev_b32_e32 v9, s25, v9
	s_delay_alu instid0(VALU_DEP_2) | instskip(NEXT) | instid1(VALU_DEP_2)
	v_mul_lo_u32 v12, v12, s28
	v_mul_hi_u32 v10, s27, v9
	v_mul_lo_u32 v13, v9, s23
	s_delay_alu instid0(VALU_DEP_2) | instskip(NEXT) | instid1(VALU_DEP_2)
	v_add_nc_u32_e32 v10, v9, v10
	v_sub_nc_u32_e32 v5, v5, v13
	s_delay_alu instid0(VALU_DEP_2) | instskip(NEXT) | instid1(VALU_DEP_2)
	v_lshrrev_b32_e32 v10, s12, v10
	v_mul_lo_u32 v5, v5, s29
	s_delay_alu instid0(VALU_DEP_2) | instskip(NEXT) | instid1(VALU_DEP_2)
	v_mul_hi_u32 v11, s14, v10
	v_add3_u32 v2, v12, v2, v5
	s_delay_alu instid0(VALU_DEP_2) | instskip(NEXT) | instid1(VALU_DEP_1)
	v_add_nc_u32_e32 v11, v10, v11
	v_lshrrev_b32_e32 v4, s15, v11
	v_mul_lo_u32 v11, v10, s26
	s_delay_alu instid0(VALU_DEP_2) | instskip(NEXT) | instid1(VALU_DEP_2)
	v_mul_lo_u32 v14, v4, s13
	v_sub_nc_u32_e32 v9, v9, v11
	s_delay_alu instid0(VALU_DEP_2) | instskip(NEXT) | instid1(VALU_DEP_2)
	v_sub_nc_u32_e32 v10, v10, v14
	v_mul_lo_u32 v9, v9, s30
	s_delay_alu instid0(VALU_DEP_2) | instskip(NEXT) | instid1(VALU_DEP_1)
	v_mul_lo_u32 v10, v10, s31
	v_add3_u32 v2, v9, v2, v10
	s_cbranch_scc1 .LBB13_46
; %bb.47:
	s_and_b32 s7, s7, 3
	s_delay_alu instid0(SALU_CYCLE_1)
	s_cmp_eq_u32 s7, 0
	s_cbranch_scc0 .LBB13_50
	s_branch .LBB13_52
.LBB13_48:
	s_mov_b32 s6, -1
                                        ; implicit-def: $vgpr2
	s_branch .LBB13_52
.LBB13_49:
	v_mov_b32_e32 v4, v3
	s_and_b32 s7, s7, 3
	s_delay_alu instid0(SALU_CYCLE_1)
	s_cmp_eq_u32 s7, 0
	s_cbranch_scc1 .LBB13_52
.LBB13_50:
	s_lshl_b32 s2, s8, 2
	s_mul_i32 s4, s8, 12
	s_add_u32 s2, s2, s0
	s_addc_u32 s3, 0, s1
	s_add_u32 s2, s2, 0xc4
	s_addc_u32 s3, s3, 0
	;; [unrolled: 2-line block ×3, first 2 shown]
	.p2align	6
.LBB13_51:                              ; =>This Inner Loop Header: Depth=1
	s_clause 0x1
	s_load_b64 s[8:9], s[4:5], 0x4
	s_load_b32 s10, s[4:5], 0xc
	s_add_u32 s4, s4, 12
	s_addc_u32 s5, s5, 0
	s_waitcnt lgkmcnt(0)
	v_mul_hi_u32 v5, s9, v4
	s_load_b32 s9, s[2:3], 0x0
	s_add_u32 s2, s2, 4
	s_addc_u32 s3, s3, 0
	s_add_i32 s7, s7, -1
	s_delay_alu instid0(SALU_CYCLE_1) | instskip(NEXT) | instid1(VALU_DEP_1)
	s_cmp_lg_u32 s7, 0
	v_add_nc_u32_e32 v5, v4, v5
	s_delay_alu instid0(VALU_DEP_1) | instskip(NEXT) | instid1(VALU_DEP_1)
	v_lshrrev_b32_e32 v5, s10, v5
	v_mul_lo_u32 v9, v5, s8
	s_delay_alu instid0(VALU_DEP_1) | instskip(SKIP_1) | instid1(VALU_DEP_1)
	v_sub_nc_u32_e32 v4, v4, v9
	s_waitcnt lgkmcnt(0)
	v_mad_u64_u32 v[9:10], null, v4, s9, v[2:3]
	v_mov_b32_e32 v4, v5
	s_delay_alu instid0(VALU_DEP_2)
	v_mov_b32_e32 v2, v9
	s_cbranch_scc1 .LBB13_51
.LBB13_52:
	s_and_not1_b32 vcc_lo, exec_lo, s6
	s_cbranch_vccnz .LBB13_55
; %bb.53:
	s_clause 0x1
	s_load_b128 s[4:7], s[0:1], 0x4
	s_load_b32 s2, s[0:1], 0xc4
	s_cmp_lt_u32 s18, 2
	s_waitcnt lgkmcnt(0)
	v_mul_hi_u32 v2, s5, v3
	s_delay_alu instid0(VALU_DEP_1) | instskip(NEXT) | instid1(VALU_DEP_1)
	v_add_nc_u32_e32 v2, v3, v2
	v_lshrrev_b32_e32 v4, s6, v2
	s_delay_alu instid0(VALU_DEP_1) | instskip(NEXT) | instid1(VALU_DEP_1)
	v_mul_lo_u32 v2, v4, s4
	v_sub_nc_u32_e32 v2, v3, v2
	s_delay_alu instid0(VALU_DEP_1)
	v_mul_lo_u32 v2, v2, s2
	s_cbranch_scc1 .LBB13_55
; %bb.54:
	s_clause 0x1
	s_load_b128 s[4:7], s[0:1], 0x10
	s_load_b32 s2, s[0:1], 0xc8
	s_waitcnt lgkmcnt(0)
	v_mul_hi_u32 v3, s5, v4
	s_delay_alu instid0(VALU_DEP_1) | instskip(NEXT) | instid1(VALU_DEP_1)
	v_add_nc_u32_e32 v3, v4, v3
	v_lshrrev_b32_e32 v3, s6, v3
	s_delay_alu instid0(VALU_DEP_1) | instskip(NEXT) | instid1(VALU_DEP_1)
	v_mul_lo_u32 v3, v3, s4
	v_sub_nc_u32_e32 v5, v4, v3
	s_delay_alu instid0(VALU_DEP_1) | instskip(NEXT) | instid1(VALU_DEP_1)
	v_mad_u64_u32 v[3:4], null, v5, s2, v[2:3]
	v_mov_b32_e32 v2, v3
.LBB13_55:
	v_cmp_ne_u32_e32 vcc_lo, 1, v7
	v_add_nc_u32_e32 v4, 0x180, v6
	s_cbranch_vccnz .LBB13_61
; %bb.56:
	v_mov_b32_e32 v3, 0
	s_cmp_eq_u32 s18, 0
	s_mov_b32 s6, 0
	s_cbranch_scc1 .LBB13_65
; %bb.57:
	s_min_u32 s7, s19, 15
	v_mov_b32_e32 v3, 0
	s_add_i32 s7, s7, 1
	s_cmp_eq_u32 s19, 2
	s_mov_b32 s8, 0
	s_cbranch_scc1 .LBB13_62
; %bb.58:
	v_mov_b32_e32 v3, 0
	v_mov_b32_e32 v5, v4
	s_add_u32 s2, s0, 0xc4
	s_addc_u32 s3, s1, 0
	s_and_b32 s8, s7, 28
	s_mov_b32 s9, 0
	s_mov_b64 s[4:5], s[0:1]
.LBB13_59:                              ; =>This Inner Loop Header: Depth=1
	s_clause 0x1
	s_load_b256 s[20:27], s[4:5], 0x4
	s_load_b128 s[12:15], s[4:5], 0x24
	s_load_b128 s[28:31], s[2:3], 0x0
	s_add_u32 s4, s4, 48
	s_addc_u32 s5, s5, 0
	s_add_i32 s9, s9, 4
	s_add_u32 s2, s2, 16
	s_addc_u32 s3, s3, 0
	s_cmp_lg_u32 s8, s9
	s_waitcnt lgkmcnt(0)
	v_mul_hi_u32 v9, s21, v5
	s_delay_alu instid0(VALU_DEP_1) | instskip(NEXT) | instid1(VALU_DEP_1)
	v_add_nc_u32_e32 v9, v5, v9
	v_lshrrev_b32_e32 v9, s22, v9
	s_delay_alu instid0(VALU_DEP_1) | instskip(SKIP_1) | instid1(VALU_DEP_2)
	v_mul_hi_u32 v10, s24, v9
	v_mul_lo_u32 v13, v9, s20
	v_add_nc_u32_e32 v10, v9, v10
	s_delay_alu instid0(VALU_DEP_2) | instskip(NEXT) | instid1(VALU_DEP_2)
	v_sub_nc_u32_e32 v13, v5, v13
	v_lshrrev_b32_e32 v10, s25, v10
	s_delay_alu instid0(VALU_DEP_2) | instskip(NEXT) | instid1(VALU_DEP_2)
	v_mul_lo_u32 v13, v13, s28
	v_mul_hi_u32 v11, s27, v10
	v_mul_lo_u32 v14, v10, s23
	s_delay_alu instid0(VALU_DEP_2) | instskip(NEXT) | instid1(VALU_DEP_2)
	v_add_nc_u32_e32 v11, v10, v11
	v_sub_nc_u32_e32 v9, v9, v14
	s_delay_alu instid0(VALU_DEP_2) | instskip(NEXT) | instid1(VALU_DEP_2)
	v_lshrrev_b32_e32 v11, s12, v11
	v_mul_lo_u32 v9, v9, s29
	s_delay_alu instid0(VALU_DEP_2) | instskip(NEXT) | instid1(VALU_DEP_2)
	v_mul_hi_u32 v12, s14, v11
	v_add3_u32 v3, v13, v3, v9
	s_delay_alu instid0(VALU_DEP_2) | instskip(NEXT) | instid1(VALU_DEP_1)
	v_add_nc_u32_e32 v12, v11, v12
	v_lshrrev_b32_e32 v5, s15, v12
	v_mul_lo_u32 v12, v11, s26
	s_delay_alu instid0(VALU_DEP_2) | instskip(NEXT) | instid1(VALU_DEP_2)
	v_mul_lo_u32 v15, v5, s13
	v_sub_nc_u32_e32 v10, v10, v12
	s_delay_alu instid0(VALU_DEP_2) | instskip(NEXT) | instid1(VALU_DEP_2)
	v_sub_nc_u32_e32 v11, v11, v15
	v_mul_lo_u32 v10, v10, s30
	s_delay_alu instid0(VALU_DEP_2) | instskip(NEXT) | instid1(VALU_DEP_1)
	v_mul_lo_u32 v11, v11, s31
	v_add3_u32 v3, v10, v3, v11
	s_cbranch_scc1 .LBB13_59
; %bb.60:
	s_and_b32 s7, s7, 3
	s_delay_alu instid0(SALU_CYCLE_1)
	s_cmp_eq_u32 s7, 0
	s_cbranch_scc0 .LBB13_63
	s_branch .LBB13_65
.LBB13_61:
	s_mov_b32 s6, -1
                                        ; implicit-def: $vgpr3
	s_branch .LBB13_65
.LBB13_62:
	v_mov_b32_e32 v5, v4
	s_and_b32 s7, s7, 3
	s_delay_alu instid0(SALU_CYCLE_1)
	s_cmp_eq_u32 s7, 0
	s_cbranch_scc1 .LBB13_65
.LBB13_63:
	s_lshl_b32 s2, s8, 2
	s_mul_i32 s4, s8, 12
	s_add_u32 s2, s2, s0
	s_addc_u32 s3, 0, s1
	s_add_u32 s2, s2, 0xc4
	s_addc_u32 s3, s3, 0
	;; [unrolled: 2-line block ×3, first 2 shown]
	.p2align	6
.LBB13_64:                              ; =>This Inner Loop Header: Depth=1
	s_clause 0x1
	s_load_b64 s[8:9], s[4:5], 0x4
	s_load_b32 s10, s[4:5], 0xc
	s_add_u32 s4, s4, 12
	s_addc_u32 s5, s5, 0
	s_waitcnt lgkmcnt(0)
	v_mul_hi_u32 v9, s9, v5
	s_load_b32 s9, s[2:3], 0x0
	s_add_u32 s2, s2, 4
	s_addc_u32 s3, s3, 0
	s_add_i32 s7, s7, -1
	s_delay_alu instid0(SALU_CYCLE_1) | instskip(NEXT) | instid1(VALU_DEP_1)
	s_cmp_lg_u32 s7, 0
	v_add_nc_u32_e32 v9, v5, v9
	s_delay_alu instid0(VALU_DEP_1) | instskip(NEXT) | instid1(VALU_DEP_1)
	v_lshrrev_b32_e32 v11, s10, v9
	v_mul_lo_u32 v9, v11, s8
	s_delay_alu instid0(VALU_DEP_1) | instskip(SKIP_1) | instid1(VALU_DEP_1)
	v_sub_nc_u32_e32 v5, v5, v9
	s_waitcnt lgkmcnt(0)
	v_mad_u64_u32 v[9:10], null, v5, s9, v[3:4]
	v_mov_b32_e32 v5, v11
	s_delay_alu instid0(VALU_DEP_2)
	v_mov_b32_e32 v3, v9
	s_cbranch_scc1 .LBB13_64
.LBB13_65:
	s_and_not1_b32 vcc_lo, exec_lo, s6
	s_cbranch_vccnz .LBB13_68
; %bb.66:
	s_clause 0x1
	s_load_b128 s[4:7], s[0:1], 0x4
	s_load_b32 s2, s[0:1], 0xc4
	s_cmp_lt_u32 s18, 2
	s_waitcnt lgkmcnt(0)
	v_mul_hi_u32 v3, s5, v4
	s_delay_alu instid0(VALU_DEP_1) | instskip(NEXT) | instid1(VALU_DEP_1)
	v_add_nc_u32_e32 v3, v4, v3
	v_lshrrev_b32_e32 v5, s6, v3
	s_delay_alu instid0(VALU_DEP_1) | instskip(NEXT) | instid1(VALU_DEP_1)
	v_mul_lo_u32 v3, v5, s4
	v_sub_nc_u32_e32 v3, v4, v3
	s_delay_alu instid0(VALU_DEP_1)
	v_mul_lo_u32 v3, v3, s2
	s_cbranch_scc1 .LBB13_68
; %bb.67:
	s_clause 0x1
	s_load_b128 s[4:7], s[0:1], 0x10
	s_load_b32 s2, s[0:1], 0xc8
	s_waitcnt lgkmcnt(0)
	v_mul_hi_u32 v4, s5, v5
	s_delay_alu instid0(VALU_DEP_1) | instskip(NEXT) | instid1(VALU_DEP_1)
	v_add_nc_u32_e32 v4, v5, v4
	v_lshrrev_b32_e32 v4, s6, v4
	s_delay_alu instid0(VALU_DEP_1) | instskip(NEXT) | instid1(VALU_DEP_1)
	v_mul_lo_u32 v4, v4, s4
	v_sub_nc_u32_e32 v9, v5, v4
	s_delay_alu instid0(VALU_DEP_1) | instskip(NEXT) | instid1(VALU_DEP_1)
	v_mad_u64_u32 v[4:5], null, v9, s2, v[3:4]
	v_mov_b32_e32 v3, v4
.LBB13_68:
	v_cmp_ne_u32_e32 vcc_lo, 1, v7
	v_add_nc_u32_e32 v5, 0x200, v6
	s_cbranch_vccnz .LBB13_74
; %bb.69:
	v_mov_b32_e32 v4, 0
	s_cmp_eq_u32 s18, 0
	s_mov_b32 s6, 0
	s_cbranch_scc1 .LBB13_78
; %bb.70:
	s_min_u32 s7, s19, 15
	v_mov_b32_e32 v4, 0
	s_add_i32 s7, s7, 1
	s_cmp_eq_u32 s19, 2
	s_mov_b32 s8, 0
	s_cbranch_scc1 .LBB13_75
; %bb.71:
	v_dual_mov_b32 v4, 0 :: v_dual_mov_b32 v9, v5
	s_add_u32 s2, s0, 0xc4
	s_addc_u32 s3, s1, 0
	s_and_b32 s8, s7, 28
	s_mov_b32 s9, 0
	s_mov_b64 s[4:5], s[0:1]
.LBB13_72:                              ; =>This Inner Loop Header: Depth=1
	s_clause 0x1
	s_load_b256 s[20:27], s[4:5], 0x4
	s_load_b128 s[12:15], s[4:5], 0x24
	s_load_b128 s[28:31], s[2:3], 0x0
	s_add_u32 s4, s4, 48
	s_addc_u32 s5, s5, 0
	s_add_i32 s9, s9, 4
	s_add_u32 s2, s2, 16
	s_addc_u32 s3, s3, 0
	s_cmp_lg_u32 s8, s9
	s_waitcnt lgkmcnt(0)
	v_mul_hi_u32 v10, s21, v9
	s_delay_alu instid0(VALU_DEP_1) | instskip(NEXT) | instid1(VALU_DEP_1)
	v_add_nc_u32_e32 v10, v9, v10
	v_lshrrev_b32_e32 v10, s22, v10
	s_delay_alu instid0(VALU_DEP_1) | instskip(SKIP_1) | instid1(VALU_DEP_2)
	v_mul_hi_u32 v11, s24, v10
	v_mul_lo_u32 v14, v10, s20
	v_add_nc_u32_e32 v11, v10, v11
	s_delay_alu instid0(VALU_DEP_2) | instskip(NEXT) | instid1(VALU_DEP_2)
	v_sub_nc_u32_e32 v14, v9, v14
	v_lshrrev_b32_e32 v11, s25, v11
	s_delay_alu instid0(VALU_DEP_2) | instskip(NEXT) | instid1(VALU_DEP_2)
	v_mul_lo_u32 v14, v14, s28
	v_mul_hi_u32 v12, s27, v11
	v_mul_lo_u32 v15, v11, s23
	s_delay_alu instid0(VALU_DEP_2) | instskip(NEXT) | instid1(VALU_DEP_2)
	v_add_nc_u32_e32 v12, v11, v12
	v_sub_nc_u32_e32 v10, v10, v15
	s_delay_alu instid0(VALU_DEP_2) | instskip(NEXT) | instid1(VALU_DEP_2)
	v_lshrrev_b32_e32 v12, s12, v12
	v_mul_lo_u32 v10, v10, s29
	s_delay_alu instid0(VALU_DEP_2) | instskip(NEXT) | instid1(VALU_DEP_2)
	v_mul_hi_u32 v13, s14, v12
	v_add3_u32 v4, v14, v4, v10
	s_delay_alu instid0(VALU_DEP_2) | instskip(NEXT) | instid1(VALU_DEP_1)
	v_add_nc_u32_e32 v13, v12, v13
	v_lshrrev_b32_e32 v9, s15, v13
	v_mul_lo_u32 v13, v12, s26
	s_delay_alu instid0(VALU_DEP_2) | instskip(NEXT) | instid1(VALU_DEP_2)
	v_mul_lo_u32 v16, v9, s13
	v_sub_nc_u32_e32 v11, v11, v13
	s_delay_alu instid0(VALU_DEP_2) | instskip(NEXT) | instid1(VALU_DEP_2)
	v_sub_nc_u32_e32 v12, v12, v16
	v_mul_lo_u32 v11, v11, s30
	s_delay_alu instid0(VALU_DEP_2) | instskip(NEXT) | instid1(VALU_DEP_1)
	v_mul_lo_u32 v12, v12, s31
	v_add3_u32 v4, v11, v4, v12
	s_cbranch_scc1 .LBB13_72
; %bb.73:
	s_and_b32 s7, s7, 3
	s_delay_alu instid0(SALU_CYCLE_1)
	s_cmp_eq_u32 s7, 0
	s_cbranch_scc0 .LBB13_76
	s_branch .LBB13_78
.LBB13_74:
	s_mov_b32 s6, -1
                                        ; implicit-def: $vgpr4
	s_branch .LBB13_78
.LBB13_75:
	v_mov_b32_e32 v9, v5
	s_and_b32 s7, s7, 3
	s_delay_alu instid0(SALU_CYCLE_1)
	s_cmp_eq_u32 s7, 0
	s_cbranch_scc1 .LBB13_78
.LBB13_76:
	s_lshl_b32 s2, s8, 2
	s_mul_i32 s4, s8, 12
	s_add_u32 s2, s2, s0
	s_addc_u32 s3, 0, s1
	s_add_u32 s2, s2, 0xc4
	s_addc_u32 s3, s3, 0
	;; [unrolled: 2-line block ×3, first 2 shown]
	.p2align	6
.LBB13_77:                              ; =>This Inner Loop Header: Depth=1
	s_clause 0x1
	s_load_b64 s[8:9], s[4:5], 0x4
	s_load_b32 s10, s[4:5], 0xc
	s_add_u32 s4, s4, 12
	s_addc_u32 s5, s5, 0
	s_waitcnt lgkmcnt(0)
	v_mul_hi_u32 v10, s9, v9
	s_load_b32 s9, s[2:3], 0x0
	s_add_u32 s2, s2, 4
	s_addc_u32 s3, s3, 0
	s_add_i32 s7, s7, -1
	s_delay_alu instid0(SALU_CYCLE_1) | instskip(NEXT) | instid1(VALU_DEP_1)
	s_cmp_lg_u32 s7, 0
	v_add_nc_u32_e32 v10, v9, v10
	s_delay_alu instid0(VALU_DEP_1) | instskip(NEXT) | instid1(VALU_DEP_1)
	v_lshrrev_b32_e32 v12, s10, v10
	v_mul_lo_u32 v10, v12, s8
	s_delay_alu instid0(VALU_DEP_1) | instskip(SKIP_1) | instid1(VALU_DEP_1)
	v_sub_nc_u32_e32 v9, v9, v10
	s_waitcnt lgkmcnt(0)
	v_mad_u64_u32 v[10:11], null, v9, s9, v[4:5]
	s_delay_alu instid0(VALU_DEP_1)
	v_dual_mov_b32 v9, v12 :: v_dual_mov_b32 v4, v10
	s_cbranch_scc1 .LBB13_77
.LBB13_78:
	s_and_not1_b32 vcc_lo, exec_lo, s6
	s_cbranch_vccnz .LBB13_81
; %bb.79:
	s_clause 0x1
	s_load_b128 s[4:7], s[0:1], 0x4
	s_load_b32 s2, s[0:1], 0xc4
	s_cmp_lt_u32 s18, 2
	s_waitcnt lgkmcnt(0)
	v_mul_hi_u32 v4, s5, v5
	s_delay_alu instid0(VALU_DEP_1) | instskip(NEXT) | instid1(VALU_DEP_1)
	v_add_nc_u32_e32 v4, v5, v4
	v_lshrrev_b32_e32 v9, s6, v4
	s_delay_alu instid0(VALU_DEP_1) | instskip(NEXT) | instid1(VALU_DEP_1)
	v_mul_lo_u32 v4, v9, s4
	v_sub_nc_u32_e32 v4, v5, v4
	s_delay_alu instid0(VALU_DEP_1)
	v_mul_lo_u32 v4, v4, s2
	s_cbranch_scc1 .LBB13_81
; %bb.80:
	s_clause 0x1
	s_load_b128 s[4:7], s[0:1], 0x10
	s_load_b32 s2, s[0:1], 0xc8
	s_waitcnt lgkmcnt(0)
	v_mul_hi_u32 v5, s5, v9
	s_delay_alu instid0(VALU_DEP_1) | instskip(NEXT) | instid1(VALU_DEP_1)
	v_add_nc_u32_e32 v5, v9, v5
	v_lshrrev_b32_e32 v5, s6, v5
	s_delay_alu instid0(VALU_DEP_1) | instskip(NEXT) | instid1(VALU_DEP_1)
	v_mul_lo_u32 v5, v5, s4
	v_sub_nc_u32_e32 v5, v9, v5
	s_delay_alu instid0(VALU_DEP_1) | instskip(NEXT) | instid1(VALU_DEP_1)
	v_mad_u64_u32 v[9:10], null, v5, s2, v[4:5]
	v_mov_b32_e32 v4, v9
.LBB13_81:
	v_cmp_ne_u32_e32 vcc_lo, 1, v7
	v_add_nc_u32_e32 v9, 0x280, v6
	s_cbranch_vccnz .LBB13_87
; %bb.82:
	v_mov_b32_e32 v5, 0
	s_cmp_eq_u32 s18, 0
	s_mov_b32 s6, 0
	s_cbranch_scc1 .LBB13_91
; %bb.83:
	s_min_u32 s7, s19, 15
	v_mov_b32_e32 v5, 0
	s_add_i32 s7, s7, 1
	s_cmp_eq_u32 s19, 2
	s_mov_b32 s8, 0
	s_cbranch_scc1 .LBB13_88
; %bb.84:
	v_dual_mov_b32 v5, 0 :: v_dual_mov_b32 v10, v9
	s_add_u32 s2, s0, 0xc4
	s_addc_u32 s3, s1, 0
	s_and_b32 s8, s7, 28
	s_mov_b32 s9, 0
	s_mov_b64 s[4:5], s[0:1]
.LBB13_85:                              ; =>This Inner Loop Header: Depth=1
	s_clause 0x1
	s_load_b256 s[20:27], s[4:5], 0x4
	s_load_b128 s[12:15], s[4:5], 0x24
	s_load_b128 s[28:31], s[2:3], 0x0
	s_add_u32 s4, s4, 48
	s_addc_u32 s5, s5, 0
	s_add_i32 s9, s9, 4
	s_add_u32 s2, s2, 16
	s_addc_u32 s3, s3, 0
	s_cmp_lg_u32 s8, s9
	s_waitcnt lgkmcnt(0)
	v_mul_hi_u32 v11, s21, v10
	s_delay_alu instid0(VALU_DEP_1) | instskip(NEXT) | instid1(VALU_DEP_1)
	v_add_nc_u32_e32 v11, v10, v11
	v_lshrrev_b32_e32 v11, s22, v11
	s_delay_alu instid0(VALU_DEP_1) | instskip(SKIP_1) | instid1(VALU_DEP_2)
	v_mul_hi_u32 v12, s24, v11
	v_mul_lo_u32 v15, v11, s20
	v_add_nc_u32_e32 v12, v11, v12
	s_delay_alu instid0(VALU_DEP_2) | instskip(NEXT) | instid1(VALU_DEP_2)
	v_sub_nc_u32_e32 v15, v10, v15
	v_lshrrev_b32_e32 v12, s25, v12
	s_delay_alu instid0(VALU_DEP_2) | instskip(NEXT) | instid1(VALU_DEP_2)
	v_mul_lo_u32 v15, v15, s28
	v_mul_hi_u32 v13, s27, v12
	v_mul_lo_u32 v16, v12, s23
	s_delay_alu instid0(VALU_DEP_2) | instskip(NEXT) | instid1(VALU_DEP_2)
	v_add_nc_u32_e32 v13, v12, v13
	v_sub_nc_u32_e32 v11, v11, v16
	s_delay_alu instid0(VALU_DEP_2) | instskip(NEXT) | instid1(VALU_DEP_2)
	v_lshrrev_b32_e32 v13, s12, v13
	v_mul_lo_u32 v11, v11, s29
	s_delay_alu instid0(VALU_DEP_2) | instskip(NEXT) | instid1(VALU_DEP_2)
	v_mul_hi_u32 v14, s14, v13
	v_add3_u32 v5, v15, v5, v11
	s_delay_alu instid0(VALU_DEP_2) | instskip(NEXT) | instid1(VALU_DEP_1)
	v_add_nc_u32_e32 v14, v13, v14
	v_lshrrev_b32_e32 v10, s15, v14
	v_mul_lo_u32 v14, v13, s26
	s_delay_alu instid0(VALU_DEP_2) | instskip(NEXT) | instid1(VALU_DEP_2)
	v_mul_lo_u32 v17, v10, s13
	v_sub_nc_u32_e32 v12, v12, v14
	s_delay_alu instid0(VALU_DEP_2) | instskip(NEXT) | instid1(VALU_DEP_2)
	v_sub_nc_u32_e32 v13, v13, v17
	v_mul_lo_u32 v12, v12, s30
	s_delay_alu instid0(VALU_DEP_2) | instskip(NEXT) | instid1(VALU_DEP_1)
	v_mul_lo_u32 v13, v13, s31
	v_add3_u32 v5, v12, v5, v13
	s_cbranch_scc1 .LBB13_85
; %bb.86:
	s_and_b32 s7, s7, 3
	s_delay_alu instid0(SALU_CYCLE_1)
	s_cmp_eq_u32 s7, 0
	s_cbranch_scc0 .LBB13_89
	s_branch .LBB13_91
.LBB13_87:
	s_mov_b32 s6, -1
                                        ; implicit-def: $vgpr5
	s_branch .LBB13_91
.LBB13_88:
	v_mov_b32_e32 v10, v9
	s_and_b32 s7, s7, 3
	s_delay_alu instid0(SALU_CYCLE_1)
	s_cmp_eq_u32 s7, 0
	s_cbranch_scc1 .LBB13_91
.LBB13_89:
	s_lshl_b32 s2, s8, 2
	s_mul_i32 s4, s8, 12
	s_add_u32 s2, s2, s0
	s_addc_u32 s3, 0, s1
	s_add_u32 s2, s2, 0xc4
	s_addc_u32 s3, s3, 0
	;; [unrolled: 2-line block ×3, first 2 shown]
	.p2align	6
.LBB13_90:                              ; =>This Inner Loop Header: Depth=1
	s_clause 0x1
	s_load_b64 s[8:9], s[4:5], 0x4
	s_load_b32 s10, s[4:5], 0xc
	s_add_u32 s4, s4, 12
	s_addc_u32 s5, s5, 0
	s_waitcnt lgkmcnt(0)
	v_mul_hi_u32 v11, s9, v10
	s_load_b32 s9, s[2:3], 0x0
	s_add_u32 s2, s2, 4
	s_addc_u32 s3, s3, 0
	s_add_i32 s7, s7, -1
	s_delay_alu instid0(SALU_CYCLE_1) | instskip(NEXT) | instid1(VALU_DEP_1)
	s_cmp_lg_u32 s7, 0
	v_add_nc_u32_e32 v11, v10, v11
	s_delay_alu instid0(VALU_DEP_1) | instskip(NEXT) | instid1(VALU_DEP_1)
	v_lshrrev_b32_e32 v13, s10, v11
	v_mul_lo_u32 v11, v13, s8
	s_delay_alu instid0(VALU_DEP_1) | instskip(SKIP_1) | instid1(VALU_DEP_1)
	v_sub_nc_u32_e32 v10, v10, v11
	s_waitcnt lgkmcnt(0)
	v_mad_u64_u32 v[11:12], null, v10, s9, v[5:6]
	s_delay_alu instid0(VALU_DEP_1)
	v_dual_mov_b32 v10, v13 :: v_dual_mov_b32 v5, v11
	s_cbranch_scc1 .LBB13_90
.LBB13_91:
	s_and_not1_b32 vcc_lo, exec_lo, s6
	s_cbranch_vccnz .LBB13_94
; %bb.92:
	s_clause 0x1
	s_load_b128 s[4:7], s[0:1], 0x4
	s_load_b32 s2, s[0:1], 0xc4
	s_cmp_lt_u32 s18, 2
	s_waitcnt lgkmcnt(0)
	v_mul_hi_u32 v5, s5, v9
	s_delay_alu instid0(VALU_DEP_1) | instskip(NEXT) | instid1(VALU_DEP_1)
	v_add_nc_u32_e32 v5, v9, v5
	v_lshrrev_b32_e32 v10, s6, v5
	s_delay_alu instid0(VALU_DEP_1) | instskip(NEXT) | instid1(VALU_DEP_1)
	v_mul_lo_u32 v5, v10, s4
	v_sub_nc_u32_e32 v5, v9, v5
	s_delay_alu instid0(VALU_DEP_1)
	v_mul_lo_u32 v5, v5, s2
	s_cbranch_scc1 .LBB13_94
; %bb.93:
	s_clause 0x1
	s_load_b128 s[4:7], s[0:1], 0x10
	s_load_b32 s2, s[0:1], 0xc8
	s_waitcnt lgkmcnt(0)
	v_mul_hi_u32 v9, s5, v10
	s_delay_alu instid0(VALU_DEP_1) | instskip(NEXT) | instid1(VALU_DEP_1)
	v_add_nc_u32_e32 v9, v10, v9
	v_lshrrev_b32_e32 v9, s6, v9
	s_delay_alu instid0(VALU_DEP_1) | instskip(NEXT) | instid1(VALU_DEP_1)
	v_mul_lo_u32 v9, v9, s4
	v_sub_nc_u32_e32 v11, v10, v9
	s_delay_alu instid0(VALU_DEP_1) | instskip(NEXT) | instid1(VALU_DEP_1)
	v_mad_u64_u32 v[9:10], null, v11, s2, v[5:6]
	v_mov_b32_e32 v5, v9
.LBB13_94:
	v_cmp_ne_u32_e32 vcc_lo, 1, v7
	v_add_nc_u32_e32 v9, 0x300, v6
	s_cbranch_vccnz .LBB13_100
; %bb.95:
	v_mov_b32_e32 v6, 0
	s_cmp_eq_u32 s18, 0
	s_mov_b32 s6, 0
	s_cbranch_scc1 .LBB13_104
; %bb.96:
	s_min_u32 s7, s19, 15
	v_mov_b32_e32 v6, 0
	s_add_i32 s7, s7, 1
	s_cmp_eq_u32 s19, 2
	s_mov_b32 s8, 0
	s_cbranch_scc1 .LBB13_101
; %bb.97:
	v_mov_b32_e32 v6, 0
	v_mov_b32_e32 v10, v9
	s_add_u32 s2, s0, 0xc4
	s_addc_u32 s3, s1, 0
	s_and_b32 s8, s7, 28
	s_mov_b32 s9, 0
	s_mov_b64 s[4:5], s[0:1]
.LBB13_98:                              ; =>This Inner Loop Header: Depth=1
	s_clause 0x1
	s_load_b256 s[20:27], s[4:5], 0x4
	s_load_b128 s[12:15], s[4:5], 0x24
	s_load_b128 s[28:31], s[2:3], 0x0
	s_add_u32 s4, s4, 48
	s_addc_u32 s5, s5, 0
	s_add_i32 s9, s9, 4
	s_add_u32 s2, s2, 16
	s_addc_u32 s3, s3, 0
	s_cmp_lg_u32 s8, s9
	s_waitcnt lgkmcnt(0)
	v_mul_hi_u32 v11, s21, v10
	s_delay_alu instid0(VALU_DEP_1) | instskip(NEXT) | instid1(VALU_DEP_1)
	v_add_nc_u32_e32 v11, v10, v11
	v_lshrrev_b32_e32 v11, s22, v11
	s_delay_alu instid0(VALU_DEP_1) | instskip(SKIP_1) | instid1(VALU_DEP_2)
	v_mul_hi_u32 v12, s24, v11
	v_mul_lo_u32 v15, v11, s20
	v_add_nc_u32_e32 v12, v11, v12
	s_delay_alu instid0(VALU_DEP_2) | instskip(NEXT) | instid1(VALU_DEP_2)
	v_sub_nc_u32_e32 v15, v10, v15
	v_lshrrev_b32_e32 v12, s25, v12
	s_delay_alu instid0(VALU_DEP_2) | instskip(NEXT) | instid1(VALU_DEP_2)
	v_mul_lo_u32 v15, v15, s28
	v_mul_hi_u32 v13, s27, v12
	v_mul_lo_u32 v16, v12, s23
	s_delay_alu instid0(VALU_DEP_2) | instskip(NEXT) | instid1(VALU_DEP_2)
	v_add_nc_u32_e32 v13, v12, v13
	v_sub_nc_u32_e32 v11, v11, v16
	s_delay_alu instid0(VALU_DEP_2) | instskip(NEXT) | instid1(VALU_DEP_2)
	v_lshrrev_b32_e32 v13, s12, v13
	v_mul_lo_u32 v11, v11, s29
	s_delay_alu instid0(VALU_DEP_2) | instskip(NEXT) | instid1(VALU_DEP_2)
	v_mul_hi_u32 v14, s14, v13
	v_add3_u32 v6, v15, v6, v11
	s_delay_alu instid0(VALU_DEP_2) | instskip(NEXT) | instid1(VALU_DEP_1)
	v_add_nc_u32_e32 v14, v13, v14
	v_lshrrev_b32_e32 v10, s15, v14
	v_mul_lo_u32 v14, v13, s26
	s_delay_alu instid0(VALU_DEP_2) | instskip(NEXT) | instid1(VALU_DEP_2)
	v_mul_lo_u32 v17, v10, s13
	v_sub_nc_u32_e32 v12, v12, v14
	s_delay_alu instid0(VALU_DEP_2) | instskip(NEXT) | instid1(VALU_DEP_2)
	v_sub_nc_u32_e32 v13, v13, v17
	v_mul_lo_u32 v12, v12, s30
	s_delay_alu instid0(VALU_DEP_2) | instskip(NEXT) | instid1(VALU_DEP_1)
	v_mul_lo_u32 v13, v13, s31
	v_add3_u32 v6, v12, v6, v13
	s_cbranch_scc1 .LBB13_98
; %bb.99:
	s_and_b32 s7, s7, 3
	s_delay_alu instid0(SALU_CYCLE_1)
	s_cmp_eq_u32 s7, 0
	s_cbranch_scc0 .LBB13_102
	s_branch .LBB13_104
.LBB13_100:
	s_mov_b32 s6, -1
                                        ; implicit-def: $vgpr6
	s_branch .LBB13_104
.LBB13_101:
	v_mov_b32_e32 v10, v9
	s_and_b32 s7, s7, 3
	s_delay_alu instid0(SALU_CYCLE_1)
	s_cmp_eq_u32 s7, 0
	s_cbranch_scc1 .LBB13_104
.LBB13_102:
	s_lshl_b32 s2, s8, 2
	s_mul_i32 s4, s8, 12
	s_add_u32 s2, s2, s0
	s_addc_u32 s3, 0, s1
	s_add_u32 s2, s2, 0xc4
	s_addc_u32 s3, s3, 0
	;; [unrolled: 2-line block ×3, first 2 shown]
	.p2align	6
.LBB13_103:                             ; =>This Inner Loop Header: Depth=1
	s_clause 0x1
	s_load_b64 s[8:9], s[4:5], 0x4
	s_load_b32 s10, s[4:5], 0xc
	s_add_u32 s4, s4, 12
	s_addc_u32 s5, s5, 0
	s_waitcnt lgkmcnt(0)
	v_mul_hi_u32 v11, s9, v10
	s_load_b32 s9, s[2:3], 0x0
	s_add_u32 s2, s2, 4
	s_addc_u32 s3, s3, 0
	s_add_i32 s7, s7, -1
	s_delay_alu instid0(SALU_CYCLE_1) | instskip(NEXT) | instid1(VALU_DEP_1)
	s_cmp_lg_u32 s7, 0
	v_add_nc_u32_e32 v11, v10, v11
	s_delay_alu instid0(VALU_DEP_1) | instskip(NEXT) | instid1(VALU_DEP_1)
	v_lshrrev_b32_e32 v13, s10, v11
	v_mul_lo_u32 v11, v13, s8
	s_delay_alu instid0(VALU_DEP_1) | instskip(SKIP_1) | instid1(VALU_DEP_1)
	v_sub_nc_u32_e32 v10, v10, v11
	s_waitcnt lgkmcnt(0)
	v_mad_u64_u32 v[11:12], null, v10, s9, v[6:7]
	v_mov_b32_e32 v10, v13
	s_delay_alu instid0(VALU_DEP_2)
	v_mov_b32_e32 v6, v11
	s_cbranch_scc1 .LBB13_103
.LBB13_104:
	s_and_not1_b32 vcc_lo, exec_lo, s6
	s_cbranch_vccnz .LBB13_107
; %bb.105:
	s_clause 0x1
	s_load_b128 s[4:7], s[0:1], 0x4
	s_load_b32 s2, s[0:1], 0xc4
	s_cmp_lt_u32 s18, 2
	s_waitcnt lgkmcnt(0)
	v_mul_hi_u32 v6, s5, v9
	s_delay_alu instid0(VALU_DEP_1) | instskip(NEXT) | instid1(VALU_DEP_1)
	v_add_nc_u32_e32 v6, v9, v6
	v_lshrrev_b32_e32 v10, s6, v6
	s_delay_alu instid0(VALU_DEP_1) | instskip(NEXT) | instid1(VALU_DEP_1)
	v_mul_lo_u32 v6, v10, s4
	v_sub_nc_u32_e32 v6, v9, v6
	s_delay_alu instid0(VALU_DEP_1)
	v_mul_lo_u32 v6, v6, s2
	s_cbranch_scc1 .LBB13_107
; %bb.106:
	s_clause 0x1
	s_load_b128 s[4:7], s[0:1], 0x10
	s_load_b32 s2, s[0:1], 0xc8
	s_waitcnt lgkmcnt(0)
	v_mul_hi_u32 v9, s5, v10
	s_delay_alu instid0(VALU_DEP_1) | instskip(NEXT) | instid1(VALU_DEP_1)
	v_add_nc_u32_e32 v9, v10, v9
	v_lshrrev_b32_e32 v9, s6, v9
	s_delay_alu instid0(VALU_DEP_1) | instskip(NEXT) | instid1(VALU_DEP_1)
	v_mul_lo_u32 v9, v9, s4
	v_sub_nc_u32_e32 v11, v10, v9
	s_delay_alu instid0(VALU_DEP_1) | instskip(NEXT) | instid1(VALU_DEP_1)
	v_mad_u64_u32 v[9:10], null, v11, s2, v[6:7]
	v_mov_b32_e32 v6, v9
.LBB13_107:
	v_cmp_ne_u32_e32 vcc_lo, 1, v7
	s_cbranch_vccnz .LBB13_113
; %bb.108:
	v_mov_b32_e32 v7, 0
	s_cmp_eq_u32 s18, 0
	s_mov_b32 s6, 0
	s_cbranch_scc1 .LBB13_117
; %bb.109:
	s_min_u32 s7, s19, 15
	v_mov_b32_e32 v7, 0
	s_add_i32 s7, s7, 1
	s_cmp_eq_u32 s19, 2
	s_mov_b32 s8, 0
	s_cbranch_scc1 .LBB13_114
; %bb.110:
	v_mov_b32_e32 v7, 0
	v_mov_b32_e32 v9, v8
	s_add_u32 s2, s0, 0xc4
	s_addc_u32 s3, s1, 0
	s_and_b32 s8, s7, 28
	s_mov_b32 s9, 0
	s_mov_b64 s[4:5], s[0:1]
.LBB13_111:                             ; =>This Inner Loop Header: Depth=1
	s_clause 0x1
	s_load_b256 s[20:27], s[4:5], 0x4
	s_load_b128 s[12:15], s[4:5], 0x24
	s_load_b128 s[28:31], s[2:3], 0x0
	s_add_u32 s4, s4, 48
	s_addc_u32 s5, s5, 0
	s_add_i32 s9, s9, 4
	s_add_u32 s2, s2, 16
	s_addc_u32 s3, s3, 0
	s_cmp_lg_u32 s8, s9
	s_waitcnt lgkmcnt(0)
	v_mul_hi_u32 v10, s21, v9
	s_delay_alu instid0(VALU_DEP_1) | instskip(NEXT) | instid1(VALU_DEP_1)
	v_add_nc_u32_e32 v10, v9, v10
	v_lshrrev_b32_e32 v10, s22, v10
	s_delay_alu instid0(VALU_DEP_1) | instskip(SKIP_1) | instid1(VALU_DEP_2)
	v_mul_hi_u32 v11, s24, v10
	v_mul_lo_u32 v14, v10, s20
	v_add_nc_u32_e32 v11, v10, v11
	s_delay_alu instid0(VALU_DEP_2) | instskip(NEXT) | instid1(VALU_DEP_2)
	v_sub_nc_u32_e32 v14, v9, v14
	v_lshrrev_b32_e32 v11, s25, v11
	s_delay_alu instid0(VALU_DEP_2) | instskip(NEXT) | instid1(VALU_DEP_2)
	v_mul_lo_u32 v14, v14, s28
	v_mul_hi_u32 v12, s27, v11
	v_mul_lo_u32 v15, v11, s23
	s_delay_alu instid0(VALU_DEP_2) | instskip(NEXT) | instid1(VALU_DEP_2)
	v_add_nc_u32_e32 v12, v11, v12
	v_sub_nc_u32_e32 v10, v10, v15
	s_delay_alu instid0(VALU_DEP_2) | instskip(NEXT) | instid1(VALU_DEP_2)
	v_lshrrev_b32_e32 v12, s12, v12
	v_mul_lo_u32 v10, v10, s29
	s_delay_alu instid0(VALU_DEP_2) | instskip(NEXT) | instid1(VALU_DEP_2)
	v_mul_hi_u32 v13, s14, v12
	v_add3_u32 v7, v14, v7, v10
	s_delay_alu instid0(VALU_DEP_2) | instskip(NEXT) | instid1(VALU_DEP_1)
	v_add_nc_u32_e32 v13, v12, v13
	v_lshrrev_b32_e32 v9, s15, v13
	v_mul_lo_u32 v13, v12, s26
	s_delay_alu instid0(VALU_DEP_2) | instskip(NEXT) | instid1(VALU_DEP_2)
	v_mul_lo_u32 v16, v9, s13
	v_sub_nc_u32_e32 v11, v11, v13
	s_delay_alu instid0(VALU_DEP_2) | instskip(NEXT) | instid1(VALU_DEP_2)
	v_sub_nc_u32_e32 v12, v12, v16
	v_mul_lo_u32 v11, v11, s30
	s_delay_alu instid0(VALU_DEP_2) | instskip(NEXT) | instid1(VALU_DEP_1)
	v_mul_lo_u32 v12, v12, s31
	v_add3_u32 v7, v11, v7, v12
	s_cbranch_scc1 .LBB13_111
; %bb.112:
	s_and_b32 s7, s7, 3
	s_delay_alu instid0(SALU_CYCLE_1)
	s_cmp_eq_u32 s7, 0
	s_cbranch_scc0 .LBB13_115
	s_branch .LBB13_117
.LBB13_113:
	s_mov_b32 s6, -1
                                        ; implicit-def: $vgpr7
	s_branch .LBB13_117
.LBB13_114:
	v_mov_b32_e32 v9, v8
	s_and_b32 s7, s7, 3
	s_delay_alu instid0(SALU_CYCLE_1)
	s_cmp_eq_u32 s7, 0
	s_cbranch_scc1 .LBB13_117
.LBB13_115:
	s_lshl_b32 s2, s8, 2
	s_mul_i32 s4, s8, 12
	s_add_u32 s2, s2, s0
	s_addc_u32 s3, 0, s1
	s_add_u32 s2, s2, 0xc4
	s_addc_u32 s3, s3, 0
	;; [unrolled: 2-line block ×3, first 2 shown]
	.p2align	6
.LBB13_116:                             ; =>This Inner Loop Header: Depth=1
	s_clause 0x1
	s_load_b64 s[8:9], s[4:5], 0x4
	s_load_b32 s10, s[4:5], 0xc
	s_add_u32 s4, s4, 12
	s_addc_u32 s5, s5, 0
	s_waitcnt lgkmcnt(0)
	v_mul_hi_u32 v10, s9, v9
	s_load_b32 s9, s[2:3], 0x0
	s_add_u32 s2, s2, 4
	s_addc_u32 s3, s3, 0
	s_add_i32 s7, s7, -1
	s_delay_alu instid0(SALU_CYCLE_1) | instskip(NEXT) | instid1(VALU_DEP_1)
	s_cmp_lg_u32 s7, 0
	v_add_nc_u32_e32 v10, v9, v10
	s_delay_alu instid0(VALU_DEP_1) | instskip(NEXT) | instid1(VALU_DEP_1)
	v_lshrrev_b32_e32 v12, s10, v10
	v_mul_lo_u32 v10, v12, s8
	s_delay_alu instid0(VALU_DEP_1) | instskip(SKIP_1) | instid1(VALU_DEP_1)
	v_sub_nc_u32_e32 v9, v9, v10
	s_waitcnt lgkmcnt(0)
	v_mad_u64_u32 v[10:11], null, v9, s9, v[7:8]
	v_mov_b32_e32 v9, v12
	s_delay_alu instid0(VALU_DEP_2)
	v_mov_b32_e32 v7, v10
	s_cbranch_scc1 .LBB13_116
.LBB13_117:
	s_and_not1_b32 vcc_lo, exec_lo, s6
	s_cbranch_vccnz .LBB13_120
; %bb.118:
	s_clause 0x1
	s_load_b128 s[4:7], s[0:1], 0x4
	s_load_b32 s2, s[0:1], 0xc4
	s_cmp_lt_u32 s18, 2
	s_waitcnt lgkmcnt(0)
	v_mul_hi_u32 v7, s5, v8
	s_delay_alu instid0(VALU_DEP_1) | instskip(NEXT) | instid1(VALU_DEP_1)
	v_add_nc_u32_e32 v7, v8, v7
	v_lshrrev_b32_e32 v9, s6, v7
	s_delay_alu instid0(VALU_DEP_1) | instskip(NEXT) | instid1(VALU_DEP_1)
	v_mul_lo_u32 v7, v9, s4
	v_sub_nc_u32_e32 v7, v8, v7
	s_delay_alu instid0(VALU_DEP_1)
	v_mul_lo_u32 v7, v7, s2
	s_cbranch_scc1 .LBB13_120
; %bb.119:
	s_clause 0x1
	s_load_b128 s[4:7], s[0:1], 0x10
	s_load_b32 s2, s[0:1], 0xc8
	s_waitcnt lgkmcnt(0)
	v_mul_hi_u32 v8, s5, v9
	s_delay_alu instid0(VALU_DEP_1) | instskip(NEXT) | instid1(VALU_DEP_1)
	v_add_nc_u32_e32 v8, v9, v8
	v_lshrrev_b32_e32 v8, s6, v8
	s_delay_alu instid0(VALU_DEP_1) | instskip(NEXT) | instid1(VALU_DEP_1)
	v_mul_lo_u32 v8, v8, s4
	v_sub_nc_u32_e32 v10, v9, v8
	s_delay_alu instid0(VALU_DEP_1) | instskip(NEXT) | instid1(VALU_DEP_1)
	v_mad_u64_u32 v[8:9], null, v10, s2, v[7:8]
	v_mov_b32_e32 v7, v8
.LBB13_120:
	s_clause 0x1
	s_load_b32 s2, s[0:1], 0x110
	s_load_b64 s[0:1], s[0:1], 0x108
	s_waitcnt lgkmcnt(0)
	v_mov_b32_e32 v8, s2
	s_clause 0x7
	global_store_b8 v0, v8, s[0:1]
	global_store_b8 v1, v8, s[0:1]
	;; [unrolled: 1-line block ×8, first 2 shown]
	s_nop 0
	s_sendmsg sendmsg(MSG_DEALLOC_VGPRS)
	s_endpgm
.LBB13_121:
	v_mov_b32_e32 v1, v6
.LBB13_122:
	s_and_b32 s29, s29, 3
	s_delay_alu instid0(SALU_CYCLE_1)
	s_cmp_eq_u32 s29, 0
	s_cbranch_scc1 .LBB13_125
; %bb.123:
	s_lshl_b32 s14, s28, 2
	s_mul_i32 s16, s28, 12
	s_add_u32 s14, s14, s0
	s_addc_u32 s15, s1, 0
	s_add_u32 s14, s14, 0xc4
	s_addc_u32 s15, s15, 0
	s_add_u32 s16, s0, s16
	s_addc_u32 s17, s1, 0
	.p2align	6
.LBB13_124:                             ; =>This Inner Loop Header: Depth=1
	s_clause 0x1
	s_load_b64 s[30:31], s[16:17], 0x4
	s_load_b32 s28, s[16:17], 0xc
	s_add_u32 s16, s16, 12
	s_addc_u32 s17, s17, 0
	s_waitcnt lgkmcnt(0)
	v_mul_hi_u32 v2, s31, v1
	s_load_b32 s31, s[14:15], 0x0
	s_add_u32 s14, s14, 4
	s_addc_u32 s15, s15, 0
	s_add_i32 s29, s29, -1
	s_delay_alu instid0(SALU_CYCLE_1) | instskip(NEXT) | instid1(VALU_DEP_1)
	s_cmp_lg_u32 s29, 0
	v_add_nc_u32_e32 v2, v1, v2
	s_delay_alu instid0(VALU_DEP_1) | instskip(NEXT) | instid1(VALU_DEP_1)
	v_lshrrev_b32_e32 v4, s28, v2
	v_mul_lo_u32 v2, v4, s30
	s_delay_alu instid0(VALU_DEP_1) | instskip(SKIP_1) | instid1(VALU_DEP_1)
	v_sub_nc_u32_e32 v1, v1, v2
	s_waitcnt lgkmcnt(0)
	v_mad_u64_u32 v[2:3], null, v1, s31, v[0:1]
	s_delay_alu instid0(VALU_DEP_1)
	v_dual_mov_b32 v1, v4 :: v_dual_mov_b32 v0, v2
	s_cbranch_scc1 .LBB13_124
.LBB13_125:
	s_cbranch_execnz .LBB13_128
.LBB13_126:
	s_waitcnt lgkmcnt(0)
	v_mul_hi_u32 v0, s5, v6
	s_and_not1_b32 vcc_lo, exec_lo, s23
	s_delay_alu instid0(VALU_DEP_1) | instskip(NEXT) | instid1(VALU_DEP_1)
	v_add_nc_u32_e32 v0, v6, v0
	v_lshrrev_b32_e32 v1, s6, v0
	s_delay_alu instid0(VALU_DEP_1) | instskip(NEXT) | instid1(VALU_DEP_1)
	v_mul_lo_u32 v0, v1, s4
	v_sub_nc_u32_e32 v0, v6, v0
	s_delay_alu instid0(VALU_DEP_1)
	v_mul_lo_u32 v0, v0, s8
	s_cbranch_vccnz .LBB13_128
; %bb.127:
	v_mul_hi_u32 v2, s10, v1
	s_delay_alu instid0(VALU_DEP_1) | instskip(NEXT) | instid1(VALU_DEP_1)
	v_add_nc_u32_e32 v2, v1, v2
	v_lshrrev_b32_e32 v2, s11, v2
	s_delay_alu instid0(VALU_DEP_1) | instskip(NEXT) | instid1(VALU_DEP_1)
	v_mul_lo_u32 v2, v2, s7
	v_sub_nc_u32_e32 v3, v1, v2
	s_delay_alu instid0(VALU_DEP_1) | instskip(NEXT) | instid1(VALU_DEP_1)
	v_mad_u64_u32 v[1:2], null, v3, s9, v[0:1]
	v_mov_b32_e32 v0, v1
.LBB13_128:
	s_waitcnt lgkmcnt(0)
	v_dual_mov_b32 v1, s22 :: v_dual_add_nc_u32 v6, 0x80, v6
	global_store_b8 v0, v1, s[2:3]
	s_or_b32 exec_lo, exec_lo, s27
	s_delay_alu instid0(SALU_CYCLE_1)
	s_mov_b32 s27, exec_lo
	v_cmpx_gt_i32_e64 s24, v6
	s_cbranch_execnz .LBB13_15
.LBB13_129:
	s_or_b32 exec_lo, exec_lo, s27
	s_delay_alu instid0(SALU_CYCLE_1)
	s_mov_b32 s27, exec_lo
	v_cmpx_gt_i32_e64 s24, v6
	s_cbranch_execz .LBB13_144
.LBB13_130:
	s_and_not1_b32 vcc_lo, exec_lo, s20
	s_cbranch_vccnz .LBB13_135
; %bb.131:
	v_mov_b32_e32 v0, 0
	s_and_not1_b32 vcc_lo, exec_lo, s26
	s_cbranch_vccnz .LBB13_155
; %bb.132:
	s_add_i32 s29, s25, 1
	s_cmp_eq_u32 s19, 2
	s_mov_b32 s28, 0
	s_cbranch_scc1 .LBB13_151
; %bb.133:
	v_dual_mov_b32 v0, 0 :: v_dual_mov_b32 v1, v6
	s_and_b32 s28, s29, 28
	s_mov_b32 s30, 0
	s_mov_b64 s[14:15], s[0:1]
	s_mov_b64 s[16:17], s[12:13]
.LBB13_134:                             ; =>This Inner Loop Header: Depth=1
	s_clause 0x1
	s_load_b256 s[36:43], s[14:15], 0x4
	s_load_b128 s[44:47], s[14:15], 0x24
	s_load_b128 s[48:51], s[16:17], 0x0
	s_add_u32 s14, s14, 48
	s_addc_u32 s15, s15, 0
	s_add_i32 s30, s30, 4
	s_add_u32 s16, s16, 16
	s_addc_u32 s17, s17, 0
	s_cmp_eq_u32 s28, s30
	s_waitcnt lgkmcnt(0)
	v_mul_hi_u32 v2, s37, v1
	s_delay_alu instid0(VALU_DEP_1) | instskip(NEXT) | instid1(VALU_DEP_1)
	v_add_nc_u32_e32 v2, v1, v2
	v_lshrrev_b32_e32 v2, s38, v2
	s_delay_alu instid0(VALU_DEP_1) | instskip(SKIP_1) | instid1(VALU_DEP_2)
	v_mul_hi_u32 v3, s40, v2
	v_mul_lo_u32 v7, v2, s36
	v_add_nc_u32_e32 v3, v2, v3
	s_delay_alu instid0(VALU_DEP_2) | instskip(NEXT) | instid1(VALU_DEP_2)
	v_sub_nc_u32_e32 v7, v1, v7
	v_lshrrev_b32_e32 v3, s41, v3
	s_delay_alu instid0(VALU_DEP_2) | instskip(NEXT) | instid1(VALU_DEP_2)
	v_mul_lo_u32 v7, v7, s48
	v_mul_hi_u32 v4, s43, v3
	v_mul_lo_u32 v8, v3, s39
	s_delay_alu instid0(VALU_DEP_2) | instskip(NEXT) | instid1(VALU_DEP_2)
	v_add_nc_u32_e32 v4, v3, v4
	v_sub_nc_u32_e32 v2, v2, v8
	s_delay_alu instid0(VALU_DEP_2) | instskip(NEXT) | instid1(VALU_DEP_2)
	v_lshrrev_b32_e32 v4, s44, v4
	v_mul_lo_u32 v2, v2, s49
	s_delay_alu instid0(VALU_DEP_2) | instskip(NEXT) | instid1(VALU_DEP_2)
	v_mul_hi_u32 v5, s46, v4
	v_add3_u32 v0, v7, v0, v2
	s_delay_alu instid0(VALU_DEP_2) | instskip(NEXT) | instid1(VALU_DEP_1)
	v_add_nc_u32_e32 v5, v4, v5
	v_lshrrev_b32_e32 v1, s47, v5
	v_mul_lo_u32 v5, v4, s42
	s_delay_alu instid0(VALU_DEP_2) | instskip(NEXT) | instid1(VALU_DEP_2)
	v_mul_lo_u32 v9, v1, s45
	v_sub_nc_u32_e32 v3, v3, v5
	s_delay_alu instid0(VALU_DEP_2) | instskip(NEXT) | instid1(VALU_DEP_2)
	v_sub_nc_u32_e32 v4, v4, v9
	v_mul_lo_u32 v3, v3, s50
	s_delay_alu instid0(VALU_DEP_2) | instskip(NEXT) | instid1(VALU_DEP_1)
	v_mul_lo_u32 v4, v4, s51
	v_add3_u32 v0, v3, v0, v4
	s_cbranch_scc0 .LBB13_134
	s_branch .LBB13_152
.LBB13_135:
                                        ; implicit-def: $vgpr0
	s_branch .LBB13_156
.LBB13_136:
	v_mov_b32_e32 v1, v6
.LBB13_137:
	s_and_b32 s29, s29, 3
	s_delay_alu instid0(SALU_CYCLE_1)
	s_cmp_eq_u32 s29, 0
	s_cbranch_scc1 .LBB13_140
; %bb.138:
	s_lshl_b32 s14, s28, 2
	s_mul_i32 s16, s28, 12
	s_add_u32 s14, s14, s0
	s_addc_u32 s15, s1, 0
	s_add_u32 s14, s14, 0xc4
	s_addc_u32 s15, s15, 0
	;; [unrolled: 2-line block ×3, first 2 shown]
	.p2align	6
.LBB13_139:                             ; =>This Inner Loop Header: Depth=1
	s_clause 0x1
	s_load_b64 s[30:31], s[16:17], 0x4
	s_load_b32 s28, s[16:17], 0xc
	s_add_u32 s16, s16, 12
	s_addc_u32 s17, s17, 0
	s_waitcnt lgkmcnt(0)
	v_mul_hi_u32 v2, s31, v1
	s_load_b32 s31, s[14:15], 0x0
	s_add_u32 s14, s14, 4
	s_addc_u32 s15, s15, 0
	s_add_i32 s29, s29, -1
	s_delay_alu instid0(SALU_CYCLE_1) | instskip(NEXT) | instid1(VALU_DEP_1)
	s_cmp_lg_u32 s29, 0
	v_add_nc_u32_e32 v2, v1, v2
	s_delay_alu instid0(VALU_DEP_1) | instskip(NEXT) | instid1(VALU_DEP_1)
	v_lshrrev_b32_e32 v4, s28, v2
	v_mul_lo_u32 v2, v4, s30
	s_delay_alu instid0(VALU_DEP_1) | instskip(SKIP_1) | instid1(VALU_DEP_1)
	v_sub_nc_u32_e32 v1, v1, v2
	s_waitcnt lgkmcnt(0)
	v_mad_u64_u32 v[2:3], null, v1, s31, v[0:1]
	s_delay_alu instid0(VALU_DEP_1)
	v_dual_mov_b32 v1, v4 :: v_dual_mov_b32 v0, v2
	s_cbranch_scc1 .LBB13_139
.LBB13_140:
	s_cbranch_execnz .LBB13_143
.LBB13_141:
	s_waitcnt lgkmcnt(0)
	v_mul_hi_u32 v0, s5, v6
	s_and_not1_b32 vcc_lo, exec_lo, s23
	s_delay_alu instid0(VALU_DEP_1) | instskip(NEXT) | instid1(VALU_DEP_1)
	v_add_nc_u32_e32 v0, v6, v0
	v_lshrrev_b32_e32 v1, s6, v0
	s_delay_alu instid0(VALU_DEP_1) | instskip(NEXT) | instid1(VALU_DEP_1)
	v_mul_lo_u32 v0, v1, s4
	v_sub_nc_u32_e32 v0, v6, v0
	s_delay_alu instid0(VALU_DEP_1)
	v_mul_lo_u32 v0, v0, s8
	s_cbranch_vccnz .LBB13_143
; %bb.142:
	v_mul_hi_u32 v2, s10, v1
	s_delay_alu instid0(VALU_DEP_1) | instskip(NEXT) | instid1(VALU_DEP_1)
	v_add_nc_u32_e32 v2, v1, v2
	v_lshrrev_b32_e32 v2, s11, v2
	s_delay_alu instid0(VALU_DEP_1) | instskip(NEXT) | instid1(VALU_DEP_1)
	v_mul_lo_u32 v2, v2, s7
	v_sub_nc_u32_e32 v3, v1, v2
	s_delay_alu instid0(VALU_DEP_1) | instskip(NEXT) | instid1(VALU_DEP_1)
	v_mad_u64_u32 v[1:2], null, v3, s9, v[0:1]
	v_mov_b32_e32 v0, v1
.LBB13_143:
	s_waitcnt lgkmcnt(0)
	v_dual_mov_b32 v1, s22 :: v_dual_add_nc_u32 v6, 0x80, v6
	global_store_b8 v0, v1, s[2:3]
	s_or_b32 exec_lo, exec_lo, s27
	s_delay_alu instid0(SALU_CYCLE_1)
	s_mov_b32 s27, exec_lo
	v_cmpx_gt_i32_e64 s24, v6
	s_cbranch_execnz .LBB13_130
.LBB13_144:
	s_or_b32 exec_lo, exec_lo, s27
	s_delay_alu instid0(SALU_CYCLE_1)
	s_mov_b32 s27, exec_lo
	v_cmpx_gt_i32_e64 s24, v6
	s_cbranch_execz .LBB13_159
.LBB13_145:
	s_and_not1_b32 vcc_lo, exec_lo, s20
	s_cbranch_vccnz .LBB13_150
; %bb.146:
	v_mov_b32_e32 v0, 0
	s_and_not1_b32 vcc_lo, exec_lo, s26
	s_cbranch_vccnz .LBB13_170
; %bb.147:
	s_add_i32 s29, s25, 1
	s_cmp_eq_u32 s19, 2
	s_mov_b32 s28, 0
	s_cbranch_scc1 .LBB13_166
; %bb.148:
	v_dual_mov_b32 v0, 0 :: v_dual_mov_b32 v1, v6
	s_and_b32 s28, s29, 28
	s_mov_b32 s30, 0
	s_mov_b64 s[14:15], s[0:1]
	s_mov_b64 s[16:17], s[12:13]
.LBB13_149:                             ; =>This Inner Loop Header: Depth=1
	s_clause 0x1
	s_load_b256 s[36:43], s[14:15], 0x4
	s_load_b128 s[44:47], s[14:15], 0x24
	s_load_b128 s[48:51], s[16:17], 0x0
	s_add_u32 s14, s14, 48
	s_addc_u32 s15, s15, 0
	s_add_i32 s30, s30, 4
	s_add_u32 s16, s16, 16
	s_addc_u32 s17, s17, 0
	s_cmp_eq_u32 s28, s30
	s_waitcnt lgkmcnt(0)
	v_mul_hi_u32 v2, s37, v1
	s_delay_alu instid0(VALU_DEP_1) | instskip(NEXT) | instid1(VALU_DEP_1)
	v_add_nc_u32_e32 v2, v1, v2
	v_lshrrev_b32_e32 v2, s38, v2
	s_delay_alu instid0(VALU_DEP_1) | instskip(SKIP_1) | instid1(VALU_DEP_2)
	v_mul_hi_u32 v3, s40, v2
	v_mul_lo_u32 v7, v2, s36
	v_add_nc_u32_e32 v3, v2, v3
	s_delay_alu instid0(VALU_DEP_2) | instskip(NEXT) | instid1(VALU_DEP_2)
	v_sub_nc_u32_e32 v7, v1, v7
	v_lshrrev_b32_e32 v3, s41, v3
	s_delay_alu instid0(VALU_DEP_2) | instskip(NEXT) | instid1(VALU_DEP_2)
	v_mul_lo_u32 v7, v7, s48
	v_mul_hi_u32 v4, s43, v3
	v_mul_lo_u32 v8, v3, s39
	s_delay_alu instid0(VALU_DEP_2) | instskip(NEXT) | instid1(VALU_DEP_2)
	v_add_nc_u32_e32 v4, v3, v4
	v_sub_nc_u32_e32 v2, v2, v8
	s_delay_alu instid0(VALU_DEP_2) | instskip(NEXT) | instid1(VALU_DEP_2)
	v_lshrrev_b32_e32 v4, s44, v4
	v_mul_lo_u32 v2, v2, s49
	s_delay_alu instid0(VALU_DEP_2) | instskip(NEXT) | instid1(VALU_DEP_2)
	v_mul_hi_u32 v5, s46, v4
	v_add3_u32 v0, v7, v0, v2
	s_delay_alu instid0(VALU_DEP_2) | instskip(NEXT) | instid1(VALU_DEP_1)
	v_add_nc_u32_e32 v5, v4, v5
	v_lshrrev_b32_e32 v1, s47, v5
	v_mul_lo_u32 v5, v4, s42
	s_delay_alu instid0(VALU_DEP_2) | instskip(NEXT) | instid1(VALU_DEP_2)
	v_mul_lo_u32 v9, v1, s45
	v_sub_nc_u32_e32 v3, v3, v5
	s_delay_alu instid0(VALU_DEP_2) | instskip(NEXT) | instid1(VALU_DEP_2)
	v_sub_nc_u32_e32 v4, v4, v9
	v_mul_lo_u32 v3, v3, s50
	s_delay_alu instid0(VALU_DEP_2) | instskip(NEXT) | instid1(VALU_DEP_1)
	v_mul_lo_u32 v4, v4, s51
	v_add3_u32 v0, v3, v0, v4
	s_cbranch_scc0 .LBB13_149
	s_branch .LBB13_167
.LBB13_150:
                                        ; implicit-def: $vgpr0
	s_branch .LBB13_171
.LBB13_151:
	v_mov_b32_e32 v1, v6
.LBB13_152:
	s_and_b32 s29, s29, 3
	s_delay_alu instid0(SALU_CYCLE_1)
	s_cmp_eq_u32 s29, 0
	s_cbranch_scc1 .LBB13_155
; %bb.153:
	s_lshl_b32 s14, s28, 2
	s_mul_i32 s16, s28, 12
	s_add_u32 s14, s14, s0
	s_addc_u32 s15, s1, 0
	s_add_u32 s14, s14, 0xc4
	s_addc_u32 s15, s15, 0
	;; [unrolled: 2-line block ×3, first 2 shown]
	.p2align	6
.LBB13_154:                             ; =>This Inner Loop Header: Depth=1
	s_clause 0x1
	s_load_b64 s[30:31], s[16:17], 0x4
	s_load_b32 s28, s[16:17], 0xc
	s_add_u32 s16, s16, 12
	s_addc_u32 s17, s17, 0
	s_waitcnt lgkmcnt(0)
	v_mul_hi_u32 v2, s31, v1
	s_load_b32 s31, s[14:15], 0x0
	s_add_u32 s14, s14, 4
	s_addc_u32 s15, s15, 0
	s_add_i32 s29, s29, -1
	s_delay_alu instid0(SALU_CYCLE_1) | instskip(NEXT) | instid1(VALU_DEP_1)
	s_cmp_lg_u32 s29, 0
	v_add_nc_u32_e32 v2, v1, v2
	s_delay_alu instid0(VALU_DEP_1) | instskip(NEXT) | instid1(VALU_DEP_1)
	v_lshrrev_b32_e32 v4, s28, v2
	v_mul_lo_u32 v2, v4, s30
	s_delay_alu instid0(VALU_DEP_1) | instskip(SKIP_1) | instid1(VALU_DEP_1)
	v_sub_nc_u32_e32 v1, v1, v2
	s_waitcnt lgkmcnt(0)
	v_mad_u64_u32 v[2:3], null, v1, s31, v[0:1]
	s_delay_alu instid0(VALU_DEP_1)
	v_dual_mov_b32 v1, v4 :: v_dual_mov_b32 v0, v2
	s_cbranch_scc1 .LBB13_154
.LBB13_155:
	s_cbranch_execnz .LBB13_158
.LBB13_156:
	s_waitcnt lgkmcnt(0)
	v_mul_hi_u32 v0, s5, v6
	s_and_not1_b32 vcc_lo, exec_lo, s23
	s_delay_alu instid0(VALU_DEP_1) | instskip(NEXT) | instid1(VALU_DEP_1)
	v_add_nc_u32_e32 v0, v6, v0
	v_lshrrev_b32_e32 v1, s6, v0
	s_delay_alu instid0(VALU_DEP_1) | instskip(NEXT) | instid1(VALU_DEP_1)
	v_mul_lo_u32 v0, v1, s4
	v_sub_nc_u32_e32 v0, v6, v0
	s_delay_alu instid0(VALU_DEP_1)
	v_mul_lo_u32 v0, v0, s8
	s_cbranch_vccnz .LBB13_158
; %bb.157:
	v_mul_hi_u32 v2, s10, v1
	s_delay_alu instid0(VALU_DEP_1) | instskip(NEXT) | instid1(VALU_DEP_1)
	v_add_nc_u32_e32 v2, v1, v2
	v_lshrrev_b32_e32 v2, s11, v2
	s_delay_alu instid0(VALU_DEP_1) | instskip(NEXT) | instid1(VALU_DEP_1)
	v_mul_lo_u32 v2, v2, s7
	v_sub_nc_u32_e32 v3, v1, v2
	s_delay_alu instid0(VALU_DEP_1) | instskip(NEXT) | instid1(VALU_DEP_1)
	v_mad_u64_u32 v[1:2], null, v3, s9, v[0:1]
	v_mov_b32_e32 v0, v1
.LBB13_158:
	s_waitcnt lgkmcnt(0)
	v_dual_mov_b32 v1, s22 :: v_dual_add_nc_u32 v6, 0x80, v6
	global_store_b8 v0, v1, s[2:3]
	s_or_b32 exec_lo, exec_lo, s27
	s_delay_alu instid0(SALU_CYCLE_1)
	s_mov_b32 s27, exec_lo
	v_cmpx_gt_i32_e64 s24, v6
	s_cbranch_execnz .LBB13_145
.LBB13_159:
	s_or_b32 exec_lo, exec_lo, s27
	s_delay_alu instid0(SALU_CYCLE_1)
	s_mov_b32 s27, exec_lo
	v_cmpx_gt_i32_e64 s24, v6
	s_cbranch_execz .LBB13_174
.LBB13_160:
	s_and_not1_b32 vcc_lo, exec_lo, s20
	s_cbranch_vccnz .LBB13_165
; %bb.161:
	v_mov_b32_e32 v0, 0
	s_and_not1_b32 vcc_lo, exec_lo, s26
	s_cbranch_vccnz .LBB13_185
; %bb.162:
	s_add_i32 s29, s25, 1
	s_cmp_eq_u32 s19, 2
	s_mov_b32 s28, 0
	s_cbranch_scc1 .LBB13_181
; %bb.163:
	v_dual_mov_b32 v0, 0 :: v_dual_mov_b32 v1, v6
	s_and_b32 s28, s29, 28
	s_mov_b32 s30, 0
	s_mov_b64 s[14:15], s[0:1]
	s_mov_b64 s[16:17], s[12:13]
.LBB13_164:                             ; =>This Inner Loop Header: Depth=1
	s_clause 0x1
	s_load_b256 s[36:43], s[14:15], 0x4
	s_load_b128 s[44:47], s[14:15], 0x24
	s_load_b128 s[48:51], s[16:17], 0x0
	s_add_u32 s14, s14, 48
	s_addc_u32 s15, s15, 0
	s_add_i32 s30, s30, 4
	s_add_u32 s16, s16, 16
	s_addc_u32 s17, s17, 0
	s_cmp_eq_u32 s28, s30
	s_waitcnt lgkmcnt(0)
	v_mul_hi_u32 v2, s37, v1
	s_delay_alu instid0(VALU_DEP_1) | instskip(NEXT) | instid1(VALU_DEP_1)
	v_add_nc_u32_e32 v2, v1, v2
	v_lshrrev_b32_e32 v2, s38, v2
	s_delay_alu instid0(VALU_DEP_1) | instskip(SKIP_1) | instid1(VALU_DEP_2)
	v_mul_hi_u32 v3, s40, v2
	v_mul_lo_u32 v7, v2, s36
	v_add_nc_u32_e32 v3, v2, v3
	s_delay_alu instid0(VALU_DEP_2) | instskip(NEXT) | instid1(VALU_DEP_2)
	v_sub_nc_u32_e32 v7, v1, v7
	v_lshrrev_b32_e32 v3, s41, v3
	s_delay_alu instid0(VALU_DEP_2) | instskip(NEXT) | instid1(VALU_DEP_2)
	v_mul_lo_u32 v7, v7, s48
	v_mul_hi_u32 v4, s43, v3
	v_mul_lo_u32 v8, v3, s39
	s_delay_alu instid0(VALU_DEP_2) | instskip(NEXT) | instid1(VALU_DEP_2)
	v_add_nc_u32_e32 v4, v3, v4
	v_sub_nc_u32_e32 v2, v2, v8
	s_delay_alu instid0(VALU_DEP_2) | instskip(NEXT) | instid1(VALU_DEP_2)
	v_lshrrev_b32_e32 v4, s44, v4
	v_mul_lo_u32 v2, v2, s49
	s_delay_alu instid0(VALU_DEP_2) | instskip(NEXT) | instid1(VALU_DEP_2)
	v_mul_hi_u32 v5, s46, v4
	v_add3_u32 v0, v7, v0, v2
	s_delay_alu instid0(VALU_DEP_2) | instskip(NEXT) | instid1(VALU_DEP_1)
	v_add_nc_u32_e32 v5, v4, v5
	v_lshrrev_b32_e32 v1, s47, v5
	v_mul_lo_u32 v5, v4, s42
	s_delay_alu instid0(VALU_DEP_2) | instskip(NEXT) | instid1(VALU_DEP_2)
	v_mul_lo_u32 v9, v1, s45
	v_sub_nc_u32_e32 v3, v3, v5
	s_delay_alu instid0(VALU_DEP_2) | instskip(NEXT) | instid1(VALU_DEP_2)
	v_sub_nc_u32_e32 v4, v4, v9
	v_mul_lo_u32 v3, v3, s50
	s_delay_alu instid0(VALU_DEP_2) | instskip(NEXT) | instid1(VALU_DEP_1)
	v_mul_lo_u32 v4, v4, s51
	v_add3_u32 v0, v3, v0, v4
	s_cbranch_scc0 .LBB13_164
	s_branch .LBB13_182
.LBB13_165:
                                        ; implicit-def: $vgpr0
	s_branch .LBB13_186
.LBB13_166:
	v_mov_b32_e32 v1, v6
.LBB13_167:
	s_and_b32 s29, s29, 3
	s_delay_alu instid0(SALU_CYCLE_1)
	s_cmp_eq_u32 s29, 0
	s_cbranch_scc1 .LBB13_170
; %bb.168:
	s_lshl_b32 s14, s28, 2
	s_mul_i32 s16, s28, 12
	s_add_u32 s14, s14, s0
	s_addc_u32 s15, s1, 0
	s_add_u32 s14, s14, 0xc4
	s_addc_u32 s15, s15, 0
	s_add_u32 s16, s0, s16
	s_addc_u32 s17, s1, 0
	.p2align	6
.LBB13_169:                             ; =>This Inner Loop Header: Depth=1
	s_clause 0x1
	s_load_b64 s[30:31], s[16:17], 0x4
	s_load_b32 s28, s[16:17], 0xc
	s_add_u32 s16, s16, 12
	s_addc_u32 s17, s17, 0
	s_waitcnt lgkmcnt(0)
	v_mul_hi_u32 v2, s31, v1
	s_load_b32 s31, s[14:15], 0x0
	s_add_u32 s14, s14, 4
	s_addc_u32 s15, s15, 0
	s_add_i32 s29, s29, -1
	s_delay_alu instid0(SALU_CYCLE_1) | instskip(NEXT) | instid1(VALU_DEP_1)
	s_cmp_lg_u32 s29, 0
	v_add_nc_u32_e32 v2, v1, v2
	s_delay_alu instid0(VALU_DEP_1) | instskip(NEXT) | instid1(VALU_DEP_1)
	v_lshrrev_b32_e32 v4, s28, v2
	v_mul_lo_u32 v2, v4, s30
	s_delay_alu instid0(VALU_DEP_1) | instskip(SKIP_1) | instid1(VALU_DEP_1)
	v_sub_nc_u32_e32 v1, v1, v2
	s_waitcnt lgkmcnt(0)
	v_mad_u64_u32 v[2:3], null, v1, s31, v[0:1]
	s_delay_alu instid0(VALU_DEP_1)
	v_dual_mov_b32 v1, v4 :: v_dual_mov_b32 v0, v2
	s_cbranch_scc1 .LBB13_169
.LBB13_170:
	s_cbranch_execnz .LBB13_173
.LBB13_171:
	s_waitcnt lgkmcnt(0)
	v_mul_hi_u32 v0, s5, v6
	s_and_not1_b32 vcc_lo, exec_lo, s23
	s_delay_alu instid0(VALU_DEP_1) | instskip(NEXT) | instid1(VALU_DEP_1)
	v_add_nc_u32_e32 v0, v6, v0
	v_lshrrev_b32_e32 v1, s6, v0
	s_delay_alu instid0(VALU_DEP_1) | instskip(NEXT) | instid1(VALU_DEP_1)
	v_mul_lo_u32 v0, v1, s4
	v_sub_nc_u32_e32 v0, v6, v0
	s_delay_alu instid0(VALU_DEP_1)
	v_mul_lo_u32 v0, v0, s8
	s_cbranch_vccnz .LBB13_173
; %bb.172:
	v_mul_hi_u32 v2, s10, v1
	s_delay_alu instid0(VALU_DEP_1) | instskip(NEXT) | instid1(VALU_DEP_1)
	v_add_nc_u32_e32 v2, v1, v2
	v_lshrrev_b32_e32 v2, s11, v2
	s_delay_alu instid0(VALU_DEP_1) | instskip(NEXT) | instid1(VALU_DEP_1)
	v_mul_lo_u32 v2, v2, s7
	v_sub_nc_u32_e32 v3, v1, v2
	s_delay_alu instid0(VALU_DEP_1) | instskip(NEXT) | instid1(VALU_DEP_1)
	v_mad_u64_u32 v[1:2], null, v3, s9, v[0:1]
	v_mov_b32_e32 v0, v1
.LBB13_173:
	s_waitcnt lgkmcnt(0)
	v_dual_mov_b32 v1, s22 :: v_dual_add_nc_u32 v6, 0x80, v6
	global_store_b8 v0, v1, s[2:3]
	s_or_b32 exec_lo, exec_lo, s27
	s_delay_alu instid0(SALU_CYCLE_1)
	s_mov_b32 s27, exec_lo
	v_cmpx_gt_i32_e64 s24, v6
	s_cbranch_execnz .LBB13_160
.LBB13_174:
	s_or_b32 exec_lo, exec_lo, s27
	s_delay_alu instid0(SALU_CYCLE_1)
	s_mov_b32 s27, exec_lo
	v_cmpx_gt_i32_e64 s24, v6
	s_cbranch_execz .LBB13_189
.LBB13_175:
	s_and_not1_b32 vcc_lo, exec_lo, s20
	s_cbranch_vccnz .LBB13_180
; %bb.176:
	v_mov_b32_e32 v0, 0
	s_and_not1_b32 vcc_lo, exec_lo, s26
	s_cbranch_vccnz .LBB13_200
; %bb.177:
	s_add_i32 s29, s25, 1
	s_cmp_eq_u32 s19, 2
	s_mov_b32 s28, 0
	s_cbranch_scc1 .LBB13_196
; %bb.178:
	v_dual_mov_b32 v0, 0 :: v_dual_mov_b32 v1, v6
	s_and_b32 s28, s29, 28
	s_mov_b32 s30, 0
	s_mov_b64 s[14:15], s[0:1]
	s_mov_b64 s[16:17], s[12:13]
.LBB13_179:                             ; =>This Inner Loop Header: Depth=1
	s_clause 0x1
	s_load_b256 s[36:43], s[14:15], 0x4
	s_load_b128 s[44:47], s[14:15], 0x24
	s_load_b128 s[48:51], s[16:17], 0x0
	s_add_u32 s14, s14, 48
	s_addc_u32 s15, s15, 0
	s_add_i32 s30, s30, 4
	s_add_u32 s16, s16, 16
	s_addc_u32 s17, s17, 0
	s_cmp_eq_u32 s28, s30
	s_waitcnt lgkmcnt(0)
	v_mul_hi_u32 v2, s37, v1
	s_delay_alu instid0(VALU_DEP_1) | instskip(NEXT) | instid1(VALU_DEP_1)
	v_add_nc_u32_e32 v2, v1, v2
	v_lshrrev_b32_e32 v2, s38, v2
	s_delay_alu instid0(VALU_DEP_1) | instskip(SKIP_1) | instid1(VALU_DEP_2)
	v_mul_hi_u32 v3, s40, v2
	v_mul_lo_u32 v7, v2, s36
	v_add_nc_u32_e32 v3, v2, v3
	s_delay_alu instid0(VALU_DEP_2) | instskip(NEXT) | instid1(VALU_DEP_2)
	v_sub_nc_u32_e32 v7, v1, v7
	v_lshrrev_b32_e32 v3, s41, v3
	s_delay_alu instid0(VALU_DEP_2) | instskip(NEXT) | instid1(VALU_DEP_2)
	v_mul_lo_u32 v7, v7, s48
	v_mul_hi_u32 v4, s43, v3
	v_mul_lo_u32 v8, v3, s39
	s_delay_alu instid0(VALU_DEP_2) | instskip(NEXT) | instid1(VALU_DEP_2)
	v_add_nc_u32_e32 v4, v3, v4
	v_sub_nc_u32_e32 v2, v2, v8
	s_delay_alu instid0(VALU_DEP_2) | instskip(NEXT) | instid1(VALU_DEP_2)
	v_lshrrev_b32_e32 v4, s44, v4
	v_mul_lo_u32 v2, v2, s49
	s_delay_alu instid0(VALU_DEP_2) | instskip(NEXT) | instid1(VALU_DEP_2)
	v_mul_hi_u32 v5, s46, v4
	v_add3_u32 v0, v7, v0, v2
	s_delay_alu instid0(VALU_DEP_2) | instskip(NEXT) | instid1(VALU_DEP_1)
	v_add_nc_u32_e32 v5, v4, v5
	v_lshrrev_b32_e32 v1, s47, v5
	v_mul_lo_u32 v5, v4, s42
	s_delay_alu instid0(VALU_DEP_2) | instskip(NEXT) | instid1(VALU_DEP_2)
	v_mul_lo_u32 v9, v1, s45
	v_sub_nc_u32_e32 v3, v3, v5
	s_delay_alu instid0(VALU_DEP_2) | instskip(NEXT) | instid1(VALU_DEP_2)
	v_sub_nc_u32_e32 v4, v4, v9
	v_mul_lo_u32 v3, v3, s50
	s_delay_alu instid0(VALU_DEP_2) | instskip(NEXT) | instid1(VALU_DEP_1)
	v_mul_lo_u32 v4, v4, s51
	v_add3_u32 v0, v3, v0, v4
	s_cbranch_scc0 .LBB13_179
	s_branch .LBB13_197
.LBB13_180:
                                        ; implicit-def: $vgpr0
	s_branch .LBB13_201
.LBB13_181:
	v_mov_b32_e32 v1, v6
.LBB13_182:
	s_and_b32 s29, s29, 3
	s_delay_alu instid0(SALU_CYCLE_1)
	s_cmp_eq_u32 s29, 0
	s_cbranch_scc1 .LBB13_185
; %bb.183:
	s_lshl_b32 s14, s28, 2
	s_mul_i32 s16, s28, 12
	s_add_u32 s14, s14, s0
	s_addc_u32 s15, s1, 0
	s_add_u32 s14, s14, 0xc4
	s_addc_u32 s15, s15, 0
	;; [unrolled: 2-line block ×3, first 2 shown]
	.p2align	6
.LBB13_184:                             ; =>This Inner Loop Header: Depth=1
	s_clause 0x1
	s_load_b64 s[30:31], s[16:17], 0x4
	s_load_b32 s28, s[16:17], 0xc
	s_add_u32 s16, s16, 12
	s_addc_u32 s17, s17, 0
	s_waitcnt lgkmcnt(0)
	v_mul_hi_u32 v2, s31, v1
	s_load_b32 s31, s[14:15], 0x0
	s_add_u32 s14, s14, 4
	s_addc_u32 s15, s15, 0
	s_add_i32 s29, s29, -1
	s_delay_alu instid0(SALU_CYCLE_1) | instskip(NEXT) | instid1(VALU_DEP_1)
	s_cmp_lg_u32 s29, 0
	v_add_nc_u32_e32 v2, v1, v2
	s_delay_alu instid0(VALU_DEP_1) | instskip(NEXT) | instid1(VALU_DEP_1)
	v_lshrrev_b32_e32 v4, s28, v2
	v_mul_lo_u32 v2, v4, s30
	s_delay_alu instid0(VALU_DEP_1) | instskip(SKIP_1) | instid1(VALU_DEP_1)
	v_sub_nc_u32_e32 v1, v1, v2
	s_waitcnt lgkmcnt(0)
	v_mad_u64_u32 v[2:3], null, v1, s31, v[0:1]
	s_delay_alu instid0(VALU_DEP_1)
	v_dual_mov_b32 v1, v4 :: v_dual_mov_b32 v0, v2
	s_cbranch_scc1 .LBB13_184
.LBB13_185:
	s_cbranch_execnz .LBB13_188
.LBB13_186:
	s_waitcnt lgkmcnt(0)
	v_mul_hi_u32 v0, s5, v6
	s_and_not1_b32 vcc_lo, exec_lo, s23
	s_delay_alu instid0(VALU_DEP_1) | instskip(NEXT) | instid1(VALU_DEP_1)
	v_add_nc_u32_e32 v0, v6, v0
	v_lshrrev_b32_e32 v1, s6, v0
	s_delay_alu instid0(VALU_DEP_1) | instskip(NEXT) | instid1(VALU_DEP_1)
	v_mul_lo_u32 v0, v1, s4
	v_sub_nc_u32_e32 v0, v6, v0
	s_delay_alu instid0(VALU_DEP_1)
	v_mul_lo_u32 v0, v0, s8
	s_cbranch_vccnz .LBB13_188
; %bb.187:
	v_mul_hi_u32 v2, s10, v1
	s_delay_alu instid0(VALU_DEP_1) | instskip(NEXT) | instid1(VALU_DEP_1)
	v_add_nc_u32_e32 v2, v1, v2
	v_lshrrev_b32_e32 v2, s11, v2
	s_delay_alu instid0(VALU_DEP_1) | instskip(NEXT) | instid1(VALU_DEP_1)
	v_mul_lo_u32 v2, v2, s7
	v_sub_nc_u32_e32 v3, v1, v2
	s_delay_alu instid0(VALU_DEP_1) | instskip(NEXT) | instid1(VALU_DEP_1)
	v_mad_u64_u32 v[1:2], null, v3, s9, v[0:1]
	v_mov_b32_e32 v0, v1
.LBB13_188:
	s_waitcnt lgkmcnt(0)
	v_dual_mov_b32 v1, s22 :: v_dual_add_nc_u32 v6, 0x80, v6
	global_store_b8 v0, v1, s[2:3]
	s_or_b32 exec_lo, exec_lo, s27
	s_delay_alu instid0(SALU_CYCLE_1)
	s_mov_b32 s27, exec_lo
	v_cmpx_gt_i32_e64 s24, v6
	s_cbranch_execnz .LBB13_175
.LBB13_189:
	s_or_b32 exec_lo, exec_lo, s27
	s_delay_alu instid0(SALU_CYCLE_1)
	s_mov_b32 s27, exec_lo
	v_cmpx_gt_i32_e64 s24, v6
	s_cbranch_execz .LBB13_204
.LBB13_190:
	s_and_not1_b32 vcc_lo, exec_lo, s20
	s_cbranch_vccnz .LBB13_195
; %bb.191:
	v_mov_b32_e32 v0, 0
	s_and_not1_b32 vcc_lo, exec_lo, s26
	s_cbranch_vccnz .LBB13_211
; %bb.192:
	s_add_i32 s29, s25, 1
	s_cmp_eq_u32 s19, 2
	s_mov_b32 s28, 0
	s_cbranch_scc1 .LBB13_207
; %bb.193:
	v_dual_mov_b32 v0, 0 :: v_dual_mov_b32 v1, v6
	s_and_b32 s28, s29, 28
	s_mov_b32 s30, 0
	s_mov_b64 s[14:15], s[0:1]
	s_mov_b64 s[16:17], s[12:13]
.LBB13_194:                             ; =>This Inner Loop Header: Depth=1
	s_clause 0x1
	s_load_b256 s[36:43], s[14:15], 0x4
	s_load_b128 s[44:47], s[14:15], 0x24
	s_load_b128 s[48:51], s[16:17], 0x0
	s_add_u32 s14, s14, 48
	s_addc_u32 s15, s15, 0
	s_add_i32 s30, s30, 4
	s_add_u32 s16, s16, 16
	s_addc_u32 s17, s17, 0
	s_cmp_eq_u32 s28, s30
	s_waitcnt lgkmcnt(0)
	v_mul_hi_u32 v2, s37, v1
	s_delay_alu instid0(VALU_DEP_1) | instskip(NEXT) | instid1(VALU_DEP_1)
	v_add_nc_u32_e32 v2, v1, v2
	v_lshrrev_b32_e32 v2, s38, v2
	s_delay_alu instid0(VALU_DEP_1) | instskip(SKIP_1) | instid1(VALU_DEP_2)
	v_mul_hi_u32 v3, s40, v2
	v_mul_lo_u32 v7, v2, s36
	v_add_nc_u32_e32 v3, v2, v3
	s_delay_alu instid0(VALU_DEP_2) | instskip(NEXT) | instid1(VALU_DEP_2)
	v_sub_nc_u32_e32 v7, v1, v7
	v_lshrrev_b32_e32 v3, s41, v3
	s_delay_alu instid0(VALU_DEP_2) | instskip(NEXT) | instid1(VALU_DEP_2)
	v_mul_lo_u32 v7, v7, s48
	v_mul_hi_u32 v4, s43, v3
	v_mul_lo_u32 v8, v3, s39
	s_delay_alu instid0(VALU_DEP_2) | instskip(NEXT) | instid1(VALU_DEP_2)
	v_add_nc_u32_e32 v4, v3, v4
	v_sub_nc_u32_e32 v2, v2, v8
	s_delay_alu instid0(VALU_DEP_2) | instskip(NEXT) | instid1(VALU_DEP_2)
	v_lshrrev_b32_e32 v4, s44, v4
	v_mul_lo_u32 v2, v2, s49
	s_delay_alu instid0(VALU_DEP_2) | instskip(NEXT) | instid1(VALU_DEP_2)
	v_mul_hi_u32 v5, s46, v4
	v_add3_u32 v0, v7, v0, v2
	s_delay_alu instid0(VALU_DEP_2) | instskip(NEXT) | instid1(VALU_DEP_1)
	v_add_nc_u32_e32 v5, v4, v5
	v_lshrrev_b32_e32 v1, s47, v5
	v_mul_lo_u32 v5, v4, s42
	s_delay_alu instid0(VALU_DEP_2) | instskip(NEXT) | instid1(VALU_DEP_2)
	v_mul_lo_u32 v9, v1, s45
	v_sub_nc_u32_e32 v3, v3, v5
	s_delay_alu instid0(VALU_DEP_2) | instskip(NEXT) | instid1(VALU_DEP_2)
	v_sub_nc_u32_e32 v4, v4, v9
	v_mul_lo_u32 v3, v3, s50
	s_delay_alu instid0(VALU_DEP_2) | instskip(NEXT) | instid1(VALU_DEP_1)
	v_mul_lo_u32 v4, v4, s51
	v_add3_u32 v0, v3, v0, v4
	s_cbranch_scc0 .LBB13_194
	s_branch .LBB13_208
.LBB13_195:
                                        ; implicit-def: $vgpr0
	s_branch .LBB13_212
.LBB13_196:
	v_mov_b32_e32 v1, v6
.LBB13_197:
	s_and_b32 s29, s29, 3
	s_delay_alu instid0(SALU_CYCLE_1)
	s_cmp_eq_u32 s29, 0
	s_cbranch_scc1 .LBB13_200
; %bb.198:
	s_lshl_b32 s14, s28, 2
	s_mul_i32 s16, s28, 12
	s_add_u32 s14, s14, s0
	s_addc_u32 s15, s1, 0
	s_add_u32 s14, s14, 0xc4
	s_addc_u32 s15, s15, 0
	;; [unrolled: 2-line block ×3, first 2 shown]
	.p2align	6
.LBB13_199:                             ; =>This Inner Loop Header: Depth=1
	s_clause 0x1
	s_load_b64 s[30:31], s[16:17], 0x4
	s_load_b32 s28, s[16:17], 0xc
	s_add_u32 s16, s16, 12
	s_addc_u32 s17, s17, 0
	s_waitcnt lgkmcnt(0)
	v_mul_hi_u32 v2, s31, v1
	s_load_b32 s31, s[14:15], 0x0
	s_add_u32 s14, s14, 4
	s_addc_u32 s15, s15, 0
	s_add_i32 s29, s29, -1
	s_delay_alu instid0(SALU_CYCLE_1) | instskip(NEXT) | instid1(VALU_DEP_1)
	s_cmp_lg_u32 s29, 0
	v_add_nc_u32_e32 v2, v1, v2
	s_delay_alu instid0(VALU_DEP_1) | instskip(NEXT) | instid1(VALU_DEP_1)
	v_lshrrev_b32_e32 v4, s28, v2
	v_mul_lo_u32 v2, v4, s30
	s_delay_alu instid0(VALU_DEP_1) | instskip(SKIP_1) | instid1(VALU_DEP_1)
	v_sub_nc_u32_e32 v1, v1, v2
	s_waitcnt lgkmcnt(0)
	v_mad_u64_u32 v[2:3], null, v1, s31, v[0:1]
	s_delay_alu instid0(VALU_DEP_1)
	v_dual_mov_b32 v1, v4 :: v_dual_mov_b32 v0, v2
	s_cbranch_scc1 .LBB13_199
.LBB13_200:
	s_cbranch_execnz .LBB13_203
.LBB13_201:
	s_waitcnt lgkmcnt(0)
	v_mul_hi_u32 v0, s5, v6
	s_and_not1_b32 vcc_lo, exec_lo, s23
	s_delay_alu instid0(VALU_DEP_1) | instskip(NEXT) | instid1(VALU_DEP_1)
	v_add_nc_u32_e32 v0, v6, v0
	v_lshrrev_b32_e32 v1, s6, v0
	s_delay_alu instid0(VALU_DEP_1) | instskip(NEXT) | instid1(VALU_DEP_1)
	v_mul_lo_u32 v0, v1, s4
	v_sub_nc_u32_e32 v0, v6, v0
	s_delay_alu instid0(VALU_DEP_1)
	v_mul_lo_u32 v0, v0, s8
	s_cbranch_vccnz .LBB13_203
; %bb.202:
	v_mul_hi_u32 v2, s10, v1
	s_delay_alu instid0(VALU_DEP_1) | instskip(NEXT) | instid1(VALU_DEP_1)
	v_add_nc_u32_e32 v2, v1, v2
	v_lshrrev_b32_e32 v2, s11, v2
	s_delay_alu instid0(VALU_DEP_1) | instskip(NEXT) | instid1(VALU_DEP_1)
	v_mul_lo_u32 v2, v2, s7
	v_sub_nc_u32_e32 v3, v1, v2
	s_delay_alu instid0(VALU_DEP_1) | instskip(NEXT) | instid1(VALU_DEP_1)
	v_mad_u64_u32 v[1:2], null, v3, s9, v[0:1]
	v_mov_b32_e32 v0, v1
.LBB13_203:
	s_waitcnt lgkmcnt(0)
	v_dual_mov_b32 v1, s22 :: v_dual_add_nc_u32 v6, 0x80, v6
	global_store_b8 v0, v1, s[2:3]
	s_or_b32 exec_lo, exec_lo, s27
	s_delay_alu instid0(SALU_CYCLE_1)
	s_mov_b32 s27, exec_lo
	v_cmpx_gt_i32_e64 s24, v6
	s_cbranch_execnz .LBB13_190
.LBB13_204:
	s_or_b32 exec_lo, exec_lo, s27
	s_delay_alu instid0(SALU_CYCLE_1)
	s_mov_b32 s16, exec_lo
	v_cmpx_gt_i32_e64 s24, v6
	s_cbranch_execnz .LBB13_215
.LBB13_205:
	s_or_b32 exec_lo, exec_lo, s16
                                        ; implicit-def: $vgpr8
                                        ; implicit-def: $vgpr6
	s_waitcnt lgkmcnt(0)
	s_and_not1_saveexec_b32 s2, s21
	s_cbranch_execnz .LBB13_8
.LBB13_206:
	s_nop 0
	s_sendmsg sendmsg(MSG_DEALLOC_VGPRS)
	s_endpgm
.LBB13_207:
	v_mov_b32_e32 v1, v6
.LBB13_208:
	s_and_b32 s29, s29, 3
	s_delay_alu instid0(SALU_CYCLE_1)
	s_cmp_eq_u32 s29, 0
	s_cbranch_scc1 .LBB13_211
; %bb.209:
	s_lshl_b32 s14, s28, 2
	s_mul_i32 s16, s28, 12
	s_add_u32 s14, s14, s0
	s_addc_u32 s15, s1, 0
	s_add_u32 s14, s14, 0xc4
	s_addc_u32 s15, s15, 0
	;; [unrolled: 2-line block ×3, first 2 shown]
	.p2align	6
.LBB13_210:                             ; =>This Inner Loop Header: Depth=1
	s_clause 0x1
	s_load_b64 s[30:31], s[16:17], 0x4
	s_load_b32 s28, s[16:17], 0xc
	s_add_u32 s16, s16, 12
	s_addc_u32 s17, s17, 0
	s_waitcnt lgkmcnt(0)
	v_mul_hi_u32 v2, s31, v1
	s_load_b32 s31, s[14:15], 0x0
	s_add_u32 s14, s14, 4
	s_addc_u32 s15, s15, 0
	s_add_i32 s29, s29, -1
	s_delay_alu instid0(SALU_CYCLE_1) | instskip(NEXT) | instid1(VALU_DEP_1)
	s_cmp_lg_u32 s29, 0
	v_add_nc_u32_e32 v2, v1, v2
	s_delay_alu instid0(VALU_DEP_1) | instskip(NEXT) | instid1(VALU_DEP_1)
	v_lshrrev_b32_e32 v4, s28, v2
	v_mul_lo_u32 v2, v4, s30
	s_delay_alu instid0(VALU_DEP_1) | instskip(SKIP_1) | instid1(VALU_DEP_1)
	v_sub_nc_u32_e32 v1, v1, v2
	s_waitcnt lgkmcnt(0)
	v_mad_u64_u32 v[2:3], null, v1, s31, v[0:1]
	s_delay_alu instid0(VALU_DEP_1)
	v_dual_mov_b32 v1, v4 :: v_dual_mov_b32 v0, v2
	s_cbranch_scc1 .LBB13_210
.LBB13_211:
	s_cbranch_execnz .LBB13_214
.LBB13_212:
	s_waitcnt lgkmcnt(0)
	v_mul_hi_u32 v0, s5, v6
	s_and_not1_b32 vcc_lo, exec_lo, s23
	s_delay_alu instid0(VALU_DEP_1) | instskip(NEXT) | instid1(VALU_DEP_1)
	v_add_nc_u32_e32 v0, v6, v0
	v_lshrrev_b32_e32 v1, s6, v0
	s_delay_alu instid0(VALU_DEP_1) | instskip(NEXT) | instid1(VALU_DEP_1)
	v_mul_lo_u32 v0, v1, s4
	v_sub_nc_u32_e32 v0, v6, v0
	s_delay_alu instid0(VALU_DEP_1)
	v_mul_lo_u32 v0, v0, s8
	s_cbranch_vccnz .LBB13_214
; %bb.213:
	v_mul_hi_u32 v2, s10, v1
	s_delay_alu instid0(VALU_DEP_1) | instskip(NEXT) | instid1(VALU_DEP_1)
	v_add_nc_u32_e32 v2, v1, v2
	v_lshrrev_b32_e32 v2, s11, v2
	s_delay_alu instid0(VALU_DEP_1) | instskip(NEXT) | instid1(VALU_DEP_1)
	v_mul_lo_u32 v2, v2, s7
	v_sub_nc_u32_e32 v3, v1, v2
	s_delay_alu instid0(VALU_DEP_1) | instskip(NEXT) | instid1(VALU_DEP_1)
	v_mad_u64_u32 v[1:2], null, v3, s9, v[0:1]
	v_mov_b32_e32 v0, v1
.LBB13_214:
	s_waitcnt lgkmcnt(0)
	v_dual_mov_b32 v1, s22 :: v_dual_add_nc_u32 v6, 0x80, v6
	global_store_b8 v0, v1, s[2:3]
	s_or_b32 exec_lo, exec_lo, s27
	s_delay_alu instid0(SALU_CYCLE_1)
	s_mov_b32 s16, exec_lo
	v_cmpx_gt_i32_e64 s24, v6
	s_cbranch_execz .LBB13_205
.LBB13_215:
	s_and_not1_b32 vcc_lo, exec_lo, s20
	s_cbranch_vccnz .LBB13_220
; %bb.216:
	v_mov_b32_e32 v0, 0
	s_and_not1_b32 vcc_lo, exec_lo, s26
	s_cbranch_vccnz .LBB13_225
; %bb.217:
	s_add_i32 s25, s25, 1
	s_cmp_eq_u32 s19, 2
	s_mov_b32 s17, 0
	s_cbranch_scc1 .LBB13_221
; %bb.218:
	v_dual_mov_b32 v0, 0 :: v_dual_mov_b32 v1, v6
	s_and_b32 s17, s25, 28
	s_mov_b32 s24, 0
	s_mov_b64 s[14:15], s[0:1]
.LBB13_219:                             ; =>This Inner Loop Header: Depth=1
	s_clause 0x1
	s_load_b256 s[36:43], s[14:15], 0x4
	s_load_b128 s[28:31], s[14:15], 0x24
	s_load_b128 s[44:47], s[12:13], 0x0
	s_add_u32 s14, s14, 48
	s_addc_u32 s15, s15, 0
	s_add_i32 s24, s24, 4
	s_add_u32 s12, s12, 16
	s_addc_u32 s13, s13, 0
	s_cmp_eq_u32 s17, s24
	s_waitcnt lgkmcnt(0)
	v_mul_hi_u32 v2, s37, v1
	s_delay_alu instid0(VALU_DEP_1) | instskip(NEXT) | instid1(VALU_DEP_1)
	v_add_nc_u32_e32 v2, v1, v2
	v_lshrrev_b32_e32 v2, s38, v2
	s_delay_alu instid0(VALU_DEP_1) | instskip(SKIP_1) | instid1(VALU_DEP_2)
	v_mul_hi_u32 v3, s40, v2
	v_mul_lo_u32 v7, v2, s36
	v_add_nc_u32_e32 v3, v2, v3
	s_delay_alu instid0(VALU_DEP_2) | instskip(NEXT) | instid1(VALU_DEP_2)
	v_sub_nc_u32_e32 v7, v1, v7
	v_lshrrev_b32_e32 v3, s41, v3
	s_delay_alu instid0(VALU_DEP_2) | instskip(NEXT) | instid1(VALU_DEP_2)
	v_mul_lo_u32 v7, v7, s44
	v_mul_hi_u32 v4, s43, v3
	v_mul_lo_u32 v8, v3, s39
	s_delay_alu instid0(VALU_DEP_2) | instskip(NEXT) | instid1(VALU_DEP_2)
	v_add_nc_u32_e32 v4, v3, v4
	v_sub_nc_u32_e32 v2, v2, v8
	s_delay_alu instid0(VALU_DEP_2) | instskip(NEXT) | instid1(VALU_DEP_2)
	v_lshrrev_b32_e32 v4, s28, v4
	v_mul_lo_u32 v2, v2, s45
	s_delay_alu instid0(VALU_DEP_2) | instskip(NEXT) | instid1(VALU_DEP_2)
	v_mul_hi_u32 v5, s30, v4
	v_add3_u32 v0, v7, v0, v2
	s_delay_alu instid0(VALU_DEP_2) | instskip(NEXT) | instid1(VALU_DEP_1)
	v_add_nc_u32_e32 v5, v4, v5
	v_lshrrev_b32_e32 v1, s31, v5
	v_mul_lo_u32 v5, v4, s42
	s_delay_alu instid0(VALU_DEP_2) | instskip(NEXT) | instid1(VALU_DEP_2)
	v_mul_lo_u32 v9, v1, s29
	v_sub_nc_u32_e32 v3, v3, v5
	s_delay_alu instid0(VALU_DEP_2) | instskip(NEXT) | instid1(VALU_DEP_2)
	v_sub_nc_u32_e32 v4, v4, v9
	v_mul_lo_u32 v3, v3, s46
	s_delay_alu instid0(VALU_DEP_2) | instskip(NEXT) | instid1(VALU_DEP_1)
	v_mul_lo_u32 v4, v4, s47
	v_add3_u32 v0, v3, v0, v4
	s_cbranch_scc0 .LBB13_219
	s_branch .LBB13_222
.LBB13_220:
                                        ; implicit-def: $vgpr0
	s_branch .LBB13_226
.LBB13_221:
	v_mov_b32_e32 v1, v6
.LBB13_222:
	s_and_b32 s24, s25, 3
	s_delay_alu instid0(SALU_CYCLE_1)
	s_cmp_eq_u32 s24, 0
	s_cbranch_scc1 .LBB13_225
; %bb.223:
	s_lshl_b32 s12, s17, 2
	s_mul_i32 s14, s17, 12
	s_add_u32 s12, s12, s0
	s_addc_u32 s13, s1, 0
	s_add_u32 s12, s12, 0xc4
	s_addc_u32 s13, s13, 0
	;; [unrolled: 2-line block ×3, first 2 shown]
	.p2align	6
.LBB13_224:                             ; =>This Inner Loop Header: Depth=1
	s_clause 0x1
	s_load_b64 s[26:27], s[14:15], 0x4
	s_load_b32 s17, s[14:15], 0xc
	s_load_b32 s25, s[12:13], 0x0
	s_add_u32 s14, s14, 12
	s_addc_u32 s15, s15, 0
	s_add_u32 s12, s12, 4
	s_addc_u32 s13, s13, 0
	s_add_i32 s24, s24, -1
	s_delay_alu instid0(SALU_CYCLE_1) | instskip(SKIP_2) | instid1(VALU_DEP_1)
	s_cmp_lg_u32 s24, 0
	s_waitcnt lgkmcnt(0)
	v_mul_hi_u32 v2, s27, v1
	v_add_nc_u32_e32 v2, v1, v2
	s_delay_alu instid0(VALU_DEP_1) | instskip(NEXT) | instid1(VALU_DEP_1)
	v_lshrrev_b32_e32 v4, s17, v2
	v_mul_lo_u32 v2, v4, s26
	s_delay_alu instid0(VALU_DEP_1) | instskip(NEXT) | instid1(VALU_DEP_1)
	v_sub_nc_u32_e32 v1, v1, v2
	v_mad_u64_u32 v[2:3], null, v1, s25, v[0:1]
	s_delay_alu instid0(VALU_DEP_1)
	v_dual_mov_b32 v1, v4 :: v_dual_mov_b32 v0, v2
	s_cbranch_scc1 .LBB13_224
.LBB13_225:
	s_cbranch_execnz .LBB13_228
.LBB13_226:
	s_waitcnt lgkmcnt(0)
	v_mul_hi_u32 v0, s5, v6
	s_and_not1_b32 vcc_lo, exec_lo, s23
	s_delay_alu instid0(VALU_DEP_1) | instskip(NEXT) | instid1(VALU_DEP_1)
	v_add_nc_u32_e32 v0, v6, v0
	v_lshrrev_b32_e32 v1, s6, v0
	s_delay_alu instid0(VALU_DEP_1) | instskip(NEXT) | instid1(VALU_DEP_1)
	v_mul_lo_u32 v0, v1, s4
	v_sub_nc_u32_e32 v0, v6, v0
	s_delay_alu instid0(VALU_DEP_1)
	v_mul_lo_u32 v0, v0, s8
	s_cbranch_vccnz .LBB13_228
; %bb.227:
	v_mul_hi_u32 v2, s10, v1
	s_delay_alu instid0(VALU_DEP_1) | instskip(NEXT) | instid1(VALU_DEP_1)
	v_add_nc_u32_e32 v2, v1, v2
	v_lshrrev_b32_e32 v2, s11, v2
	s_delay_alu instid0(VALU_DEP_1) | instskip(NEXT) | instid1(VALU_DEP_1)
	v_mul_lo_u32 v2, v2, s7
	v_sub_nc_u32_e32 v3, v1, v2
	s_delay_alu instid0(VALU_DEP_1) | instskip(NEXT) | instid1(VALU_DEP_1)
	v_mad_u64_u32 v[1:2], null, v3, s9, v[0:1]
	v_mov_b32_e32 v0, v1
.LBB13_228:
	s_waitcnt lgkmcnt(0)
	v_mov_b32_e32 v1, s22
	global_store_b8 v0, v1, s[2:3]
	s_or_b32 exec_lo, exec_lo, s16
                                        ; implicit-def: $vgpr8
                                        ; implicit-def: $vgpr6
	s_and_not1_saveexec_b32 s2, s21
	s_cbranch_execz .LBB13_206
	s_branch .LBB13_8
	.section	.rodata,"a",@progbits
	.p2align	6, 0x0
	.amdhsa_kernel _ZN2at6native32elementwise_kernel_manual_unrollILi128ELi8EZNS0_22gpu_kernel_impl_nocastINS0_11FillFunctorIaEEEEvRNS_18TensorIteratorBaseERKT_EUlibE_EEviT1_
		.amdhsa_group_segment_fixed_size 0
		.amdhsa_private_segment_fixed_size 0
		.amdhsa_kernarg_size 288
		.amdhsa_user_sgpr_count 15
		.amdhsa_user_sgpr_dispatch_ptr 0
		.amdhsa_user_sgpr_queue_ptr 0
		.amdhsa_user_sgpr_kernarg_segment_ptr 1
		.amdhsa_user_sgpr_dispatch_id 0
		.amdhsa_user_sgpr_private_segment_size 0
		.amdhsa_wavefront_size32 1
		.amdhsa_uses_dynamic_stack 0
		.amdhsa_enable_private_segment 0
		.amdhsa_system_sgpr_workgroup_id_x 1
		.amdhsa_system_sgpr_workgroup_id_y 0
		.amdhsa_system_sgpr_workgroup_id_z 0
		.amdhsa_system_sgpr_workgroup_info 0
		.amdhsa_system_vgpr_workitem_id 0
		.amdhsa_next_free_vgpr 18
		.amdhsa_next_free_sgpr 52
		.amdhsa_reserve_vcc 1
		.amdhsa_float_round_mode_32 0
		.amdhsa_float_round_mode_16_64 0
		.amdhsa_float_denorm_mode_32 3
		.amdhsa_float_denorm_mode_16_64 3
		.amdhsa_dx10_clamp 1
		.amdhsa_ieee_mode 1
		.amdhsa_fp16_overflow 0
		.amdhsa_workgroup_processor_mode 1
		.amdhsa_memory_ordered 1
		.amdhsa_forward_progress 0
		.amdhsa_shared_vgpr_count 0
		.amdhsa_exception_fp_ieee_invalid_op 0
		.amdhsa_exception_fp_denorm_src 0
		.amdhsa_exception_fp_ieee_div_zero 0
		.amdhsa_exception_fp_ieee_overflow 0
		.amdhsa_exception_fp_ieee_underflow 0
		.amdhsa_exception_fp_ieee_inexact 0
		.amdhsa_exception_int_div_zero 0
	.end_amdhsa_kernel
	.section	.text._ZN2at6native32elementwise_kernel_manual_unrollILi128ELi8EZNS0_22gpu_kernel_impl_nocastINS0_11FillFunctorIaEEEEvRNS_18TensorIteratorBaseERKT_EUlibE_EEviT1_,"axG",@progbits,_ZN2at6native32elementwise_kernel_manual_unrollILi128ELi8EZNS0_22gpu_kernel_impl_nocastINS0_11FillFunctorIaEEEEvRNS_18TensorIteratorBaseERKT_EUlibE_EEviT1_,comdat
.Lfunc_end13:
	.size	_ZN2at6native32elementwise_kernel_manual_unrollILi128ELi8EZNS0_22gpu_kernel_impl_nocastINS0_11FillFunctorIaEEEEvRNS_18TensorIteratorBaseERKT_EUlibE_EEviT1_, .Lfunc_end13-_ZN2at6native32elementwise_kernel_manual_unrollILi128ELi8EZNS0_22gpu_kernel_impl_nocastINS0_11FillFunctorIaEEEEvRNS_18TensorIteratorBaseERKT_EUlibE_EEviT1_
                                        ; -- End function
	.section	.AMDGPU.csdata,"",@progbits
; Kernel info:
; codeLenInByte = 11652
; NumSgprs: 54
; NumVgprs: 18
; ScratchSize: 0
; MemoryBound: 0
; FloatMode: 240
; IeeeMode: 1
; LDSByteSize: 0 bytes/workgroup (compile time only)
; SGPRBlocks: 6
; VGPRBlocks: 2
; NumSGPRsForWavesPerEU: 54
; NumVGPRsForWavesPerEU: 18
; Occupancy: 16
; WaveLimiterHint : 1
; COMPUTE_PGM_RSRC2:SCRATCH_EN: 0
; COMPUTE_PGM_RSRC2:USER_SGPR: 15
; COMPUTE_PGM_RSRC2:TRAP_HANDLER: 0
; COMPUTE_PGM_RSRC2:TGID_X_EN: 1
; COMPUTE_PGM_RSRC2:TGID_Y_EN: 0
; COMPUTE_PGM_RSRC2:TGID_Z_EN: 0
; COMPUTE_PGM_RSRC2:TIDIG_COMP_CNT: 0
	.section	.text._ZN2at6native32elementwise_kernel_manual_unrollILi128ELi4EZNS0_15gpu_kernel_implINS0_11FillFunctorIaEEEEvRNS_18TensorIteratorBaseERKT_EUlibE_EEviT1_,"axG",@progbits,_ZN2at6native32elementwise_kernel_manual_unrollILi128ELi4EZNS0_15gpu_kernel_implINS0_11FillFunctorIaEEEEvRNS_18TensorIteratorBaseERKT_EUlibE_EEviT1_,comdat
	.protected	_ZN2at6native32elementwise_kernel_manual_unrollILi128ELi4EZNS0_15gpu_kernel_implINS0_11FillFunctorIaEEEEvRNS_18TensorIteratorBaseERKT_EUlibE_EEviT1_ ; -- Begin function _ZN2at6native32elementwise_kernel_manual_unrollILi128ELi4EZNS0_15gpu_kernel_implINS0_11FillFunctorIaEEEEvRNS_18TensorIteratorBaseERKT_EUlibE_EEviT1_
	.globl	_ZN2at6native32elementwise_kernel_manual_unrollILi128ELi4EZNS0_15gpu_kernel_implINS0_11FillFunctorIaEEEEvRNS_18TensorIteratorBaseERKT_EUlibE_EEviT1_
	.p2align	8
	.type	_ZN2at6native32elementwise_kernel_manual_unrollILi128ELi4EZNS0_15gpu_kernel_implINS0_11FillFunctorIaEEEEvRNS_18TensorIteratorBaseERKT_EUlibE_EEviT1_,@function
_ZN2at6native32elementwise_kernel_manual_unrollILi128ELi4EZNS0_15gpu_kernel_implINS0_11FillFunctorIaEEEEvRNS_18TensorIteratorBaseERKT_EUlibE_EEviT1_: ; @_ZN2at6native32elementwise_kernel_manual_unrollILi128ELi4EZNS0_15gpu_kernel_implINS0_11FillFunctorIaEEEEvRNS_18TensorIteratorBaseERKT_EUlibE_EEviT1_
; %bb.0:
	s_clause 0x1
	s_load_b128 s[4:7], s[0:1], 0x8
	s_load_b32 s28, s[0:1], 0x0
	v_lshl_or_b32 v18, s15, 9, v0
	s_mov_b32 s3, 0
	s_mov_b32 s1, 0
	s_mov_b32 s0, exec_lo
	s_delay_alu instid0(VALU_DEP_1) | instskip(SKIP_2) | instid1(VALU_DEP_2)
	v_or_b32_e32 v0, 0x180, v18
	s_waitcnt lgkmcnt(0)
	v_lshrrev_b16 v10, 8, s7
	v_cmpx_le_i32_e64 s28, v0
	s_xor_b32 s2, exec_lo, s0
	s_cbranch_execz .LBB14_151
; %bb.1:
	s_bfe_i32 s8, s7, 0x80000
	v_and_b32_e64 v3, 0xff, s7
	s_sext_i32_i16 s1, s8
	s_sext_i32_i8 s9, s7
	v_cvt_f32_i32_e32 v4, s1
	s_mov_b32 s31, 0
	s_mov_b32 s33, -1
	s_mov_b32 s29, 0
	s_mov_b32 s30, exec_lo
	v_bfe_u32 v2, v4, 23, 8
	v_dual_mov_b32 v5, s7 :: v_dual_and_b32 v0, 0x3fffff, v4
	v_and_b32_e32 v1, 0x400000, v4
	v_readfirstlane_b32 s11, v4
	v_add_f32_e64 v17, 0x46000000, |v4|
	s_delay_alu instid0(VALU_DEP_4)
	v_or_b32_e32 v0, v2, v0
	v_add_f32_e64 v16, 0x42800000, |v4|
	v_cmp_ne_u32_e32 vcc_lo, 0, v1
	s_and_b32 s14, s11, 0x7fffffff
	v_bfe_i32 v6, v5, 0, 8
	v_cmp_ne_u32_e64 s0, 0, v0
	v_cvt_f64_i32_e32 v[0:1], s1
	v_lshrrev_b32_e32 v5, 23, v4
	v_bfe_u32 v11, v4, 16, 1
	v_lshrrev_b32_e32 v8, 24, v4
	s_and_b32 s12, vcc_lo, s0
	s_cmp_lt_u32 s14, 0x43800000
	v_readfirstlane_b32 s0, v17
	s_cselect_b32 s24, -1, 0
	s_cmp_gt_u32 s14, 0x3bffffff
	v_add_f32_e64 v9, 0x46800000, |v4|
	s_cselect_b32 s20, -1, 0
	s_bfe_u32 s10, s11, 0x10014
	s_and_b32 s0, s0, 0xff
	s_add_i32 s1, s11, s10
	v_cmp_ne_u16_e32 vcc_lo, 0, v3
	s_add_i32 s10, s1, 0x487ffff
	v_ashrrev_i32_e32 v7, 31, v6
	s_lshr_b32 s26, s10, 20
	s_cmp_lg_u32 s0, 0
	v_readfirstlane_b32 s0, v16
	s_cselect_b32 s27, -1, 0
	s_cmp_gt_u32 s14, 0x477fffff
	v_and_b32_e32 v15, 0x80, v8
	s_cselect_b32 s10, -1, 0
	s_cmp_lt_u32 s14, 0x47800000
	v_readfirstlane_b32 s19, v9
	s_cselect_b32 s23, -1, 0
	s_cmp_gt_u32 s14, 0x37ffffff
	v_cndmask_b32_e64 v13, 0, 1, vcc_lo
	s_cselect_b32 s17, -1, 0
	s_bfe_u32 s13, s11, 0x10015
	s_and_b32 s0, s0, 0xff
	s_add_i32 s16, s11, s13
	s_delay_alu instid0(SALU_CYCLE_1) | instskip(NEXT) | instid1(SALU_CYCLE_1)
	s_add_i32 s11, s16, 0x88fffff
	s_lshr_b32 s21, s11, 21
	s_cmp_lg_u32 s0, 0
	v_cmp_eq_u32_e64 s0, 0xff, v2
	s_cselect_b32 s25, -1, 0
	s_cmp_gt_u32 s14, 0x43efffff
	v_cndmask_b32_e64 v2, 0, 1, s12
	s_cselect_b32 s13, -1, 0
	s_cmp_lt_u32 s14, 0x3c800000
	s_cselect_b32 s15, -1, 0
	s_add_i32 s1, s1, 0x407ffff
	v_add_nc_u32_e32 v19, v5, v2
	s_and_b32 s11, s1, 0xff00000
	v_add_nc_u32_e32 v2, v4, v11
	s_lshr_b32 s1, s1, 20
	s_cmp_lg_u32 s11, 0x7f00000
	v_add_f32_e64 v5, 0x43000000, |v4|
	s_cselect_b32 s18, s1, 0x7e
	s_cmp_lt_u32 s14, 0x38800000
	v_add_nc_u32_e32 v2, 0x7fff, v2
	v_cvt_f16_i16_e32 v11, s8
	s_cselect_b32 s11, -1, 0
	s_add_i32 s16, s16, 0x80fffff
	s_movk_i32 s1, 0x7f
	s_lshr_b32 s12, s16, 21
	s_cmp_gt_u32 s14, 0x7f800000
	v_readfirstlane_b32 s14, v5
	v_lshrrev_b32_e32 v14, 16, v2
	v_and_b32_e32 v12, 0xffff, v11
	s_cselect_b32 s22, s1, 0x7e
	s_movk_i32 s1, 0x7c
	s_delay_alu instid0(SALU_CYCLE_1)
	s_cselect_b32 s16, 0x7f, s1
	v_cmpx_gt_i32_e64 s28, v18
	s_cbranch_execz .LBB14_100
; %bb.2:
	v_mul_lo_u32 v2, v18, s6
	v_cmp_gt_i16_e32 vcc_lo, 11, v10
	s_delay_alu instid0(VALU_DEP_2) | instskip(SKIP_1) | instid1(VALU_DEP_1)
	v_ashrrev_i32_e32 v3, 31, v2
	v_add_co_u32 v8, s1, s4, v2
	v_add_co_ci_u32_e64 v9, s1, s5, v3, s1
	s_cbranch_vccnz .LBB14_9
; %bb.3:
	v_cmp_lt_i16_e32 vcc_lo, 25, v10
	s_cbranch_vccz .LBB14_12
; %bb.4:
	v_cmp_lt_i16_e32 vcc_lo, 28, v10
	s_cbranch_vccz .LBB14_13
	;; [unrolled: 3-line block ×4, first 2 shown]
; %bb.7:
	v_cmp_eq_u16_e32 vcc_lo, 46, v10
	s_mov_b32 s33, 0
	s_mov_b32 s1, -1
	s_cbranch_vccz .LBB14_16
; %bb.8:
	s_mov_b32 s29, -1
	s_mov_b32 s1, 0
	global_store_b32 v[8:9], v14, off
	s_branch .LBB14_16
.LBB14_9:
	s_mov_b32 s1, 0
	s_and_b32 vcc_lo, exec_lo, s33
	s_cbranch_vccnz .LBB14_60
.LBB14_10:
	s_and_not1_b32 vcc_lo, exec_lo, s29
	s_cbranch_vccnz .LBB14_98
.LBB14_11:
	v_add_nc_u32_e32 v18, 0x80, v18
	s_mov_b32 s33, -1
	s_branch .LBB14_99
.LBB14_12:
	s_mov_b32 s1, 0
	s_and_b32 vcc_lo, exec_lo, s33
	s_cbranch_vccnz .LBB14_38
	s_branch .LBB14_59
.LBB14_13:
	s_mov_b32 s1, 0
	s_branch .LBB14_24
.LBB14_14:
	s_mov_b32 s1, 0
	s_branch .LBB14_20
.LBB14_15:
	s_mov_b32 s1, 0
.LBB14_16:
	s_and_b32 vcc_lo, exec_lo, s33
	s_cbranch_vccz .LBB14_19
; %bb.17:
	v_cmp_eq_u16_e32 vcc_lo, 44, v10
	s_mov_b32 s1, -1
	s_cbranch_vccz .LBB14_19
; %bb.18:
	v_cndmask_b32_e64 v2, v19, 0xff, s0
	s_mov_b32 s29, -1
	s_mov_b32 s1, 0
	s_mov_b32 s33, 0
	global_store_b8 v[8:9], v2, off
	s_branch .LBB14_20
.LBB14_19:
	s_mov_b32 s33, 0
.LBB14_20:
	s_delay_alu instid0(SALU_CYCLE_1)
	s_and_b32 vcc_lo, exec_lo, s33
	s_cbranch_vccz .LBB14_23
; %bb.21:
	v_cmp_eq_u16_e32 vcc_lo, 29, v10
	s_mov_b32 s1, -1
	s_cbranch_vccz .LBB14_23
; %bb.22:
	s_mov_b32 s29, -1
	s_mov_b32 s1, 0
	global_store_b64 v[8:9], v[6:7], off
.LBB14_23:
	s_mov_b32 s33, 0
.LBB14_24:
	s_delay_alu instid0(SALU_CYCLE_1)
	s_and_b32 vcc_lo, exec_lo, s33
	s_cbranch_vccz .LBB14_37
; %bb.25:
	v_cmp_gt_i16_e32 vcc_lo, 27, v10
	s_mov_b32 s29, -1
	s_cbranch_vccnz .LBB14_31
; %bb.26:
	v_cmp_lt_i16_e32 vcc_lo, 27, v10
	s_cbranch_vccz .LBB14_28
; %bb.27:
	v_mov_b32_e32 v2, s9
	s_mov_b32 s29, 0
	global_store_b32 v[8:9], v2, off
.LBB14_28:
	s_and_not1_b32 vcc_lo, exec_lo, s29
	s_cbranch_vccnz .LBB14_30
; %bb.29:
	v_mov_b32_e32 v2, s8
	global_store_b16 v[8:9], v2, off
.LBB14_30:
	s_mov_b32 s29, 0
.LBB14_31:
	s_delay_alu instid0(SALU_CYCLE_1)
	s_and_not1_b32 vcc_lo, exec_lo, s29
	s_cbranch_vccnz .LBB14_36
; %bb.32:
	v_mov_b32_e32 v2, 0x80
	s_and_not1_b32 vcc_lo, exec_lo, s24
	s_cbranch_vccnz .LBB14_35
; %bb.33:
	v_mov_b32_e32 v2, 0
	s_or_b32 s29, s20, s27
	s_delay_alu instid0(SALU_CYCLE_1)
	s_and_not1_b32 vcc_lo, exec_lo, s29
	s_cbranch_vccnz .LBB14_35
; %bb.34:
	v_cndmask_b32_e64 v2, v17, s26, s20
	s_delay_alu instid0(VALU_DEP_1)
	v_or_b32_e32 v2, v2, v15
.LBB14_35:
	global_store_b8 v[8:9], v2, off
.LBB14_36:
	s_mov_b32 s29, -1
.LBB14_37:
	s_branch .LBB14_59
.LBB14_38:
	v_cmp_lt_i16_e32 vcc_lo, 22, v10
	s_mov_b32 s33, -1
	s_cbranch_vccz .LBB14_51
; %bb.39:
	v_cmp_gt_i16_e32 vcc_lo, 24, v10
	s_mov_b32 s29, -1
	s_cbranch_vccnz .LBB14_48
; %bb.40:
	v_cmp_lt_i16_e32 vcc_lo, 24, v10
	s_cbranch_vccz .LBB14_45
; %bb.41:
	v_mov_b32_e32 v2, 0x80
	s_and_not1_b32 vcc_lo, exec_lo, s23
	s_cbranch_vccnz .LBB14_44
; %bb.42:
	v_mov_b32_e32 v2, 0
	s_or_b32 s29, s17, s25
	s_delay_alu instid0(SALU_CYCLE_1)
	s_and_not1_b32 vcc_lo, exec_lo, s29
	s_cbranch_vccnz .LBB14_44
; %bb.43:
	v_cndmask_b32_e64 v2, v16, s21, s17
	s_delay_alu instid0(VALU_DEP_1)
	v_or_b32_e32 v2, v2, v15
.LBB14_44:
	s_mov_b32 s29, 0
	global_store_b8 v[8:9], v2, off
.LBB14_45:
	s_and_b32 vcc_lo, exec_lo, s29
	s_cbranch_vccz .LBB14_47
; %bb.46:
	s_and_b32 s29, s15, exec_lo
	s_cselect_b32 s29, s19, s18
	s_and_b32 s33, s13, exec_lo
	s_cselect_b32 s29, s22, s29
	s_delay_alu instid0(SALU_CYCLE_1)
	v_or_b32_e32 v2, s29, v15
	global_store_b8 v[8:9], v2, off
.LBB14_47:
	s_mov_b32 s29, 0
.LBB14_48:
	s_delay_alu instid0(SALU_CYCLE_1)
	s_and_not1_b32 vcc_lo, exec_lo, s29
	s_cbranch_vccnz .LBB14_50
; %bb.49:
	s_and_b32 s29, s11, exec_lo
	s_cselect_b32 s29, s14, s12
	s_and_b32 s33, s10, exec_lo
	s_cselect_b32 s29, s16, s29
	s_delay_alu instid0(SALU_CYCLE_1)
	v_or_b32_e32 v2, s29, v15
	global_store_b8 v[8:9], v2, off
.LBB14_50:
	s_mov_b32 s33, 0
	s_mov_b32 s29, -1
.LBB14_51:
	s_and_not1_b32 vcc_lo, exec_lo, s33
	s_cbranch_vccnz .LBB14_59
; %bb.52:
	v_cmp_lt_i16_e32 vcc_lo, 14, v10
	s_mov_b32 s33, -1
	s_cbranch_vccz .LBB14_56
; %bb.53:
	v_cmp_eq_u16_e32 vcc_lo, 15, v10
	s_mov_b32 s1, -1
	s_cbranch_vccz .LBB14_55
; %bb.54:
	s_mov_b32 s29, -1
	s_mov_b32 s1, 0
	global_store_b16 v[8:9], v14, off
.LBB14_55:
	s_mov_b32 s33, 0
.LBB14_56:
	s_delay_alu instid0(SALU_CYCLE_1)
	s_and_b32 vcc_lo, exec_lo, s33
	s_cbranch_vccz .LBB14_59
; %bb.57:
	v_cmp_eq_u16_e32 vcc_lo, 11, v10
	s_mov_b32 s1, -1
	s_cbranch_vccz .LBB14_59
; %bb.58:
	s_mov_b32 s29, -1
	s_mov_b32 s1, 0
	global_store_b8 v[8:9], v13, off
.LBB14_59:
	s_branch .LBB14_10
.LBB14_60:
	v_cmp_gt_i16_e32 vcc_lo, 5, v10
	s_mov_b32 s29, -1
	s_cbranch_vccnz .LBB14_81
; %bb.61:
	v_cmp_gt_i16_e32 vcc_lo, 8, v10
	s_cbranch_vccnz .LBB14_71
; %bb.62:
	v_cmp_gt_i16_e32 vcc_lo, 9, v10
	s_cbranch_vccnz .LBB14_68
; %bb.63:
	v_cmp_lt_i16_e32 vcc_lo, 9, v10
	s_cbranch_vccz .LBB14_65
; %bb.64:
	v_mov_b32_e32 v2, 0
	s_mov_b32 s29, 0
	s_delay_alu instid0(VALU_DEP_1)
	v_mov_b32_e32 v3, v2
	global_store_b128 v[8:9], v[0:3], off
.LBB14_65:
	s_and_not1_b32 vcc_lo, exec_lo, s29
	s_cbranch_vccnz .LBB14_67
; %bb.66:
	v_mov_b32_e32 v5, 0
	global_store_b64 v[8:9], v[4:5], off
.LBB14_67:
	s_mov_b32 s29, 0
.LBB14_68:
	s_delay_alu instid0(SALU_CYCLE_1)
	s_and_not1_b32 vcc_lo, exec_lo, s29
	s_cbranch_vccnz .LBB14_70
; %bb.69:
	global_store_b32 v[8:9], v12, off
.LBB14_70:
	s_mov_b32 s29, 0
.LBB14_71:
	s_delay_alu instid0(SALU_CYCLE_1)
	s_and_not1_b32 vcc_lo, exec_lo, s29
	s_cbranch_vccnz .LBB14_80
; %bb.72:
	v_cmp_gt_i16_e32 vcc_lo, 6, v10
	s_mov_b32 s29, -1
	s_cbranch_vccnz .LBB14_78
; %bb.73:
	v_cmp_lt_i16_e32 vcc_lo, 6, v10
	s_cbranch_vccz .LBB14_75
; %bb.74:
	s_mov_b32 s29, 0
	global_store_b64 v[8:9], v[0:1], off
.LBB14_75:
	s_and_not1_b32 vcc_lo, exec_lo, s29
	s_cbranch_vccnz .LBB14_77
; %bb.76:
	global_store_b32 v[8:9], v4, off
.LBB14_77:
	s_mov_b32 s29, 0
.LBB14_78:
	s_delay_alu instid0(SALU_CYCLE_1)
	s_and_not1_b32 vcc_lo, exec_lo, s29
	s_cbranch_vccnz .LBB14_80
; %bb.79:
	global_store_b16 v[8:9], v11, off
.LBB14_80:
	s_mov_b32 s29, 0
.LBB14_81:
	s_delay_alu instid0(SALU_CYCLE_1)
	s_and_not1_b32 vcc_lo, exec_lo, s29
	s_cbranch_vccnz .LBB14_97
; %bb.82:
	v_cmp_gt_i16_e32 vcc_lo, 2, v10
	s_mov_b32 s29, -1
	s_cbranch_vccnz .LBB14_92
; %bb.83:
	v_cmp_gt_i16_e32 vcc_lo, 3, v10
	s_cbranch_vccnz .LBB14_89
; %bb.84:
	v_cmp_lt_i16_e32 vcc_lo, 3, v10
	s_cbranch_vccz .LBB14_86
; %bb.85:
	s_mov_b32 s29, 0
	global_store_b64 v[8:9], v[6:7], off
.LBB14_86:
	s_and_not1_b32 vcc_lo, exec_lo, s29
	s_cbranch_vccnz .LBB14_88
; %bb.87:
	v_mov_b32_e32 v2, s9
	global_store_b32 v[8:9], v2, off
.LBB14_88:
	s_mov_b32 s29, 0
.LBB14_89:
	s_delay_alu instid0(SALU_CYCLE_1)
	s_and_not1_b32 vcc_lo, exec_lo, s29
	s_cbranch_vccnz .LBB14_91
; %bb.90:
	v_mov_b32_e32 v2, s8
	global_store_b16 v[8:9], v2, off
.LBB14_91:
	s_mov_b32 s29, 0
.LBB14_92:
	s_delay_alu instid0(SALU_CYCLE_1)
	s_and_not1_b32 vcc_lo, exec_lo, s29
	s_cbranch_vccnz .LBB14_97
; %bb.93:
	v_cmp_lt_i16_e32 vcc_lo, 0, v10
	s_mov_b32 s29, -1
	s_cbranch_vccz .LBB14_95
; %bb.94:
	v_mov_b32_e32 v2, s7
	s_mov_b32 s29, 0
	global_store_b8 v[8:9], v2, off
.LBB14_95:
	s_and_not1_b32 vcc_lo, exec_lo, s29
	s_cbranch_vccnz .LBB14_97
; %bb.96:
	v_mov_b32_e32 v2, s7
	global_store_b8 v[8:9], v2, off
.LBB14_97:
	s_branch .LBB14_11
.LBB14_98:
	s_mov_b32 s33, 0
                                        ; implicit-def: $vgpr18
.LBB14_99:
	s_and_b32 s29, s1, exec_lo
	s_or_not1_b32 s33, s33, exec_lo
.LBB14_100:
	s_or_b32 exec_lo, exec_lo, s30
	s_mov_b32 s1, 0
                                        ; implicit-def: $vgpr8_vgpr9
	s_and_saveexec_b32 s30, s33
	s_cbranch_execz .LBB14_109
; %bb.101:
	s_mov_b32 s1, -1
	s_mov_b32 s31, s29
	s_mov_b32 s33, exec_lo
	v_cmpx_gt_i32_e64 s28, v18
	s_cbranch_execz .LBB14_326
; %bb.102:
	v_mul_lo_u32 v2, v18, s6
	v_cmp_gt_i16_e32 vcc_lo, 11, v10
	s_delay_alu instid0(VALU_DEP_2) | instskip(SKIP_1) | instid1(VALU_DEP_1)
	v_ashrrev_i32_e32 v3, 31, v2
	v_add_co_u32 v8, s1, s4, v2
	v_add_co_ci_u32_e64 v9, s1, s5, v3, s1
	s_cbranch_vccnz .LBB14_219
; %bb.103:
	v_cmp_lt_i16_e32 vcc_lo, 25, v10
	s_cbranch_vccz .LBB14_222
; %bb.104:
	v_cmp_lt_i16_e32 vcc_lo, 28, v10
	s_cbranch_vccz .LBB14_223
	;; [unrolled: 3-line block ×4, first 2 shown]
; %bb.107:
	v_cmp_eq_u16_e32 vcc_lo, 46, v10
	s_mov_b32 s34, 0
	s_mov_b32 s1, -1
	s_mov_b32 s31, 0
	s_cbranch_vccz .LBB14_241
; %bb.108:
	s_mov_b32 s31, -1
	s_mov_b32 s1, 0
	global_store_b32 v[8:9], v14, off
	s_branch .LBB14_241
.LBB14_109:
	s_or_b32 exec_lo, exec_lo, s30
	s_mov_b32 s0, 0
	s_and_saveexec_b32 s10, s29
	s_cbranch_execnz .LBB14_791
.LBB14_110:
	s_or_b32 exec_lo, exec_lo, s10
	s_and_saveexec_b32 s10, s31
	s_delay_alu instid0(SALU_CYCLE_1)
	s_xor_b32 s10, exec_lo, s10
	s_cbranch_execz .LBB14_112
.LBB14_111:
	global_store_b8 v[8:9], v13, off
.LBB14_112:
	s_or_b32 exec_lo, exec_lo, s10
	s_and_saveexec_b32 s10, s1
	s_delay_alu instid0(SALU_CYCLE_1)
	s_xor_b32 s1, exec_lo, s10
	s_cbranch_execz .LBB14_150
; %bb.113:
	v_cmp_gt_i16_e32 vcc_lo, 5, v10
	s_mov_b32 s10, -1
	s_cbranch_vccnz .LBB14_134
; %bb.114:
	v_cmp_gt_i16_e32 vcc_lo, 8, v10
	s_cbranch_vccnz .LBB14_124
; %bb.115:
	v_cmp_gt_i16_e32 vcc_lo, 9, v10
	s_cbranch_vccnz .LBB14_121
; %bb.116:
	v_cmp_lt_i16_e32 vcc_lo, 9, v10
	s_cbranch_vccz .LBB14_118
; %bb.117:
	v_mov_b32_e32 v2, 0
	s_mov_b32 s10, 0
	s_delay_alu instid0(VALU_DEP_1)
	v_mov_b32_e32 v3, v2
	global_store_b128 v[8:9], v[0:3], off
.LBB14_118:
	s_and_not1_b32 vcc_lo, exec_lo, s10
	s_cbranch_vccnz .LBB14_120
; %bb.119:
	v_mov_b32_e32 v5, 0
	global_store_b64 v[8:9], v[4:5], off
.LBB14_120:
	s_mov_b32 s10, 0
.LBB14_121:
	s_delay_alu instid0(SALU_CYCLE_1)
	s_and_not1_b32 vcc_lo, exec_lo, s10
	s_cbranch_vccnz .LBB14_123
; %bb.122:
	global_store_b32 v[8:9], v12, off
.LBB14_123:
	s_mov_b32 s10, 0
.LBB14_124:
	s_delay_alu instid0(SALU_CYCLE_1)
	s_and_not1_b32 vcc_lo, exec_lo, s10
	s_cbranch_vccnz .LBB14_133
; %bb.125:
	v_cmp_gt_i16_e32 vcc_lo, 6, v10
	s_mov_b32 s10, -1
	s_cbranch_vccnz .LBB14_131
; %bb.126:
	v_cmp_lt_i16_e32 vcc_lo, 6, v10
	s_cbranch_vccz .LBB14_128
; %bb.127:
	s_mov_b32 s10, 0
	global_store_b64 v[8:9], v[0:1], off
.LBB14_128:
	s_and_not1_b32 vcc_lo, exec_lo, s10
	s_cbranch_vccnz .LBB14_130
; %bb.129:
	global_store_b32 v[8:9], v4, off
.LBB14_130:
	s_mov_b32 s10, 0
.LBB14_131:
	s_delay_alu instid0(SALU_CYCLE_1)
	s_and_not1_b32 vcc_lo, exec_lo, s10
	s_cbranch_vccnz .LBB14_133
; %bb.132:
	global_store_b16 v[8:9], v11, off
.LBB14_133:
	s_mov_b32 s10, 0
.LBB14_134:
	s_delay_alu instid0(SALU_CYCLE_1)
	s_and_not1_b32 vcc_lo, exec_lo, s10
	s_cbranch_vccnz .LBB14_150
; %bb.135:
	v_cmp_gt_i16_e32 vcc_lo, 2, v10
	s_mov_b32 s10, -1
	s_cbranch_vccnz .LBB14_145
; %bb.136:
	v_cmp_gt_i16_e32 vcc_lo, 3, v10
	s_cbranch_vccnz .LBB14_142
; %bb.137:
	v_cmp_lt_i16_e32 vcc_lo, 3, v10
	s_cbranch_vccz .LBB14_139
; %bb.138:
	s_mov_b32 s10, 0
	global_store_b64 v[8:9], v[6:7], off
.LBB14_139:
	s_and_not1_b32 vcc_lo, exec_lo, s10
	s_cbranch_vccnz .LBB14_141
; %bb.140:
	v_mov_b32_e32 v0, s9
	global_store_b32 v[8:9], v0, off
.LBB14_141:
	s_mov_b32 s10, 0
.LBB14_142:
	s_delay_alu instid0(SALU_CYCLE_1)
	s_and_not1_b32 vcc_lo, exec_lo, s10
	s_cbranch_vccnz .LBB14_144
; %bb.143:
	v_mov_b32_e32 v0, s8
	global_store_b16 v[8:9], v0, off
.LBB14_144:
	s_mov_b32 s10, 0
.LBB14_145:
	s_delay_alu instid0(SALU_CYCLE_1)
	s_and_not1_b32 vcc_lo, exec_lo, s10
	s_cbranch_vccnz .LBB14_150
; %bb.146:
	v_cmp_lt_i16_e32 vcc_lo, 0, v10
	s_mov_b32 s8, -1
	s_cbranch_vccz .LBB14_148
; %bb.147:
	v_mov_b32_e32 v0, s7
	s_mov_b32 s8, 0
	global_store_b8 v[8:9], v0, off
.LBB14_148:
	s_and_not1_b32 vcc_lo, exec_lo, s8
	s_cbranch_vccnz .LBB14_150
; %bb.149:
	v_mov_b32_e32 v0, s7
	global_store_b8 v[8:9], v0, off
.LBB14_150:
	s_or_b32 exec_lo, exec_lo, s1
	s_delay_alu instid0(SALU_CYCLE_1)
	s_and_b32 s1, s0, exec_lo
                                        ; implicit-def: $vgpr10
                                        ; implicit-def: $vgpr18
.LBB14_151:
	s_or_saveexec_b32 s2, s2
	s_mov_b32 s0, 0
                                        ; implicit-def: $vgpr0_vgpr1
	s_xor_b32 exec_lo, exec_lo, s2
	s_cbranch_execz .LBB14_685
; %bb.152:
	v_mul_lo_u32 v2, s6, v18
	v_cmp_gt_i16_e32 vcc_lo, 11, v10
	s_delay_alu instid0(VALU_DEP_2) | instskip(SKIP_1) | instid1(VALU_DEP_1)
	v_ashrrev_i32_e32 v1, 31, v2
	v_add_co_u32 v0, s0, s4, v2
	v_add_co_ci_u32_e64 v1, s0, s5, v1, s0
	s_cbranch_vccnz .LBB14_180
; %bb.153:
	v_cmp_lt_i16_e32 vcc_lo, 25, v10
	s_mov_b32 s3, -1
	s_mov_b32 s8, 0
	s_mov_b32 s9, 0
	;; [unrolled: 1-line block ×3, first 2 shown]
	s_cbranch_vccz .LBB14_233
; %bb.154:
	v_cmp_lt_i16_e32 vcc_lo, 28, v10
	s_cbranch_vccz .LBB14_169
; %bb.155:
	v_cmp_lt_i16_e32 vcc_lo, 43, v10
	;; [unrolled: 3-line block ×3, first 2 shown]
	s_cbranch_vccz .LBB14_159
; %bb.157:
	v_cmp_eq_u16_e32 vcc_lo, 46, v10
	s_mov_b32 s0, -1
	s_mov_b32 s3, 0
	s_cbranch_vccz .LBB14_159
; %bb.158:
	s_bfe_i32 s0, s7, 0x80000
	s_mov_b32 s9, -1
	s_sext_i32_i16 s0, s0
	s_delay_alu instid0(SALU_CYCLE_1) | instskip(SKIP_1) | instid1(VALU_DEP_1)
	v_cvt_f32_i32_e32 v3, s0
	s_mov_b32 s0, 0
	v_bfe_u32 v4, v3, 16, 1
	s_delay_alu instid0(VALU_DEP_1) | instskip(NEXT) | instid1(VALU_DEP_1)
	v_add_nc_u32_e32 v3, v3, v4
	v_add_nc_u32_e32 v3, 0x7fff, v3
	s_delay_alu instid0(VALU_DEP_1)
	v_lshrrev_b32_e32 v3, 16, v3
	global_store_b32 v[0:1], v3, off
.LBB14_159:
	s_and_b32 vcc_lo, exec_lo, s3
	s_cbranch_vccz .LBB14_164
; %bb.160:
	v_cmp_eq_u16_e32 vcc_lo, 44, v10
	s_mov_b32 s0, -1
	s_cbranch_vccz .LBB14_164
; %bb.161:
	s_bfe_i32 s0, s7, 0x80000
	v_mov_b32_e32 v4, 0xff
	s_sext_i32_i16 s0, s0
	s_delay_alu instid0(SALU_CYCLE_1) | instskip(NEXT) | instid1(VALU_DEP_1)
	v_cvt_f32_i32_e32 v3, s0
	v_readfirstlane_b32 s0, v3
	s_delay_alu instid0(VALU_DEP_1) | instskip(NEXT) | instid1(SALU_CYCLE_1)
	s_bfe_u32 s3, s0, 0x80017
	s_cmpk_eq_i32 s3, 0xff
	s_cbranch_scc1 .LBB14_163
; %bb.162:
	s_bitcmp1_b32 s0, 22
	v_lshrrev_b32_e32 v3, 23, v3
	s_cselect_b32 s9, -1, 0
	s_and_b32 s0, s0, 0x3fffff
	s_delay_alu instid0(SALU_CYCLE_1) | instskip(NEXT) | instid1(SALU_CYCLE_1)
	s_or_b32 s0, s3, s0
	s_cmp_lg_u32 s0, 0
	s_cselect_b32 s0, -1, 0
	s_delay_alu instid0(SALU_CYCLE_1) | instskip(NEXT) | instid1(SALU_CYCLE_1)
	s_and_b32 s0, s9, s0
	v_cndmask_b32_e64 v4, 0, 1, s0
	s_delay_alu instid0(VALU_DEP_1)
	v_add_nc_u32_e32 v4, v3, v4
.LBB14_163:
	s_mov_b32 s0, 0
	s_mov_b32 s9, -1
	global_store_b8 v[0:1], v4, off
.LBB14_164:
	s_mov_b32 s3, 0
.LBB14_165:
	s_delay_alu instid0(SALU_CYCLE_1)
	s_and_b32 vcc_lo, exec_lo, s3
	s_cbranch_vccz .LBB14_168
; %bb.166:
	v_cmp_eq_u16_e32 vcc_lo, 29, v10
	s_mov_b32 s0, -1
	s_cbranch_vccz .LBB14_168
; %bb.167:
	v_mov_b32_e32 v3, s7
	s_mov_b32 s0, 0
	s_mov_b32 s9, -1
	s_delay_alu instid0(VALU_DEP_1) | instskip(NEXT) | instid1(VALU_DEP_1)
	v_bfe_i32 v3, v3, 0, 8
	v_ashrrev_i32_e32 v4, 31, v3
	global_store_b64 v[0:1], v[3:4], off
.LBB14_168:
	s_mov_b32 s3, 0
.LBB14_169:
	s_delay_alu instid0(SALU_CYCLE_1)
	s_and_b32 vcc_lo, exec_lo, s3
	s_cbranch_vccz .LBB14_232
; %bb.170:
	v_cmp_gt_i16_e32 vcc_lo, 27, v10
	s_mov_b32 s3, -1
	s_cbranch_vccnz .LBB14_176
; %bb.171:
	v_cmp_lt_i16_e32 vcc_lo, 27, v10
	s_cbranch_vccz .LBB14_173
; %bb.172:
	s_sext_i32_i8 s3, s7
	s_delay_alu instid0(SALU_CYCLE_1)
	v_mov_b32_e32 v3, s3
	s_mov_b32 s3, 0
	global_store_b32 v[0:1], v3, off
.LBB14_173:
	s_and_not1_b32 vcc_lo, exec_lo, s3
	s_cbranch_vccnz .LBB14_175
; %bb.174:
	s_bfe_i32 s3, s7, 0x80000
	s_delay_alu instid0(SALU_CYCLE_1)
	v_mov_b32_e32 v3, s3
	global_store_b16 v[0:1], v3, off
.LBB14_175:
	s_mov_b32 s3, 0
.LBB14_176:
	s_delay_alu instid0(SALU_CYCLE_1)
	s_and_not1_b32 vcc_lo, exec_lo, s3
	s_cbranch_vccnz .LBB14_231
; %bb.177:
	s_bfe_i32 s3, s7, 0x80000
	v_mov_b32_e32 v4, 0x80
	s_sext_i32_i16 s3, s3
	s_delay_alu instid0(SALU_CYCLE_1) | instskip(NEXT) | instid1(VALU_DEP_1)
	v_cvt_f32_i32_e32 v3, s3
	v_readfirstlane_b32 s3, v3
	s_delay_alu instid0(VALU_DEP_1) | instskip(NEXT) | instid1(SALU_CYCLE_1)
	s_and_b32 s9, s3, 0x7fffffff
	s_cmp_gt_u32 s9, 0x437fffff
	s_cbranch_scc1 .LBB14_230
; %bb.178:
	s_cmp_gt_u32 s9, 0x3bffffff
	s_cbranch_scc0 .LBB14_225
; %bb.179:
	s_bfe_u32 s9, s3, 0x10014
	s_mov_b32 s10, 0
	s_add_i32 s9, s3, s9
	s_delay_alu instid0(SALU_CYCLE_1) | instskip(NEXT) | instid1(SALU_CYCLE_1)
	s_add_i32 s9, s9, 0x487ffff
	s_lshr_b32 s11, s9, 20
	s_mov_b32 s9, -1
	s_branch .LBB14_226
.LBB14_180:
	s_mov_b32 s9, 0
	s_mov_b32 s3, s1
	s_cbranch_execz .LBB14_382
; %bb.181:
	v_cmp_gt_i16_e32 vcc_lo, 5, v10
	s_mov_b32 s0, -1
	s_cbranch_vccnz .LBB14_202
; %bb.182:
	v_cmp_gt_i16_e32 vcc_lo, 8, v10
	s_cbranch_vccnz .LBB14_192
; %bb.183:
	v_cmp_gt_i16_e32 vcc_lo, 9, v10
	s_cbranch_vccnz .LBB14_189
; %bb.184:
	v_cmp_lt_i16_e32 vcc_lo, 9, v10
	s_cbranch_vccz .LBB14_186
; %bb.185:
	s_bfe_i32 s0, s7, 0x80000
	v_mov_b32_e32 v5, 0
	s_sext_i32_i16 s0, s0
	s_delay_alu instid0(SALU_CYCLE_1) | instskip(SKIP_1) | instid1(VALU_DEP_2)
	v_cvt_f64_i32_e32 v[3:4], s0
	s_mov_b32 s0, 0
	v_mov_b32_e32 v6, v5
	global_store_b128 v[0:1], v[3:6], off
.LBB14_186:
	s_and_not1_b32 vcc_lo, exec_lo, s0
	s_cbranch_vccnz .LBB14_188
; %bb.187:
	s_bfe_i32 s0, s7, 0x80000
	v_mov_b32_e32 v4, 0
	s_sext_i32_i16 s0, s0
	s_delay_alu instid0(SALU_CYCLE_1)
	v_cvt_f32_i32_e32 v3, s0
	global_store_b64 v[0:1], v[3:4], off
.LBB14_188:
	s_mov_b32 s0, 0
.LBB14_189:
	s_delay_alu instid0(SALU_CYCLE_1)
	s_and_not1_b32 vcc_lo, exec_lo, s0
	s_cbranch_vccnz .LBB14_191
; %bb.190:
	s_bfe_i32 s0, s7, 0x80000
	s_delay_alu instid0(SALU_CYCLE_1) | instskip(NEXT) | instid1(VALU_DEP_1)
	v_cvt_f16_i16_e32 v3, s0
	v_and_b32_e32 v3, 0xffff, v3
	global_store_b32 v[0:1], v3, off
.LBB14_191:
	s_mov_b32 s0, 0
.LBB14_192:
	s_delay_alu instid0(SALU_CYCLE_1)
	s_and_not1_b32 vcc_lo, exec_lo, s0
	s_cbranch_vccnz .LBB14_201
; %bb.193:
	v_cmp_gt_i16_e32 vcc_lo, 6, v10
	s_mov_b32 s0, -1
	s_cbranch_vccnz .LBB14_199
; %bb.194:
	v_cmp_lt_i16_e32 vcc_lo, 6, v10
	s_cbranch_vccz .LBB14_196
; %bb.195:
	s_bfe_i32 s0, s7, 0x80000
	s_delay_alu instid0(SALU_CYCLE_1) | instskip(NEXT) | instid1(SALU_CYCLE_1)
	s_sext_i32_i16 s0, s0
	v_cvt_f64_i32_e32 v[3:4], s0
	s_mov_b32 s0, 0
	global_store_b64 v[0:1], v[3:4], off
.LBB14_196:
	s_and_not1_b32 vcc_lo, exec_lo, s0
	s_cbranch_vccnz .LBB14_198
; %bb.197:
	s_bfe_i32 s0, s7, 0x80000
	s_delay_alu instid0(SALU_CYCLE_1) | instskip(NEXT) | instid1(SALU_CYCLE_1)
	s_sext_i32_i16 s0, s0
	v_cvt_f32_i32_e32 v3, s0
	global_store_b32 v[0:1], v3, off
.LBB14_198:
	s_mov_b32 s0, 0
.LBB14_199:
	s_delay_alu instid0(SALU_CYCLE_1)
	s_and_not1_b32 vcc_lo, exec_lo, s0
	s_cbranch_vccnz .LBB14_201
; %bb.200:
	s_bfe_i32 s0, s7, 0x80000
	s_delay_alu instid0(SALU_CYCLE_1)
	v_cvt_f16_i16_e32 v3, s0
	global_store_b16 v[0:1], v3, off
.LBB14_201:
	s_mov_b32 s0, 0
.LBB14_202:
	s_delay_alu instid0(SALU_CYCLE_1)
	s_and_not1_b32 vcc_lo, exec_lo, s0
	s_cbranch_vccnz .LBB14_218
; %bb.203:
	v_cmp_gt_i16_e32 vcc_lo, 2, v10
	s_mov_b32 s0, -1
	s_cbranch_vccnz .LBB14_213
; %bb.204:
	v_cmp_gt_i16_e32 vcc_lo, 3, v10
	s_cbranch_vccnz .LBB14_210
; %bb.205:
	v_cmp_lt_i16_e32 vcc_lo, 3, v10
	s_cbranch_vccz .LBB14_207
; %bb.206:
	v_mov_b32_e32 v3, s7
	s_mov_b32 s0, 0
	s_delay_alu instid0(VALU_DEP_1) | instskip(NEXT) | instid1(VALU_DEP_1)
	v_bfe_i32 v3, v3, 0, 8
	v_ashrrev_i32_e32 v4, 31, v3
	global_store_b64 v[0:1], v[3:4], off
.LBB14_207:
	s_and_not1_b32 vcc_lo, exec_lo, s0
	s_cbranch_vccnz .LBB14_209
; %bb.208:
	s_sext_i32_i8 s0, s7
	s_delay_alu instid0(SALU_CYCLE_1)
	v_mov_b32_e32 v3, s0
	global_store_b32 v[0:1], v3, off
.LBB14_209:
	s_mov_b32 s0, 0
.LBB14_210:
	s_delay_alu instid0(SALU_CYCLE_1)
	s_and_not1_b32 vcc_lo, exec_lo, s0
	s_cbranch_vccnz .LBB14_212
; %bb.211:
	s_bfe_i32 s0, s7, 0x80000
	s_delay_alu instid0(SALU_CYCLE_1)
	v_mov_b32_e32 v3, s0
	global_store_b16 v[0:1], v3, off
.LBB14_212:
	s_mov_b32 s0, 0
.LBB14_213:
	s_delay_alu instid0(SALU_CYCLE_1)
	s_and_not1_b32 vcc_lo, exec_lo, s0
	s_cbranch_vccnz .LBB14_218
; %bb.214:
	v_cmp_lt_i16_e32 vcc_lo, 0, v10
	s_mov_b32 s0, -1
	s_cbranch_vccz .LBB14_216
; %bb.215:
	v_mov_b32_e32 v3, s7
	s_mov_b32 s0, 0
	global_store_b8 v[0:1], v3, off
.LBB14_216:
	s_and_not1_b32 vcc_lo, exec_lo, s0
	s_cbranch_vccnz .LBB14_218
; %bb.217:
	v_mov_b32_e32 v3, s7
	global_store_b8 v[0:1], v3, off
.LBB14_218:
	s_branch .LBB14_383
.LBB14_219:
	s_mov_b32 s31, 0
	s_mov_b32 s1, s29
	s_cbranch_execnz .LBB14_286
.LBB14_220:
	s_and_not1_b32 vcc_lo, exec_lo, s31
	s_cbranch_vccnz .LBB14_324
.LBB14_221:
	v_add_nc_u32_e32 v18, 0x80, v18
	s_mov_b32 s34, -1
	s_branch .LBB14_325
.LBB14_222:
	s_mov_b32 s34, -1
	s_mov_b32 s31, 0
	s_mov_b32 s1, s29
	s_branch .LBB14_263
.LBB14_223:
	s_mov_b32 s34, -1
	s_mov_b32 s31, 0
	s_mov_b32 s1, s29
	s_branch .LBB14_249
.LBB14_224:
	s_mov_b32 s34, -1
	s_mov_b32 s31, 0
	s_mov_b32 s1, s29
	s_branch .LBB14_245
.LBB14_225:
	s_mov_b32 s10, -1
	s_mov_b32 s9, 0
                                        ; implicit-def: $sgpr11
.LBB14_226:
	v_mov_b32_e32 v3, s11
	s_and_not1_b32 vcc_lo, exec_lo, s10
                                        ; implicit-def: $sgpr10
	s_cbranch_vccnz .LBB14_228
; %bb.227:
	v_add_f32_e64 v3, 0x46000000, |s3|
	s_mov_b32 s10, 0
	s_delay_alu instid0(VALU_DEP_1) | instskip(NEXT) | instid1(VALU_DEP_1)
	v_and_b32_e32 v3, 0xff, v3
	v_cmp_ne_u32_e64 s9, 0, v3
.LBB14_228:
	v_mov_b32_e32 v4, s10
	s_delay_alu instid0(VALU_DEP_2)
	s_and_not1_b32 vcc_lo, exec_lo, s9
	s_cbranch_vccnz .LBB14_230
; %bb.229:
	s_lshr_b32 s3, s3, 24
	s_delay_alu instid0(SALU_CYCLE_1) | instskip(NEXT) | instid1(SALU_CYCLE_1)
	s_and_b32 s3, s3, 0x80
	v_or_b32_e32 v4, s3, v3
.LBB14_230:
	global_store_b8 v[0:1], v4, off
.LBB14_231:
	s_mov_b32 s9, -1
.LBB14_232:
	s_mov_b32 s3, 0
.LBB14_233:
	s_delay_alu instid0(SALU_CYCLE_1)
	s_and_b32 vcc_lo, exec_lo, s3
	s_cbranch_vccz .LBB14_378
; %bb.234:
	v_cmp_lt_i16_e32 vcc_lo, 22, v10
	s_mov_b32 s3, -1
	s_cbranch_vccz .LBB14_371
; %bb.235:
	v_cmp_gt_i16_e32 vcc_lo, 24, v10
	s_cbranch_vccnz .LBB14_358
; %bb.236:
	v_cmp_lt_i16_e32 vcc_lo, 24, v10
	s_cbranch_vccz .LBB14_345
; %bb.237:
	s_bfe_i32 s3, s7, 0x80000
	v_mov_b32_e32 v4, 0x80
	s_sext_i32_i16 s3, s3
	s_delay_alu instid0(SALU_CYCLE_1) | instskip(NEXT) | instid1(VALU_DEP_1)
	v_cvt_f32_i32_e32 v3, s3
	v_readfirstlane_b32 s3, v3
	s_delay_alu instid0(VALU_DEP_1) | instskip(NEXT) | instid1(SALU_CYCLE_1)
	s_and_b32 s8, s3, 0x7fffffff
	s_cmp_gt_u32 s8, 0x477fffff
	s_cbranch_scc1 .LBB14_344
; %bb.238:
	s_cmp_gt_u32 s8, 0x37ffffff
	s_cbranch_scc0 .LBB14_339
; %bb.239:
	s_bfe_u32 s8, s3, 0x10015
	s_mov_b32 s9, 0
	s_add_i32 s8, s3, s8
	s_delay_alu instid0(SALU_CYCLE_1) | instskip(NEXT) | instid1(SALU_CYCLE_1)
	s_add_i32 s8, s8, 0x88fffff
	s_lshr_b32 s10, s8, 21
	s_mov_b32 s8, -1
	s_branch .LBB14_340
.LBB14_240:
	s_mov_b32 s34, -1
	s_mov_b32 s31, 0
	s_mov_b32 s1, s29
.LBB14_241:
	s_and_b32 vcc_lo, exec_lo, s34
	s_cbranch_vccz .LBB14_244
; %bb.242:
	v_cmp_eq_u16_e32 vcc_lo, 44, v10
	s_mov_b32 s1, -1
	s_cbranch_vccz .LBB14_244
; %bb.243:
	v_cndmask_b32_e64 v2, v19, 0xff, s0
	s_mov_b32 s31, -1
	s_mov_b32 s1, 0
	global_store_b8 v[8:9], v2, off
.LBB14_244:
	s_mov_b32 s34, 0
.LBB14_245:
	s_delay_alu instid0(SALU_CYCLE_1)
	s_and_b32 vcc_lo, exec_lo, s34
	s_cbranch_vccz .LBB14_248
; %bb.246:
	v_cmp_eq_u16_e32 vcc_lo, 29, v10
	s_mov_b32 s1, -1
	s_cbranch_vccz .LBB14_248
; %bb.247:
	s_mov_b32 s31, -1
	s_mov_b32 s1, 0
	global_store_b64 v[8:9], v[6:7], off
.LBB14_248:
	s_mov_b32 s34, 0
.LBB14_249:
	s_delay_alu instid0(SALU_CYCLE_1)
	s_and_b32 vcc_lo, exec_lo, s34
	s_cbranch_vccz .LBB14_262
; %bb.250:
	v_cmp_gt_i16_e32 vcc_lo, 27, v10
	s_mov_b32 s31, -1
	s_cbranch_vccnz .LBB14_256
; %bb.251:
	v_cmp_lt_i16_e32 vcc_lo, 27, v10
	s_cbranch_vccz .LBB14_253
; %bb.252:
	v_mov_b32_e32 v2, s9
	s_mov_b32 s31, 0
	global_store_b32 v[8:9], v2, off
.LBB14_253:
	s_and_not1_b32 vcc_lo, exec_lo, s31
	s_cbranch_vccnz .LBB14_255
; %bb.254:
	v_mov_b32_e32 v2, s8
	global_store_b16 v[8:9], v2, off
.LBB14_255:
	s_mov_b32 s31, 0
.LBB14_256:
	s_delay_alu instid0(SALU_CYCLE_1)
	s_and_not1_b32 vcc_lo, exec_lo, s31
	s_cbranch_vccnz .LBB14_261
; %bb.257:
	v_mov_b32_e32 v2, 0x80
	s_and_not1_b32 vcc_lo, exec_lo, s24
	s_cbranch_vccnz .LBB14_260
; %bb.258:
	v_mov_b32_e32 v2, 0
	s_or_b32 s31, s20, s27
	s_delay_alu instid0(SALU_CYCLE_1)
	s_and_not1_b32 vcc_lo, exec_lo, s31
	s_cbranch_vccnz .LBB14_260
; %bb.259:
	v_cndmask_b32_e64 v2, v17, s26, s20
	s_delay_alu instid0(VALU_DEP_1)
	v_or_b32_e32 v2, v2, v15
.LBB14_260:
	global_store_b8 v[8:9], v2, off
.LBB14_261:
	s_mov_b32 s31, -1
.LBB14_262:
	s_mov_b32 s34, 0
.LBB14_263:
	s_delay_alu instid0(SALU_CYCLE_1)
	s_and_b32 vcc_lo, exec_lo, s34
	s_cbranch_vccz .LBB14_285
; %bb.264:
	v_cmp_lt_i16_e32 vcc_lo, 22, v10
	s_mov_b32 s34, -1
	s_cbranch_vccz .LBB14_277
; %bb.265:
	v_cmp_gt_i16_e32 vcc_lo, 24, v10
	s_mov_b32 s31, -1
	s_cbranch_vccnz .LBB14_274
; %bb.266:
	v_cmp_lt_i16_e32 vcc_lo, 24, v10
	s_cbranch_vccz .LBB14_271
; %bb.267:
	v_mov_b32_e32 v2, 0x80
	s_and_not1_b32 vcc_lo, exec_lo, s23
	s_cbranch_vccnz .LBB14_270
; %bb.268:
	v_mov_b32_e32 v2, 0
	s_or_b32 s31, s17, s25
	s_delay_alu instid0(SALU_CYCLE_1)
	s_and_not1_b32 vcc_lo, exec_lo, s31
	s_cbranch_vccnz .LBB14_270
; %bb.269:
	v_cndmask_b32_e64 v2, v16, s21, s17
	s_delay_alu instid0(VALU_DEP_1)
	v_or_b32_e32 v2, v2, v15
.LBB14_270:
	s_mov_b32 s31, 0
	global_store_b8 v[8:9], v2, off
.LBB14_271:
	s_and_b32 vcc_lo, exec_lo, s31
	s_cbranch_vccz .LBB14_273
; %bb.272:
	s_and_b32 s31, s15, exec_lo
	s_cselect_b32 s31, s19, s18
	s_and_b32 s34, s13, exec_lo
	s_cselect_b32 s31, s22, s31
	s_delay_alu instid0(SALU_CYCLE_1)
	v_or_b32_e32 v2, s31, v15
	global_store_b8 v[8:9], v2, off
.LBB14_273:
	s_mov_b32 s31, 0
.LBB14_274:
	s_delay_alu instid0(SALU_CYCLE_1)
	s_and_not1_b32 vcc_lo, exec_lo, s31
	s_cbranch_vccnz .LBB14_276
; %bb.275:
	s_and_b32 s31, s11, exec_lo
	s_cselect_b32 s31, s14, s12
	s_and_b32 s34, s10, exec_lo
	s_cselect_b32 s31, s16, s31
	s_delay_alu instid0(SALU_CYCLE_1)
	v_or_b32_e32 v2, s31, v15
	global_store_b8 v[8:9], v2, off
.LBB14_276:
	s_mov_b32 s34, 0
	s_mov_b32 s31, -1
.LBB14_277:
	s_and_not1_b32 vcc_lo, exec_lo, s34
	s_cbranch_vccnz .LBB14_285
; %bb.278:
	v_cmp_lt_i16_e32 vcc_lo, 14, v10
	s_mov_b32 s34, -1
	s_cbranch_vccz .LBB14_282
; %bb.279:
	v_cmp_eq_u16_e32 vcc_lo, 15, v10
	s_mov_b32 s1, -1
	s_cbranch_vccz .LBB14_281
; %bb.280:
	s_mov_b32 s31, -1
	s_mov_b32 s1, 0
	global_store_b16 v[8:9], v14, off
.LBB14_281:
	s_mov_b32 s34, 0
.LBB14_282:
	s_delay_alu instid0(SALU_CYCLE_1)
	s_and_b32 vcc_lo, exec_lo, s34
	s_cbranch_vccz .LBB14_285
; %bb.283:
	v_cmp_eq_u16_e32 vcc_lo, 11, v10
	s_mov_b32 s1, -1
	s_cbranch_vccz .LBB14_285
; %bb.284:
	s_mov_b32 s31, -1
	s_mov_b32 s1, 0
	global_store_b8 v[8:9], v13, off
.LBB14_285:
	s_branch .LBB14_220
.LBB14_286:
	v_cmp_gt_i16_e32 vcc_lo, 5, v10
	s_mov_b32 s31, -1
	s_cbranch_vccnz .LBB14_307
; %bb.287:
	v_cmp_gt_i16_e32 vcc_lo, 8, v10
	s_cbranch_vccnz .LBB14_297
; %bb.288:
	v_cmp_gt_i16_e32 vcc_lo, 9, v10
	s_cbranch_vccnz .LBB14_294
; %bb.289:
	v_cmp_lt_i16_e32 vcc_lo, 9, v10
	s_cbranch_vccz .LBB14_291
; %bb.290:
	v_mov_b32_e32 v2, 0
	s_mov_b32 s31, 0
	s_delay_alu instid0(VALU_DEP_1)
	v_mov_b32_e32 v3, v2
	global_store_b128 v[8:9], v[0:3], off
.LBB14_291:
	s_and_not1_b32 vcc_lo, exec_lo, s31
	s_cbranch_vccnz .LBB14_293
; %bb.292:
	v_mov_b32_e32 v5, 0
	global_store_b64 v[8:9], v[4:5], off
.LBB14_293:
	s_mov_b32 s31, 0
.LBB14_294:
	s_delay_alu instid0(SALU_CYCLE_1)
	s_and_not1_b32 vcc_lo, exec_lo, s31
	s_cbranch_vccnz .LBB14_296
; %bb.295:
	global_store_b32 v[8:9], v12, off
.LBB14_296:
	s_mov_b32 s31, 0
.LBB14_297:
	s_delay_alu instid0(SALU_CYCLE_1)
	s_and_not1_b32 vcc_lo, exec_lo, s31
	s_cbranch_vccnz .LBB14_306
; %bb.298:
	v_cmp_gt_i16_e32 vcc_lo, 6, v10
	s_mov_b32 s31, -1
	s_cbranch_vccnz .LBB14_304
; %bb.299:
	v_cmp_lt_i16_e32 vcc_lo, 6, v10
	s_cbranch_vccz .LBB14_301
; %bb.300:
	s_mov_b32 s31, 0
	global_store_b64 v[8:9], v[0:1], off
.LBB14_301:
	s_and_not1_b32 vcc_lo, exec_lo, s31
	s_cbranch_vccnz .LBB14_303
; %bb.302:
	global_store_b32 v[8:9], v4, off
.LBB14_303:
	s_mov_b32 s31, 0
.LBB14_304:
	s_delay_alu instid0(SALU_CYCLE_1)
	s_and_not1_b32 vcc_lo, exec_lo, s31
	s_cbranch_vccnz .LBB14_306
; %bb.305:
	global_store_b16 v[8:9], v11, off
.LBB14_306:
	s_mov_b32 s31, 0
.LBB14_307:
	s_delay_alu instid0(SALU_CYCLE_1)
	s_and_not1_b32 vcc_lo, exec_lo, s31
	s_cbranch_vccnz .LBB14_323
; %bb.308:
	v_cmp_gt_i16_e32 vcc_lo, 2, v10
	s_mov_b32 s31, -1
	s_cbranch_vccnz .LBB14_318
; %bb.309:
	v_cmp_gt_i16_e32 vcc_lo, 3, v10
	s_cbranch_vccnz .LBB14_315
; %bb.310:
	v_cmp_lt_i16_e32 vcc_lo, 3, v10
	s_cbranch_vccz .LBB14_312
; %bb.311:
	s_mov_b32 s31, 0
	global_store_b64 v[8:9], v[6:7], off
.LBB14_312:
	s_and_not1_b32 vcc_lo, exec_lo, s31
	s_cbranch_vccnz .LBB14_314
; %bb.313:
	v_mov_b32_e32 v2, s9
	global_store_b32 v[8:9], v2, off
.LBB14_314:
	s_mov_b32 s31, 0
.LBB14_315:
	s_delay_alu instid0(SALU_CYCLE_1)
	s_and_not1_b32 vcc_lo, exec_lo, s31
	s_cbranch_vccnz .LBB14_317
; %bb.316:
	v_mov_b32_e32 v2, s8
	global_store_b16 v[8:9], v2, off
.LBB14_317:
	s_mov_b32 s31, 0
.LBB14_318:
	s_delay_alu instid0(SALU_CYCLE_1)
	s_and_not1_b32 vcc_lo, exec_lo, s31
	s_cbranch_vccnz .LBB14_323
; %bb.319:
	v_cmp_lt_i16_e32 vcc_lo, 0, v10
	s_mov_b32 s31, -1
	s_cbranch_vccz .LBB14_321
; %bb.320:
	v_mov_b32_e32 v2, s7
	s_mov_b32 s31, 0
	global_store_b8 v[8:9], v2, off
.LBB14_321:
	s_and_not1_b32 vcc_lo, exec_lo, s31
	s_cbranch_vccnz .LBB14_323
; %bb.322:
	v_mov_b32_e32 v2, s7
	global_store_b8 v[8:9], v2, off
.LBB14_323:
	s_branch .LBB14_221
.LBB14_324:
	s_mov_b32 s34, 0
                                        ; implicit-def: $vgpr18
.LBB14_325:
	s_and_not1_b32 s31, s29, exec_lo
	s_and_b32 s1, s1, exec_lo
	s_delay_alu instid0(SALU_CYCLE_1)
	s_or_b32 s31, s31, s1
	s_or_not1_b32 s1, s34, exec_lo
.LBB14_326:
	s_or_b32 exec_lo, exec_lo, s33
	s_mov_b32 s34, 0
	s_mov_b32 s36, 0
                                        ; implicit-def: $vgpr8_vgpr9
	s_and_saveexec_b32 s33, s1
	s_cbranch_execz .LBB14_790
; %bb.327:
	s_mov_b32 s37, -1
	s_mov_b32 s35, s31
	s_mov_b32 s34, exec_lo
	v_cmpx_gt_i32_e64 s28, v18
	s_cbranch_execz .LBB14_558
; %bb.328:
	v_mul_lo_u32 v2, v18, s6
	v_cmp_gt_i16_e32 vcc_lo, 11, v10
	s_delay_alu instid0(VALU_DEP_2) | instskip(SKIP_1) | instid1(VALU_DEP_1)
	v_ashrrev_i32_e32 v3, 31, v2
	v_add_co_u32 v8, s1, s4, v2
	v_add_co_ci_u32_e64 v9, s1, s5, v3, s1
	s_cbranch_vccnz .LBB14_335
; %bb.329:
	v_cmp_lt_i16_e32 vcc_lo, 25, v10
	s_cbranch_vccz .LBB14_336
; %bb.330:
	v_cmp_lt_i16_e32 vcc_lo, 28, v10
	s_cbranch_vccz .LBB14_337
	;; [unrolled: 3-line block ×4, first 2 shown]
; %bb.333:
	v_cmp_eq_u16_e32 vcc_lo, 46, v10
	s_mov_b32 s1, -1
	s_mov_b32 s35, 0
	s_cbranch_vccz .LBB14_470
; %bb.334:
	s_mov_b32 s35, -1
	s_mov_b32 s1, 0
	global_store_b32 v[8:9], v14, off
	s_branch .LBB14_470
.LBB14_335:
	s_mov_b32 s36, -1
	s_mov_b32 s35, 0
	s_mov_b32 s1, s31
	s_branch .LBB14_515
.LBB14_336:
	s_mov_b32 s36, -1
	s_mov_b32 s35, 0
	s_mov_b32 s1, s31
	s_branch .LBB14_492
.LBB14_337:
	s_mov_b32 s36, -1
	s_mov_b32 s35, 0
	s_mov_b32 s1, s31
	s_branch .LBB14_478
.LBB14_338:
	s_mov_b32 s36, -1
	s_mov_b32 s35, 0
	s_mov_b32 s1, s31
	s_branch .LBB14_474
.LBB14_339:
	s_mov_b32 s9, -1
	s_mov_b32 s8, 0
                                        ; implicit-def: $sgpr10
.LBB14_340:
	v_mov_b32_e32 v3, s10
	s_and_not1_b32 vcc_lo, exec_lo, s9
                                        ; implicit-def: $sgpr9
	s_cbranch_vccnz .LBB14_342
; %bb.341:
	v_add_f32_e64 v3, 0x42800000, |s3|
	s_mov_b32 s9, 0
	s_delay_alu instid0(VALU_DEP_1) | instskip(NEXT) | instid1(VALU_DEP_1)
	v_and_b32_e32 v3, 0xff, v3
	v_cmp_ne_u32_e64 s8, 0, v3
.LBB14_342:
	v_mov_b32_e32 v4, s9
	s_delay_alu instid0(VALU_DEP_2)
	s_and_not1_b32 vcc_lo, exec_lo, s8
	s_cbranch_vccnz .LBB14_344
; %bb.343:
	s_lshr_b32 s3, s3, 24
	s_delay_alu instid0(SALU_CYCLE_1) | instskip(NEXT) | instid1(SALU_CYCLE_1)
	s_and_b32 s3, s3, 0x80
	v_or_b32_e32 v4, s3, v3
.LBB14_344:
	s_mov_b32 s3, 0
	global_store_b8 v[0:1], v4, off
.LBB14_345:
	s_and_b32 vcc_lo, exec_lo, s3
	s_cbranch_vccz .LBB14_357
; %bb.346:
	s_bfe_i32 s3, s7, 0x80000
	s_delay_alu instid0(SALU_CYCLE_1) | instskip(NEXT) | instid1(SALU_CYCLE_1)
	s_sext_i32_i16 s3, s3
	v_cvt_f32_i32_e32 v3, s3
	s_delay_alu instid0(VALU_DEP_1) | instskip(NEXT) | instid1(VALU_DEP_1)
	v_readfirstlane_b32 s3, v3
	s_and_b32 s8, s3, 0x7fffffff
	s_delay_alu instid0(SALU_CYCLE_1)
	s_cmp_lt_u32 s8, 0x43f00000
	s_cbranch_scc0 .LBB14_349
; %bb.347:
	s_cmp_gt_u32 s8, 0x3c7fffff
	s_cbranch_scc0 .LBB14_350
; %bb.348:
	s_bfe_u32 s9, s3, 0x10014
	s_delay_alu instid0(SALU_CYCLE_1) | instskip(NEXT) | instid1(SALU_CYCLE_1)
	s_add_i32 s9, s3, s9
	s_add_i32 s9, s9, 0x407ffff
	s_delay_alu instid0(SALU_CYCLE_1)
	s_and_b32 s10, s9, 0xff00000
	s_lshr_b32 s9, s9, 20
	s_cmp_lg_u32 s10, 0x7f00000
	s_cselect_b32 s10, s9, 0x7e
	s_mov_b32 s9, 0
	s_branch .LBB14_351
.LBB14_349:
	s_mov_b32 s9, -1
                                        ; implicit-def: $vgpr4
	s_branch .LBB14_354
.LBB14_350:
	s_mov_b32 s9, -1
                                        ; implicit-def: $sgpr10
.LBB14_351:
	v_mov_b32_e32 v4, s10
	s_and_not1_b32 vcc_lo, exec_lo, s9
	s_cbranch_vccnz .LBB14_353
; %bb.352:
	v_add_f32_e64 v4, 0x46800000, |v3|
.LBB14_353:
	s_mov_b32 s9, 0
.LBB14_354:
	s_delay_alu instid0(SALU_CYCLE_1)
	s_and_not1_b32 vcc_lo, exec_lo, s9
	s_cbranch_vccnz .LBB14_356
; %bb.355:
	s_cmp_gt_u32 s8, 0x7f800000
	s_movk_i32 s8, 0x7f
	s_delay_alu instid0(SALU_CYCLE_1) | instskip(NEXT) | instid1(SALU_CYCLE_1)
	s_cselect_b32 s8, s8, 0x7e
	v_mov_b32_e32 v4, s8
.LBB14_356:
	s_lshr_b32 s3, s3, 24
	s_delay_alu instid0(SALU_CYCLE_1)
	s_and_b32 s3, s3, 0x80
	s_delay_alu instid0(VALU_DEP_1) | instid1(SALU_CYCLE_1)
	v_or_b32_e32 v3, s3, v4
	global_store_b8 v[0:1], v3, off
.LBB14_357:
	s_mov_b32 s3, 0
.LBB14_358:
	s_delay_alu instid0(SALU_CYCLE_1)
	s_and_not1_b32 vcc_lo, exec_lo, s3
	s_cbranch_vccnz .LBB14_370
; %bb.359:
	s_bfe_i32 s3, s7, 0x80000
	s_delay_alu instid0(SALU_CYCLE_1) | instskip(NEXT) | instid1(SALU_CYCLE_1)
	s_sext_i32_i16 s3, s3
	v_cvt_f32_i32_e32 v3, s3
	s_delay_alu instid0(VALU_DEP_1) | instskip(NEXT) | instid1(VALU_DEP_1)
	v_readfirstlane_b32 s3, v3
	s_and_b32 s8, s3, 0x7fffffff
	s_delay_alu instid0(SALU_CYCLE_1)
	s_cmp_lt_u32 s8, 0x47800000
	s_cbranch_scc0 .LBB14_362
; %bb.360:
	s_cmp_gt_u32 s8, 0x387fffff
	s_cbranch_scc0 .LBB14_363
; %bb.361:
	s_bfe_u32 s9, s3, 0x10015
	s_delay_alu instid0(SALU_CYCLE_1) | instskip(NEXT) | instid1(SALU_CYCLE_1)
	s_add_i32 s9, s3, s9
	s_add_i32 s9, s9, 0x80fffff
	s_delay_alu instid0(SALU_CYCLE_1)
	s_lshr_b32 s10, s9, 21
	s_mov_b32 s9, 0
	s_branch .LBB14_364
.LBB14_362:
	s_mov_b32 s9, -1
                                        ; implicit-def: $vgpr4
	s_branch .LBB14_367
.LBB14_363:
	s_mov_b32 s9, -1
                                        ; implicit-def: $sgpr10
.LBB14_364:
	v_mov_b32_e32 v4, s10
	s_and_not1_b32 vcc_lo, exec_lo, s9
	s_cbranch_vccnz .LBB14_366
; %bb.365:
	v_add_f32_e64 v4, 0x43000000, |v3|
.LBB14_366:
	s_mov_b32 s9, 0
.LBB14_367:
	s_delay_alu instid0(SALU_CYCLE_1)
	s_and_not1_b32 vcc_lo, exec_lo, s9
	s_cbranch_vccnz .LBB14_369
; %bb.368:
	s_cmp_gt_u32 s8, 0x7f800000
	s_movk_i32 s8, 0x7f
	s_delay_alu instid0(SALU_CYCLE_1) | instskip(NEXT) | instid1(SALU_CYCLE_1)
	s_cselect_b32 s8, s8, 0x7c
	v_mov_b32_e32 v4, s8
.LBB14_369:
	s_lshr_b32 s3, s3, 24
	s_delay_alu instid0(SALU_CYCLE_1)
	s_and_b32 s3, s3, 0x80
	s_delay_alu instid0(VALU_DEP_1) | instid1(SALU_CYCLE_1)
	v_or_b32_e32 v3, s3, v4
	global_store_b8 v[0:1], v3, off
.LBB14_370:
	s_mov_b32 s3, 0
	s_mov_b32 s9, -1
.LBB14_371:
	s_and_not1_b32 vcc_lo, exec_lo, s3
	s_mov_b32 s8, 0
	s_cbranch_vccnz .LBB14_378
; %bb.372:
	v_cmp_lt_i16_e32 vcc_lo, 14, v10
	s_mov_b32 s3, -1
	s_cbranch_vccz .LBB14_376
; %bb.373:
	v_cmp_eq_u16_e32 vcc_lo, 15, v10
	s_mov_b32 s0, -1
	s_cbranch_vccz .LBB14_375
; %bb.374:
	s_bfe_i32 s0, s7, 0x80000
	s_mov_b32 s9, -1
	s_sext_i32_i16 s0, s0
	s_delay_alu instid0(SALU_CYCLE_1) | instskip(SKIP_1) | instid1(VALU_DEP_1)
	v_cvt_f32_i32_e32 v3, s0
	s_mov_b32 s0, 0
	v_bfe_u32 v4, v3, 16, 1
	s_delay_alu instid0(VALU_DEP_1) | instskip(NEXT) | instid1(VALU_DEP_1)
	v_add_nc_u32_e32 v3, v3, v4
	v_add_nc_u32_e32 v3, 0x7fff, v3
	global_store_d16_hi_b16 v[0:1], v3, off
.LBB14_375:
	s_mov_b32 s3, 0
.LBB14_376:
	s_delay_alu instid0(SALU_CYCLE_1)
	s_and_b32 vcc_lo, exec_lo, s3
	s_cbranch_vccz .LBB14_378
; %bb.377:
	v_cmp_ne_u16_e64 s0, 11, v10
	s_mov_b32 s8, -1
.LBB14_378:
	s_delay_alu instid0(VALU_DEP_1)
	s_and_b32 vcc_lo, exec_lo, s0
	s_mov_b32 s3, s1
	s_cbranch_vccnz .LBB14_450
; %bb.379:
	s_and_not1_b32 vcc_lo, exec_lo, s8
	s_cbranch_vccnz .LBB14_381
.LBB14_380:
	v_and_b32_e64 v3, 0xff, s7
	s_mov_b32 s9, -1
	s_delay_alu instid0(VALU_DEP_1)
	v_cmp_ne_u16_e32 vcc_lo, 0, v3
	v_cndmask_b32_e64 v3, 0, 1, vcc_lo
	global_store_b8 v[0:1], v3, off
.LBB14_381:
.LBB14_382:
	s_and_not1_b32 vcc_lo, exec_lo, s9
	s_cbranch_vccnz .LBB14_683
.LBB14_383:
	s_lshl_b32 s6, s6, 7
	v_cmp_gt_i16_e32 vcc_lo, 11, v10
	v_add_nc_u32_e32 v2, s6, v2
	s_delay_alu instid0(VALU_DEP_1) | instskip(SKIP_1) | instid1(VALU_DEP_1)
	v_ashrrev_i32_e32 v1, 31, v2
	v_add_co_u32 v0, s0, s4, v2
	v_add_co_ci_u32_e64 v1, s0, s5, v1, s0
	s_cbranch_vccnz .LBB14_411
; %bb.384:
	v_cmp_lt_i16_e32 vcc_lo, 25, v10
	s_mov_b32 s10, -1
	s_mov_b32 s8, 0
	s_mov_b32 s9, 0
	;; [unrolled: 1-line block ×3, first 2 shown]
	s_cbranch_vccz .LBB14_462
; %bb.385:
	v_cmp_lt_i16_e32 vcc_lo, 28, v10
	s_cbranch_vccz .LBB14_400
; %bb.386:
	v_cmp_lt_i16_e32 vcc_lo, 43, v10
	;; [unrolled: 3-line block ×3, first 2 shown]
	s_cbranch_vccz .LBB14_390
; %bb.388:
	v_cmp_eq_u16_e32 vcc_lo, 46, v10
	s_mov_b32 s0, -1
	s_mov_b32 s10, 0
	s_cbranch_vccz .LBB14_390
; %bb.389:
	s_bfe_i32 s0, s7, 0x80000
	s_mov_b32 s9, -1
	s_sext_i32_i16 s0, s0
	s_delay_alu instid0(SALU_CYCLE_1) | instskip(SKIP_1) | instid1(VALU_DEP_1)
	v_cvt_f32_i32_e32 v3, s0
	s_mov_b32 s0, 0
	v_bfe_u32 v4, v3, 16, 1
	s_delay_alu instid0(VALU_DEP_1) | instskip(NEXT) | instid1(VALU_DEP_1)
	v_add_nc_u32_e32 v3, v3, v4
	v_add_nc_u32_e32 v3, 0x7fff, v3
	s_delay_alu instid0(VALU_DEP_1)
	v_lshrrev_b32_e32 v3, 16, v3
	global_store_b32 v[0:1], v3, off
.LBB14_390:
	s_and_b32 vcc_lo, exec_lo, s10
	s_cbranch_vccz .LBB14_395
; %bb.391:
	v_cmp_eq_u16_e32 vcc_lo, 44, v10
	s_mov_b32 s0, -1
	s_cbranch_vccz .LBB14_395
; %bb.392:
	s_bfe_i32 s0, s7, 0x80000
	v_mov_b32_e32 v4, 0xff
	s_sext_i32_i16 s0, s0
	s_delay_alu instid0(SALU_CYCLE_1) | instskip(NEXT) | instid1(VALU_DEP_1)
	v_cvt_f32_i32_e32 v3, s0
	v_readfirstlane_b32 s0, v3
	s_delay_alu instid0(VALU_DEP_1) | instskip(NEXT) | instid1(SALU_CYCLE_1)
	s_bfe_u32 s9, s0, 0x80017
	s_cmpk_eq_i32 s9, 0xff
	s_cbranch_scc1 .LBB14_394
; %bb.393:
	s_bitcmp1_b32 s0, 22
	v_lshrrev_b32_e32 v3, 23, v3
	s_cselect_b32 s10, -1, 0
	s_and_b32 s0, s0, 0x3fffff
	s_delay_alu instid0(SALU_CYCLE_1) | instskip(NEXT) | instid1(SALU_CYCLE_1)
	s_or_b32 s0, s9, s0
	s_cmp_lg_u32 s0, 0
	s_cselect_b32 s0, -1, 0
	s_delay_alu instid0(SALU_CYCLE_1) | instskip(NEXT) | instid1(SALU_CYCLE_1)
	s_and_b32 s0, s10, s0
	v_cndmask_b32_e64 v4, 0, 1, s0
	s_delay_alu instid0(VALU_DEP_1)
	v_add_nc_u32_e32 v4, v3, v4
.LBB14_394:
	s_mov_b32 s0, 0
	s_mov_b32 s9, -1
	global_store_b8 v[0:1], v4, off
.LBB14_395:
	s_mov_b32 s10, 0
.LBB14_396:
	s_delay_alu instid0(SALU_CYCLE_1)
	s_and_b32 vcc_lo, exec_lo, s10
	s_cbranch_vccz .LBB14_399
; %bb.397:
	v_cmp_eq_u16_e32 vcc_lo, 29, v10
	s_mov_b32 s0, -1
	s_cbranch_vccz .LBB14_399
; %bb.398:
	v_mov_b32_e32 v3, s7
	s_mov_b32 s0, 0
	s_mov_b32 s9, -1
	s_delay_alu instid0(VALU_DEP_1) | instskip(NEXT) | instid1(VALU_DEP_1)
	v_bfe_i32 v3, v3, 0, 8
	v_ashrrev_i32_e32 v4, 31, v3
	global_store_b64 v[0:1], v[3:4], off
.LBB14_399:
	s_mov_b32 s10, 0
.LBB14_400:
	s_delay_alu instid0(SALU_CYCLE_1)
	s_and_b32 vcc_lo, exec_lo, s10
	s_cbranch_vccz .LBB14_461
; %bb.401:
	v_cmp_gt_i16_e32 vcc_lo, 27, v10
	s_mov_b32 s9, -1
	s_cbranch_vccnz .LBB14_407
; %bb.402:
	v_cmp_lt_i16_e32 vcc_lo, 27, v10
	s_cbranch_vccz .LBB14_404
; %bb.403:
	s_sext_i32_i8 s9, s7
	s_delay_alu instid0(SALU_CYCLE_1)
	v_mov_b32_e32 v3, s9
	s_mov_b32 s9, 0
	global_store_b32 v[0:1], v3, off
.LBB14_404:
	s_and_not1_b32 vcc_lo, exec_lo, s9
	s_cbranch_vccnz .LBB14_406
; %bb.405:
	s_bfe_i32 s9, s7, 0x80000
	s_delay_alu instid0(SALU_CYCLE_1)
	v_mov_b32_e32 v3, s9
	global_store_b16 v[0:1], v3, off
.LBB14_406:
	s_mov_b32 s9, 0
.LBB14_407:
	s_delay_alu instid0(SALU_CYCLE_1)
	s_and_not1_b32 vcc_lo, exec_lo, s9
	s_cbranch_vccnz .LBB14_460
; %bb.408:
	s_bfe_i32 s9, s7, 0x80000
	v_mov_b32_e32 v4, 0x80
	s_sext_i32_i16 s9, s9
	s_delay_alu instid0(SALU_CYCLE_1) | instskip(NEXT) | instid1(VALU_DEP_1)
	v_cvt_f32_i32_e32 v3, s9
	v_readfirstlane_b32 s9, v3
	s_delay_alu instid0(VALU_DEP_1) | instskip(NEXT) | instid1(SALU_CYCLE_1)
	s_and_b32 s10, s9, 0x7fffffff
	s_cmp_gt_u32 s10, 0x437fffff
	s_cbranch_scc1 .LBB14_459
; %bb.409:
	s_cmp_gt_u32 s10, 0x3bffffff
	s_cbranch_scc0 .LBB14_454
; %bb.410:
	s_bfe_u32 s10, s9, 0x10014
	s_mov_b32 s11, 0
	s_add_i32 s10, s9, s10
	s_delay_alu instid0(SALU_CYCLE_1) | instskip(NEXT) | instid1(SALU_CYCLE_1)
	s_add_i32 s10, s10, 0x487ffff
	s_lshr_b32 s12, s10, 20
	s_mov_b32 s10, -1
	s_branch .LBB14_455
.LBB14_411:
	s_mov_b32 s9, 0
	s_cbranch_execz .LBB14_615
; %bb.412:
	v_cmp_gt_i16_e32 vcc_lo, 5, v10
	s_mov_b32 s0, -1
	s_cbranch_vccnz .LBB14_433
; %bb.413:
	v_cmp_gt_i16_e32 vcc_lo, 8, v10
	s_cbranch_vccnz .LBB14_423
; %bb.414:
	v_cmp_gt_i16_e32 vcc_lo, 9, v10
	s_cbranch_vccnz .LBB14_420
; %bb.415:
	v_cmp_lt_i16_e32 vcc_lo, 9, v10
	s_cbranch_vccz .LBB14_417
; %bb.416:
	s_bfe_i32 s0, s7, 0x80000
	v_mov_b32_e32 v5, 0
	s_sext_i32_i16 s0, s0
	s_delay_alu instid0(SALU_CYCLE_1) | instskip(SKIP_1) | instid1(VALU_DEP_2)
	v_cvt_f64_i32_e32 v[3:4], s0
	s_mov_b32 s0, 0
	v_mov_b32_e32 v6, v5
	global_store_b128 v[0:1], v[3:6], off
.LBB14_417:
	s_and_not1_b32 vcc_lo, exec_lo, s0
	s_cbranch_vccnz .LBB14_419
; %bb.418:
	s_bfe_i32 s0, s7, 0x80000
	v_mov_b32_e32 v4, 0
	s_sext_i32_i16 s0, s0
	s_delay_alu instid0(SALU_CYCLE_1)
	v_cvt_f32_i32_e32 v3, s0
	global_store_b64 v[0:1], v[3:4], off
.LBB14_419:
	s_mov_b32 s0, 0
.LBB14_420:
	s_delay_alu instid0(SALU_CYCLE_1)
	s_and_not1_b32 vcc_lo, exec_lo, s0
	s_cbranch_vccnz .LBB14_422
; %bb.421:
	s_bfe_i32 s0, s7, 0x80000
	s_delay_alu instid0(SALU_CYCLE_1) | instskip(NEXT) | instid1(VALU_DEP_1)
	v_cvt_f16_i16_e32 v3, s0
	v_and_b32_e32 v3, 0xffff, v3
	global_store_b32 v[0:1], v3, off
.LBB14_422:
	s_mov_b32 s0, 0
.LBB14_423:
	s_delay_alu instid0(SALU_CYCLE_1)
	s_and_not1_b32 vcc_lo, exec_lo, s0
	s_cbranch_vccnz .LBB14_432
; %bb.424:
	v_cmp_gt_i16_e32 vcc_lo, 6, v10
	s_mov_b32 s0, -1
	s_cbranch_vccnz .LBB14_430
; %bb.425:
	v_cmp_lt_i16_e32 vcc_lo, 6, v10
	s_cbranch_vccz .LBB14_427
; %bb.426:
	s_bfe_i32 s0, s7, 0x80000
	s_delay_alu instid0(SALU_CYCLE_1) | instskip(NEXT) | instid1(SALU_CYCLE_1)
	s_sext_i32_i16 s0, s0
	v_cvt_f64_i32_e32 v[3:4], s0
	s_mov_b32 s0, 0
	global_store_b64 v[0:1], v[3:4], off
.LBB14_427:
	s_and_not1_b32 vcc_lo, exec_lo, s0
	s_cbranch_vccnz .LBB14_429
; %bb.428:
	s_bfe_i32 s0, s7, 0x80000
	s_delay_alu instid0(SALU_CYCLE_1) | instskip(NEXT) | instid1(SALU_CYCLE_1)
	s_sext_i32_i16 s0, s0
	v_cvt_f32_i32_e32 v3, s0
	global_store_b32 v[0:1], v3, off
.LBB14_429:
	s_mov_b32 s0, 0
.LBB14_430:
	s_delay_alu instid0(SALU_CYCLE_1)
	s_and_not1_b32 vcc_lo, exec_lo, s0
	s_cbranch_vccnz .LBB14_432
; %bb.431:
	s_bfe_i32 s0, s7, 0x80000
	s_delay_alu instid0(SALU_CYCLE_1)
	v_cvt_f16_i16_e32 v3, s0
	global_store_b16 v[0:1], v3, off
.LBB14_432:
	s_mov_b32 s0, 0
.LBB14_433:
	s_delay_alu instid0(SALU_CYCLE_1)
	s_and_not1_b32 vcc_lo, exec_lo, s0
	s_cbranch_vccnz .LBB14_449
; %bb.434:
	v_cmp_gt_i16_e32 vcc_lo, 2, v10
	s_mov_b32 s0, -1
	s_cbranch_vccnz .LBB14_444
; %bb.435:
	v_cmp_gt_i16_e32 vcc_lo, 3, v10
	s_cbranch_vccnz .LBB14_441
; %bb.436:
	v_cmp_lt_i16_e32 vcc_lo, 3, v10
	s_cbranch_vccz .LBB14_438
; %bb.437:
	v_mov_b32_e32 v3, s7
	s_mov_b32 s0, 0
	s_delay_alu instid0(VALU_DEP_1) | instskip(NEXT) | instid1(VALU_DEP_1)
	v_bfe_i32 v3, v3, 0, 8
	v_ashrrev_i32_e32 v4, 31, v3
	global_store_b64 v[0:1], v[3:4], off
.LBB14_438:
	s_and_not1_b32 vcc_lo, exec_lo, s0
	s_cbranch_vccnz .LBB14_440
; %bb.439:
	s_sext_i32_i8 s0, s7
	s_delay_alu instid0(SALU_CYCLE_1)
	v_mov_b32_e32 v3, s0
	global_store_b32 v[0:1], v3, off
.LBB14_440:
	s_mov_b32 s0, 0
.LBB14_441:
	s_delay_alu instid0(SALU_CYCLE_1)
	s_and_not1_b32 vcc_lo, exec_lo, s0
	s_cbranch_vccnz .LBB14_443
; %bb.442:
	s_bfe_i32 s0, s7, 0x80000
	s_delay_alu instid0(SALU_CYCLE_1)
	v_mov_b32_e32 v3, s0
	global_store_b16 v[0:1], v3, off
.LBB14_443:
	s_mov_b32 s0, 0
.LBB14_444:
	s_delay_alu instid0(SALU_CYCLE_1)
	s_and_not1_b32 vcc_lo, exec_lo, s0
	s_cbranch_vccnz .LBB14_449
; %bb.445:
	v_cmp_lt_i16_e32 vcc_lo, 0, v10
	s_mov_b32 s0, -1
	s_cbranch_vccz .LBB14_447
; %bb.446:
	v_mov_b32_e32 v3, s7
	s_mov_b32 s0, 0
	global_store_b8 v[0:1], v3, off
.LBB14_447:
	s_and_not1_b32 vcc_lo, exec_lo, s0
	s_cbranch_vccnz .LBB14_449
; %bb.448:
	v_mov_b32_e32 v3, s7
	global_store_b8 v[0:1], v3, off
.LBB14_449:
	s_branch .LBB14_616
.LBB14_450:
	s_cbranch_execnz .LBB14_452
; %bb.451:
	s_or_b32 s3, s1, exec_lo
	s_cbranch_execz .LBB14_380
	s_branch .LBB14_381
.LBB14_452:
	s_trap 2
	s_sendmsg_rtn_b32 s0, sendmsg(MSG_RTN_GET_DOORBELL)
	s_mov_b32 ttmp2, m0
	s_waitcnt lgkmcnt(0)
	s_and_b32 s0, s0, 0x3ff
	s_delay_alu instid0(SALU_CYCLE_1) | instskip(NEXT) | instid1(SALU_CYCLE_1)
	s_bitset1_b32 s0, 10
	s_mov_b32 m0, s0
	s_sendmsg sendmsg(MSG_INTERRUPT)
	s_mov_b32 m0, ttmp2
.LBB14_453:                             ; =>This Inner Loop Header: Depth=1
	s_sethalt 5
	s_branch .LBB14_453
.LBB14_454:
	s_mov_b32 s11, -1
	s_mov_b32 s10, 0
                                        ; implicit-def: $sgpr12
.LBB14_455:
	v_mov_b32_e32 v3, s12
	s_and_not1_b32 vcc_lo, exec_lo, s11
                                        ; implicit-def: $sgpr11
	s_cbranch_vccnz .LBB14_457
; %bb.456:
	v_add_f32_e64 v3, 0x46000000, |s9|
	s_mov_b32 s11, 0
	s_delay_alu instid0(VALU_DEP_1) | instskip(NEXT) | instid1(VALU_DEP_1)
	v_and_b32_e32 v3, 0xff, v3
	v_cmp_ne_u32_e64 s10, 0, v3
.LBB14_457:
	v_mov_b32_e32 v4, s11
	s_delay_alu instid0(VALU_DEP_2)
	s_and_not1_b32 vcc_lo, exec_lo, s10
	s_cbranch_vccnz .LBB14_459
; %bb.458:
	s_lshr_b32 s9, s9, 24
	s_delay_alu instid0(SALU_CYCLE_1) | instskip(NEXT) | instid1(SALU_CYCLE_1)
	s_and_b32 s9, s9, 0x80
	v_or_b32_e32 v4, s9, v3
.LBB14_459:
	global_store_b8 v[0:1], v4, off
.LBB14_460:
	s_mov_b32 s9, -1
.LBB14_461:
	s_mov_b32 s10, 0
.LBB14_462:
	s_delay_alu instid0(SALU_CYCLE_1)
	s_and_b32 vcc_lo, exec_lo, s10
	s_cbranch_vccz .LBB14_611
; %bb.463:
	v_cmp_lt_i16_e32 vcc_lo, 22, v10
	s_mov_b32 s8, -1
	s_cbranch_vccz .LBB14_604
; %bb.464:
	v_cmp_gt_i16_e32 vcc_lo, 24, v10
	s_cbranch_vccnz .LBB14_591
; %bb.465:
	v_cmp_lt_i16_e32 vcc_lo, 24, v10
	s_cbranch_vccz .LBB14_578
; %bb.466:
	s_bfe_i32 s8, s7, 0x80000
	v_mov_b32_e32 v4, 0x80
	s_sext_i32_i16 s8, s8
	s_delay_alu instid0(SALU_CYCLE_1) | instskip(NEXT) | instid1(VALU_DEP_1)
	v_cvt_f32_i32_e32 v3, s8
	v_readfirstlane_b32 s8, v3
	s_delay_alu instid0(VALU_DEP_1) | instskip(NEXT) | instid1(SALU_CYCLE_1)
	s_and_b32 s9, s8, 0x7fffffff
	s_cmp_gt_u32 s9, 0x477fffff
	s_cbranch_scc1 .LBB14_577
; %bb.467:
	s_cmp_gt_u32 s9, 0x37ffffff
	s_cbranch_scc0 .LBB14_572
; %bb.468:
	s_bfe_u32 s9, s8, 0x10015
	s_mov_b32 s10, 0
	s_add_i32 s9, s8, s9
	s_delay_alu instid0(SALU_CYCLE_1) | instskip(NEXT) | instid1(SALU_CYCLE_1)
	s_add_i32 s9, s9, 0x88fffff
	s_lshr_b32 s11, s9, 21
	s_mov_b32 s9, -1
	s_branch .LBB14_573
.LBB14_469:
	s_mov_b32 s36, -1
	s_mov_b32 s35, 0
	s_mov_b32 s1, s31
.LBB14_470:
	s_and_b32 vcc_lo, exec_lo, s36
	s_cbranch_vccz .LBB14_473
; %bb.471:
	v_cmp_eq_u16_e32 vcc_lo, 44, v10
	s_mov_b32 s1, -1
	s_cbranch_vccz .LBB14_473
; %bb.472:
	v_cndmask_b32_e64 v2, v19, 0xff, s0
	s_mov_b32 s35, -1
	s_mov_b32 s1, 0
	global_store_b8 v[8:9], v2, off
.LBB14_473:
	s_mov_b32 s36, 0
.LBB14_474:
	s_delay_alu instid0(SALU_CYCLE_1)
	s_and_b32 vcc_lo, exec_lo, s36
	s_cbranch_vccz .LBB14_477
; %bb.475:
	v_cmp_eq_u16_e32 vcc_lo, 29, v10
	s_mov_b32 s1, -1
	s_cbranch_vccz .LBB14_477
; %bb.476:
	s_mov_b32 s35, -1
	s_mov_b32 s1, 0
	global_store_b64 v[8:9], v[6:7], off
.LBB14_477:
	s_mov_b32 s36, 0
.LBB14_478:
	s_delay_alu instid0(SALU_CYCLE_1)
	s_and_b32 vcc_lo, exec_lo, s36
	s_cbranch_vccz .LBB14_491
; %bb.479:
	v_cmp_gt_i16_e32 vcc_lo, 27, v10
	s_mov_b32 s35, -1
	s_cbranch_vccnz .LBB14_485
; %bb.480:
	v_cmp_lt_i16_e32 vcc_lo, 27, v10
	s_cbranch_vccz .LBB14_482
; %bb.481:
	v_mov_b32_e32 v2, s9
	s_mov_b32 s35, 0
	global_store_b32 v[8:9], v2, off
.LBB14_482:
	s_and_not1_b32 vcc_lo, exec_lo, s35
	s_cbranch_vccnz .LBB14_484
; %bb.483:
	v_mov_b32_e32 v2, s8
	global_store_b16 v[8:9], v2, off
.LBB14_484:
	s_mov_b32 s35, 0
.LBB14_485:
	s_delay_alu instid0(SALU_CYCLE_1)
	s_and_not1_b32 vcc_lo, exec_lo, s35
	s_cbranch_vccnz .LBB14_490
; %bb.486:
	v_mov_b32_e32 v2, 0x80
	s_and_not1_b32 vcc_lo, exec_lo, s24
	s_cbranch_vccnz .LBB14_489
; %bb.487:
	v_mov_b32_e32 v2, 0
	s_or_b32 s35, s20, s27
	s_delay_alu instid0(SALU_CYCLE_1)
	s_and_not1_b32 vcc_lo, exec_lo, s35
	s_cbranch_vccnz .LBB14_489
; %bb.488:
	v_cndmask_b32_e64 v2, v17, s26, s20
	s_delay_alu instid0(VALU_DEP_1)
	v_or_b32_e32 v2, v2, v15
.LBB14_489:
	global_store_b8 v[8:9], v2, off
.LBB14_490:
	s_mov_b32 s35, -1
.LBB14_491:
	s_mov_b32 s36, 0
.LBB14_492:
	s_delay_alu instid0(SALU_CYCLE_1)
	s_and_b32 vcc_lo, exec_lo, s36
	s_cbranch_vccz .LBB14_514
; %bb.493:
	v_cmp_lt_i16_e32 vcc_lo, 22, v10
	s_mov_b32 s36, -1
	s_cbranch_vccz .LBB14_506
; %bb.494:
	v_cmp_gt_i16_e32 vcc_lo, 24, v10
	s_mov_b32 s35, -1
	s_cbranch_vccnz .LBB14_503
; %bb.495:
	v_cmp_lt_i16_e32 vcc_lo, 24, v10
	s_cbranch_vccz .LBB14_500
; %bb.496:
	v_mov_b32_e32 v2, 0x80
	s_and_not1_b32 vcc_lo, exec_lo, s23
	s_cbranch_vccnz .LBB14_499
; %bb.497:
	v_mov_b32_e32 v2, 0
	s_or_b32 s35, s17, s25
	s_delay_alu instid0(SALU_CYCLE_1)
	s_and_not1_b32 vcc_lo, exec_lo, s35
	s_cbranch_vccnz .LBB14_499
; %bb.498:
	v_cndmask_b32_e64 v2, v16, s21, s17
	s_delay_alu instid0(VALU_DEP_1)
	v_or_b32_e32 v2, v2, v15
.LBB14_499:
	s_mov_b32 s35, 0
	global_store_b8 v[8:9], v2, off
.LBB14_500:
	s_and_b32 vcc_lo, exec_lo, s35
	s_cbranch_vccz .LBB14_502
; %bb.501:
	s_and_b32 s35, s15, exec_lo
	s_cselect_b32 s35, s19, s18
	s_and_b32 s36, s13, exec_lo
	s_cselect_b32 s35, s22, s35
	s_delay_alu instid0(SALU_CYCLE_1)
	v_or_b32_e32 v2, s35, v15
	global_store_b8 v[8:9], v2, off
.LBB14_502:
	s_mov_b32 s35, 0
.LBB14_503:
	s_delay_alu instid0(SALU_CYCLE_1)
	s_and_not1_b32 vcc_lo, exec_lo, s35
	s_cbranch_vccnz .LBB14_505
; %bb.504:
	s_and_b32 s35, s11, exec_lo
	s_cselect_b32 s35, s14, s12
	s_and_b32 s36, s10, exec_lo
	s_cselect_b32 s35, s16, s35
	s_delay_alu instid0(SALU_CYCLE_1)
	v_or_b32_e32 v2, s35, v15
	global_store_b8 v[8:9], v2, off
.LBB14_505:
	s_mov_b32 s36, 0
	s_mov_b32 s35, -1
.LBB14_506:
	s_and_not1_b32 vcc_lo, exec_lo, s36
	s_cbranch_vccnz .LBB14_514
; %bb.507:
	v_cmp_lt_i16_e32 vcc_lo, 14, v10
	s_mov_b32 s36, -1
	s_cbranch_vccz .LBB14_511
; %bb.508:
	v_cmp_eq_u16_e32 vcc_lo, 15, v10
	s_mov_b32 s1, -1
	s_cbranch_vccz .LBB14_510
; %bb.509:
	s_mov_b32 s35, -1
	s_mov_b32 s1, 0
	global_store_b16 v[8:9], v14, off
.LBB14_510:
	s_mov_b32 s36, 0
.LBB14_511:
	s_delay_alu instid0(SALU_CYCLE_1)
	s_and_b32 vcc_lo, exec_lo, s36
	s_cbranch_vccz .LBB14_514
; %bb.512:
	v_cmp_eq_u16_e32 vcc_lo, 11, v10
	s_mov_b32 s1, -1
	s_cbranch_vccz .LBB14_514
; %bb.513:
	s_mov_b32 s35, -1
	s_mov_b32 s1, 0
	global_store_b8 v[8:9], v13, off
.LBB14_514:
	s_mov_b32 s36, 0
.LBB14_515:
	s_delay_alu instid0(SALU_CYCLE_1)
	s_and_b32 vcc_lo, exec_lo, s36
	s_cbranch_vccz .LBB14_554
; %bb.516:
	v_cmp_gt_i16_e32 vcc_lo, 5, v10
	s_mov_b32 s35, -1
	s_cbranch_vccnz .LBB14_537
; %bb.517:
	v_cmp_gt_i16_e32 vcc_lo, 8, v10
	s_cbranch_vccnz .LBB14_527
; %bb.518:
	v_cmp_gt_i16_e32 vcc_lo, 9, v10
	s_cbranch_vccnz .LBB14_524
; %bb.519:
	v_cmp_lt_i16_e32 vcc_lo, 9, v10
	s_cbranch_vccz .LBB14_521
; %bb.520:
	v_mov_b32_e32 v2, 0
	s_mov_b32 s35, 0
	s_delay_alu instid0(VALU_DEP_1)
	v_mov_b32_e32 v3, v2
	global_store_b128 v[8:9], v[0:3], off
.LBB14_521:
	s_and_not1_b32 vcc_lo, exec_lo, s35
	s_cbranch_vccnz .LBB14_523
; %bb.522:
	v_mov_b32_e32 v5, 0
	global_store_b64 v[8:9], v[4:5], off
.LBB14_523:
	s_mov_b32 s35, 0
.LBB14_524:
	s_delay_alu instid0(SALU_CYCLE_1)
	s_and_not1_b32 vcc_lo, exec_lo, s35
	s_cbranch_vccnz .LBB14_526
; %bb.525:
	global_store_b32 v[8:9], v12, off
.LBB14_526:
	s_mov_b32 s35, 0
.LBB14_527:
	s_delay_alu instid0(SALU_CYCLE_1)
	s_and_not1_b32 vcc_lo, exec_lo, s35
	s_cbranch_vccnz .LBB14_536
; %bb.528:
	v_cmp_gt_i16_e32 vcc_lo, 6, v10
	s_mov_b32 s35, -1
	s_cbranch_vccnz .LBB14_534
; %bb.529:
	v_cmp_lt_i16_e32 vcc_lo, 6, v10
	s_cbranch_vccz .LBB14_531
; %bb.530:
	s_mov_b32 s35, 0
	global_store_b64 v[8:9], v[0:1], off
.LBB14_531:
	s_and_not1_b32 vcc_lo, exec_lo, s35
	s_cbranch_vccnz .LBB14_533
; %bb.532:
	global_store_b32 v[8:9], v4, off
.LBB14_533:
	s_mov_b32 s35, 0
.LBB14_534:
	s_delay_alu instid0(SALU_CYCLE_1)
	s_and_not1_b32 vcc_lo, exec_lo, s35
	s_cbranch_vccnz .LBB14_536
; %bb.535:
	global_store_b16 v[8:9], v11, off
.LBB14_536:
	s_mov_b32 s35, 0
.LBB14_537:
	s_delay_alu instid0(SALU_CYCLE_1)
	s_and_not1_b32 vcc_lo, exec_lo, s35
	s_cbranch_vccnz .LBB14_553
; %bb.538:
	v_cmp_gt_i16_e32 vcc_lo, 2, v10
	s_mov_b32 s35, -1
	s_cbranch_vccnz .LBB14_548
; %bb.539:
	v_cmp_gt_i16_e32 vcc_lo, 3, v10
	s_cbranch_vccnz .LBB14_545
; %bb.540:
	v_cmp_lt_i16_e32 vcc_lo, 3, v10
	s_cbranch_vccz .LBB14_542
; %bb.541:
	s_mov_b32 s35, 0
	global_store_b64 v[8:9], v[6:7], off
.LBB14_542:
	s_and_not1_b32 vcc_lo, exec_lo, s35
	s_cbranch_vccnz .LBB14_544
; %bb.543:
	v_mov_b32_e32 v2, s9
	global_store_b32 v[8:9], v2, off
.LBB14_544:
	s_mov_b32 s35, 0
.LBB14_545:
	s_delay_alu instid0(SALU_CYCLE_1)
	s_and_not1_b32 vcc_lo, exec_lo, s35
	s_cbranch_vccnz .LBB14_547
; %bb.546:
	v_mov_b32_e32 v2, s8
	global_store_b16 v[8:9], v2, off
.LBB14_547:
	s_mov_b32 s35, 0
.LBB14_548:
	s_delay_alu instid0(SALU_CYCLE_1)
	s_and_not1_b32 vcc_lo, exec_lo, s35
	s_cbranch_vccnz .LBB14_553
; %bb.549:
	v_cmp_lt_i16_e32 vcc_lo, 0, v10
	s_mov_b32 s35, -1
	s_cbranch_vccz .LBB14_551
; %bb.550:
	v_mov_b32_e32 v2, s7
	s_mov_b32 s35, 0
	global_store_b8 v[8:9], v2, off
.LBB14_551:
	s_and_not1_b32 vcc_lo, exec_lo, s35
	s_cbranch_vccnz .LBB14_553
; %bb.552:
	v_mov_b32_e32 v2, s7
	global_store_b8 v[8:9], v2, off
.LBB14_553:
	s_mov_b32 s35, -1
.LBB14_554:
	s_delay_alu instid0(SALU_CYCLE_1)
	s_and_not1_b32 vcc_lo, exec_lo, s35
	s_cbranch_vccnz .LBB14_556
; %bb.555:
	v_add_nc_u32_e32 v18, 0x80, v18
	s_mov_b32 s36, -1
	s_branch .LBB14_557
.LBB14_556:
	s_mov_b32 s36, 0
                                        ; implicit-def: $vgpr18
.LBB14_557:
	s_and_not1_b32 s35, s31, exec_lo
	s_and_b32 s1, s1, exec_lo
	s_or_not1_b32 s37, s36, exec_lo
	s_or_b32 s35, s35, s1
.LBB14_558:
	s_or_b32 exec_lo, exec_lo, s34
	s_mov_b32 s1, 0
	s_mov_b32 s36, 0
                                        ; implicit-def: $vgpr8_vgpr9
	s_and_saveexec_b32 s34, s37
	s_cbranch_execz .LBB14_789
; %bb.559:
	v_cmp_gt_i32_e32 vcc_lo, s28, v18
	s_mov_b32 s37, s35
                                        ; implicit-def: $vgpr8_vgpr9
	s_and_saveexec_b32 s28, vcc_lo
	s_cbranch_execz .LBB14_788
; %bb.560:
	v_mul_lo_u32 v2, v18, s6
	v_cmp_gt_i16_e32 vcc_lo, 11, v10
	s_delay_alu instid0(VALU_DEP_2) | instskip(SKIP_1) | instid1(VALU_DEP_1)
	v_ashrrev_i32_e32 v3, 31, v2
	v_add_co_u32 v8, s1, s4, v2
	v_add_co_ci_u32_e64 v9, s1, s5, v3, s1
	s_cbranch_vccnz .LBB14_571
; %bb.561:
	v_cmp_lt_i16_e32 vcc_lo, 25, v10
	s_mov_b32 s36, -1
	s_mov_b32 s1, s35
	s_cbranch_vccz .LBB14_765
; %bb.562:
	v_cmp_lt_i16_e32 vcc_lo, 28, v10
	s_mov_b32 s1, s35
	s_cbranch_vccz .LBB14_752
; %bb.563:
	v_cmp_lt_i16_e32 vcc_lo, 43, v10
	;; [unrolled: 4-line block ×3, first 2 shown]
	s_mov_b32 s1, s35
	s_cbranch_vccz .LBB14_568
; %bb.565:
	v_cmp_eq_u16_e32 vcc_lo, 46, v10
	s_mov_b32 s1, -1
	s_cbranch_vccz .LBB14_567
; %bb.566:
	s_mov_b32 s1, 0
	global_store_b32 v[8:9], v14, off
.LBB14_567:
	s_mov_b32 s36, 0
.LBB14_568:
	s_delay_alu instid0(SALU_CYCLE_1)
	s_and_b32 vcc_lo, exec_lo, s36
	s_cbranch_vccz .LBB14_747
; %bb.569:
	v_cmp_eq_u16_e32 vcc_lo, 44, v10
	s_mov_b32 s1, -1
	s_cbranch_vccz .LBB14_747
; %bb.570:
	v_cndmask_b32_e64 v2, v19, 0xff, s0
	s_mov_b32 s1, 0
	s_mov_b32 s36, 0
	global_store_b8 v[8:9], v2, off
	s_branch .LBB14_748
.LBB14_571:
	s_mov_b32 s10, 0
	s_mov_b32 s0, -1
	s_mov_b32 s1, s35
	s_branch .LBB14_787
.LBB14_572:
	s_mov_b32 s10, -1
	s_mov_b32 s9, 0
                                        ; implicit-def: $sgpr11
.LBB14_573:
	v_mov_b32_e32 v3, s11
	s_and_not1_b32 vcc_lo, exec_lo, s10
                                        ; implicit-def: $sgpr10
	s_cbranch_vccnz .LBB14_575
; %bb.574:
	v_add_f32_e64 v3, 0x42800000, |s8|
	s_mov_b32 s10, 0
	s_delay_alu instid0(VALU_DEP_1) | instskip(NEXT) | instid1(VALU_DEP_1)
	v_and_b32_e32 v3, 0xff, v3
	v_cmp_ne_u32_e64 s9, 0, v3
.LBB14_575:
	v_mov_b32_e32 v4, s10
	s_delay_alu instid0(VALU_DEP_2)
	s_and_not1_b32 vcc_lo, exec_lo, s9
	s_cbranch_vccnz .LBB14_577
; %bb.576:
	s_lshr_b32 s8, s8, 24
	s_delay_alu instid0(SALU_CYCLE_1) | instskip(NEXT) | instid1(SALU_CYCLE_1)
	s_and_b32 s8, s8, 0x80
	v_or_b32_e32 v4, s8, v3
.LBB14_577:
	s_mov_b32 s8, 0
	global_store_b8 v[0:1], v4, off
.LBB14_578:
	s_and_b32 vcc_lo, exec_lo, s8
	s_cbranch_vccz .LBB14_590
; %bb.579:
	s_bfe_i32 s8, s7, 0x80000
	s_delay_alu instid0(SALU_CYCLE_1) | instskip(NEXT) | instid1(SALU_CYCLE_1)
	s_sext_i32_i16 s8, s8
	v_cvt_f32_i32_e32 v3, s8
	s_delay_alu instid0(VALU_DEP_1) | instskip(NEXT) | instid1(VALU_DEP_1)
	v_readfirstlane_b32 s8, v3
	s_and_b32 s9, s8, 0x7fffffff
	s_delay_alu instid0(SALU_CYCLE_1)
	s_cmp_lt_u32 s9, 0x43f00000
	s_cbranch_scc0 .LBB14_582
; %bb.580:
	s_cmp_gt_u32 s9, 0x3c7fffff
	s_cbranch_scc0 .LBB14_583
; %bb.581:
	s_bfe_u32 s10, s8, 0x10014
	s_delay_alu instid0(SALU_CYCLE_1) | instskip(NEXT) | instid1(SALU_CYCLE_1)
	s_add_i32 s10, s8, s10
	s_add_i32 s10, s10, 0x407ffff
	s_delay_alu instid0(SALU_CYCLE_1)
	s_and_b32 s11, s10, 0xff00000
	s_lshr_b32 s10, s10, 20
	s_cmp_lg_u32 s11, 0x7f00000
	s_cselect_b32 s11, s10, 0x7e
	s_mov_b32 s10, 0
	s_branch .LBB14_584
.LBB14_582:
	s_mov_b32 s10, -1
                                        ; implicit-def: $vgpr4
	s_branch .LBB14_587
.LBB14_583:
	s_mov_b32 s10, -1
                                        ; implicit-def: $sgpr11
.LBB14_584:
	v_mov_b32_e32 v4, s11
	s_and_not1_b32 vcc_lo, exec_lo, s10
	s_cbranch_vccnz .LBB14_586
; %bb.585:
	v_add_f32_e64 v4, 0x46800000, |v3|
.LBB14_586:
	s_mov_b32 s10, 0
.LBB14_587:
	s_delay_alu instid0(SALU_CYCLE_1)
	s_and_not1_b32 vcc_lo, exec_lo, s10
	s_cbranch_vccnz .LBB14_589
; %bb.588:
	s_cmp_gt_u32 s9, 0x7f800000
	s_movk_i32 s9, 0x7f
	s_delay_alu instid0(SALU_CYCLE_1) | instskip(NEXT) | instid1(SALU_CYCLE_1)
	s_cselect_b32 s9, s9, 0x7e
	v_mov_b32_e32 v4, s9
.LBB14_589:
	s_lshr_b32 s8, s8, 24
	s_delay_alu instid0(SALU_CYCLE_1)
	s_and_b32 s8, s8, 0x80
	s_delay_alu instid0(VALU_DEP_1) | instid1(SALU_CYCLE_1)
	v_or_b32_e32 v3, s8, v4
	global_store_b8 v[0:1], v3, off
.LBB14_590:
	s_mov_b32 s8, 0
.LBB14_591:
	s_delay_alu instid0(SALU_CYCLE_1)
	s_and_not1_b32 vcc_lo, exec_lo, s8
	s_cbranch_vccnz .LBB14_603
; %bb.592:
	s_bfe_i32 s8, s7, 0x80000
	s_delay_alu instid0(SALU_CYCLE_1) | instskip(NEXT) | instid1(SALU_CYCLE_1)
	s_sext_i32_i16 s8, s8
	v_cvt_f32_i32_e32 v3, s8
	s_delay_alu instid0(VALU_DEP_1) | instskip(NEXT) | instid1(VALU_DEP_1)
	v_readfirstlane_b32 s8, v3
	s_and_b32 s9, s8, 0x7fffffff
	s_delay_alu instid0(SALU_CYCLE_1)
	s_cmp_lt_u32 s9, 0x47800000
	s_cbranch_scc0 .LBB14_595
; %bb.593:
	s_cmp_gt_u32 s9, 0x387fffff
	s_cbranch_scc0 .LBB14_596
; %bb.594:
	s_bfe_u32 s10, s8, 0x10015
	s_delay_alu instid0(SALU_CYCLE_1) | instskip(NEXT) | instid1(SALU_CYCLE_1)
	s_add_i32 s10, s8, s10
	s_add_i32 s10, s10, 0x80fffff
	s_delay_alu instid0(SALU_CYCLE_1)
	s_lshr_b32 s11, s10, 21
	s_mov_b32 s10, 0
	s_branch .LBB14_597
.LBB14_595:
	s_mov_b32 s10, -1
                                        ; implicit-def: $vgpr4
	s_branch .LBB14_600
.LBB14_596:
	s_mov_b32 s10, -1
                                        ; implicit-def: $sgpr11
.LBB14_597:
	v_mov_b32_e32 v4, s11
	s_and_not1_b32 vcc_lo, exec_lo, s10
	s_cbranch_vccnz .LBB14_599
; %bb.598:
	v_add_f32_e64 v4, 0x43000000, |v3|
.LBB14_599:
	s_mov_b32 s10, 0
.LBB14_600:
	s_delay_alu instid0(SALU_CYCLE_1)
	s_and_not1_b32 vcc_lo, exec_lo, s10
	s_cbranch_vccnz .LBB14_602
; %bb.601:
	s_cmp_gt_u32 s9, 0x7f800000
	s_movk_i32 s9, 0x7f
	s_delay_alu instid0(SALU_CYCLE_1) | instskip(NEXT) | instid1(SALU_CYCLE_1)
	s_cselect_b32 s9, s9, 0x7c
	v_mov_b32_e32 v4, s9
.LBB14_602:
	s_lshr_b32 s8, s8, 24
	s_delay_alu instid0(SALU_CYCLE_1)
	s_and_b32 s8, s8, 0x80
	s_delay_alu instid0(VALU_DEP_1) | instid1(SALU_CYCLE_1)
	v_or_b32_e32 v3, s8, v4
	global_store_b8 v[0:1], v3, off
.LBB14_603:
	s_mov_b32 s8, 0
	s_mov_b32 s9, -1
.LBB14_604:
	s_and_not1_b32 vcc_lo, exec_lo, s8
	s_mov_b32 s8, 0
	s_cbranch_vccnz .LBB14_611
; %bb.605:
	v_cmp_lt_i16_e32 vcc_lo, 14, v10
	s_mov_b32 s8, -1
	s_cbranch_vccz .LBB14_609
; %bb.606:
	v_cmp_eq_u16_e32 vcc_lo, 15, v10
	s_mov_b32 s0, -1
	s_cbranch_vccz .LBB14_608
; %bb.607:
	s_bfe_i32 s0, s7, 0x80000
	s_mov_b32 s9, -1
	s_sext_i32_i16 s0, s0
	s_delay_alu instid0(SALU_CYCLE_1) | instskip(SKIP_1) | instid1(VALU_DEP_1)
	v_cvt_f32_i32_e32 v3, s0
	s_mov_b32 s0, 0
	v_bfe_u32 v4, v3, 16, 1
	s_delay_alu instid0(VALU_DEP_1) | instskip(NEXT) | instid1(VALU_DEP_1)
	v_add_nc_u32_e32 v3, v3, v4
	v_add_nc_u32_e32 v3, 0x7fff, v3
	global_store_d16_hi_b16 v[0:1], v3, off
.LBB14_608:
	s_mov_b32 s8, 0
.LBB14_609:
	s_delay_alu instid0(SALU_CYCLE_1)
	s_and_b32 vcc_lo, exec_lo, s8
	s_mov_b32 s8, 0
	s_cbranch_vccz .LBB14_611
; %bb.610:
	v_cmp_ne_u16_e64 s0, 11, v10
	s_mov_b32 s8, -1
.LBB14_611:
	s_delay_alu instid0(VALU_DEP_1)
	s_and_b32 vcc_lo, exec_lo, s0
	s_cbranch_vccnz .LBB14_728
; %bb.612:
	s_and_not1_b32 vcc_lo, exec_lo, s8
	s_cbranch_vccnz .LBB14_614
.LBB14_613:
	v_and_b32_e64 v3, 0xff, s7
	s_mov_b32 s9, -1
	s_delay_alu instid0(VALU_DEP_1)
	v_cmp_ne_u16_e32 vcc_lo, 0, v3
	v_cndmask_b32_e64 v3, 0, 1, vcc_lo
	global_store_b8 v[0:1], v3, off
.LBB14_614:
.LBB14_615:
	s_and_not1_b32 vcc_lo, exec_lo, s9
	s_cbranch_vccnz .LBB14_683
.LBB14_616:
	v_add_nc_u32_e32 v2, s6, v2
	v_cmp_gt_i16_e32 vcc_lo, 11, v10
	s_delay_alu instid0(VALU_DEP_2) | instskip(SKIP_1) | instid1(VALU_DEP_1)
	v_ashrrev_i32_e32 v1, 31, v2
	v_add_co_u32 v0, s0, s4, v2
	v_add_co_ci_u32_e64 v1, s0, s5, v1, s0
	s_cbranch_vccnz .LBB14_644
; %bb.617:
	v_cmp_lt_i16_e32 vcc_lo, 25, v10
	s_mov_b32 s10, -1
	s_mov_b32 s8, 0
	s_mov_b32 s9, 0
	;; [unrolled: 1-line block ×3, first 2 shown]
	s_cbranch_vccz .LBB14_740
; %bb.618:
	v_cmp_lt_i16_e32 vcc_lo, 28, v10
	s_cbranch_vccz .LBB14_633
; %bb.619:
	v_cmp_lt_i16_e32 vcc_lo, 43, v10
	s_cbranch_vccz .LBB14_629
; %bb.620:
	v_cmp_lt_i16_e32 vcc_lo, 45, v10
	s_cbranch_vccz .LBB14_623
; %bb.621:
	v_cmp_eq_u16_e32 vcc_lo, 46, v10
	s_mov_b32 s0, -1
	s_mov_b32 s10, 0
	s_cbranch_vccz .LBB14_623
; %bb.622:
	s_bfe_i32 s0, s7, 0x80000
	s_mov_b32 s9, -1
	s_sext_i32_i16 s0, s0
	s_delay_alu instid0(SALU_CYCLE_1) | instskip(SKIP_1) | instid1(VALU_DEP_1)
	v_cvt_f32_i32_e32 v3, s0
	s_mov_b32 s0, 0
	v_bfe_u32 v4, v3, 16, 1
	s_delay_alu instid0(VALU_DEP_1) | instskip(NEXT) | instid1(VALU_DEP_1)
	v_add_nc_u32_e32 v3, v3, v4
	v_add_nc_u32_e32 v3, 0x7fff, v3
	s_delay_alu instid0(VALU_DEP_1)
	v_lshrrev_b32_e32 v3, 16, v3
	global_store_b32 v[0:1], v3, off
.LBB14_623:
	s_and_b32 vcc_lo, exec_lo, s10
	s_cbranch_vccz .LBB14_628
; %bb.624:
	v_cmp_eq_u16_e32 vcc_lo, 44, v10
	s_mov_b32 s0, -1
	s_cbranch_vccz .LBB14_628
; %bb.625:
	s_bfe_i32 s0, s7, 0x80000
	v_mov_b32_e32 v4, 0xff
	s_sext_i32_i16 s0, s0
	s_delay_alu instid0(SALU_CYCLE_1) | instskip(NEXT) | instid1(VALU_DEP_1)
	v_cvt_f32_i32_e32 v3, s0
	v_readfirstlane_b32 s0, v3
	s_delay_alu instid0(VALU_DEP_1) | instskip(NEXT) | instid1(SALU_CYCLE_1)
	s_bfe_u32 s9, s0, 0x80017
	s_cmpk_eq_i32 s9, 0xff
	s_cbranch_scc1 .LBB14_627
; %bb.626:
	s_bitcmp1_b32 s0, 22
	v_lshrrev_b32_e32 v3, 23, v3
	s_cselect_b32 s10, -1, 0
	s_and_b32 s0, s0, 0x3fffff
	s_delay_alu instid0(SALU_CYCLE_1) | instskip(NEXT) | instid1(SALU_CYCLE_1)
	s_or_b32 s0, s9, s0
	s_cmp_lg_u32 s0, 0
	s_cselect_b32 s0, -1, 0
	s_delay_alu instid0(SALU_CYCLE_1) | instskip(NEXT) | instid1(SALU_CYCLE_1)
	s_and_b32 s0, s10, s0
	v_cndmask_b32_e64 v4, 0, 1, s0
	s_delay_alu instid0(VALU_DEP_1)
	v_add_nc_u32_e32 v4, v3, v4
.LBB14_627:
	s_mov_b32 s0, 0
	s_mov_b32 s9, -1
	global_store_b8 v[0:1], v4, off
.LBB14_628:
	s_mov_b32 s10, 0
.LBB14_629:
	s_delay_alu instid0(SALU_CYCLE_1)
	s_and_b32 vcc_lo, exec_lo, s10
	s_cbranch_vccz .LBB14_632
; %bb.630:
	v_cmp_eq_u16_e32 vcc_lo, 29, v10
	s_mov_b32 s0, -1
	s_cbranch_vccz .LBB14_632
; %bb.631:
	v_mov_b32_e32 v3, s7
	s_mov_b32 s0, 0
	s_mov_b32 s9, -1
	s_delay_alu instid0(VALU_DEP_1) | instskip(NEXT) | instid1(VALU_DEP_1)
	v_bfe_i32 v3, v3, 0, 8
	v_ashrrev_i32_e32 v4, 31, v3
	global_store_b64 v[0:1], v[3:4], off
.LBB14_632:
	s_mov_b32 s10, 0
.LBB14_633:
	s_delay_alu instid0(SALU_CYCLE_1)
	s_and_b32 vcc_lo, exec_lo, s10
	s_cbranch_vccz .LBB14_739
; %bb.634:
	v_cmp_gt_i16_e32 vcc_lo, 27, v10
	s_mov_b32 s9, -1
	s_cbranch_vccnz .LBB14_640
; %bb.635:
	v_cmp_lt_i16_e32 vcc_lo, 27, v10
	s_cbranch_vccz .LBB14_637
; %bb.636:
	s_sext_i32_i8 s9, s7
	s_delay_alu instid0(SALU_CYCLE_1)
	v_mov_b32_e32 v3, s9
	s_mov_b32 s9, 0
	global_store_b32 v[0:1], v3, off
.LBB14_637:
	s_and_not1_b32 vcc_lo, exec_lo, s9
	s_cbranch_vccnz .LBB14_639
; %bb.638:
	s_bfe_i32 s9, s7, 0x80000
	s_delay_alu instid0(SALU_CYCLE_1)
	v_mov_b32_e32 v3, s9
	global_store_b16 v[0:1], v3, off
.LBB14_639:
	s_mov_b32 s9, 0
.LBB14_640:
	s_delay_alu instid0(SALU_CYCLE_1)
	s_and_not1_b32 vcc_lo, exec_lo, s9
	s_cbranch_vccnz .LBB14_738
; %bb.641:
	s_bfe_i32 s9, s7, 0x80000
	v_mov_b32_e32 v4, 0x80
	s_sext_i32_i16 s9, s9
	s_delay_alu instid0(SALU_CYCLE_1) | instskip(NEXT) | instid1(VALU_DEP_1)
	v_cvt_f32_i32_e32 v3, s9
	v_readfirstlane_b32 s9, v3
	s_delay_alu instid0(VALU_DEP_1) | instskip(NEXT) | instid1(SALU_CYCLE_1)
	s_and_b32 s10, s9, 0x7fffffff
	s_cmp_gt_u32 s10, 0x437fffff
	s_cbranch_scc1 .LBB14_737
; %bb.642:
	s_cmp_gt_u32 s10, 0x3bffffff
	s_cbranch_scc0 .LBB14_732
; %bb.643:
	s_bfe_u32 s10, s9, 0x10014
	s_mov_b32 s11, 0
	s_add_i32 s10, s9, s10
	s_delay_alu instid0(SALU_CYCLE_1) | instskip(NEXT) | instid1(SALU_CYCLE_1)
	s_add_i32 s10, s10, 0x487ffff
	s_lshr_b32 s12, s10, 20
	s_mov_b32 s10, -1
	s_branch .LBB14_733
.LBB14_644:
	s_mov_b32 s9, 0
	s_cbranch_execz .LBB14_838
; %bb.645:
	v_cmp_gt_i16_e32 vcc_lo, 5, v10
	s_mov_b32 s0, -1
	s_cbranch_vccnz .LBB14_666
; %bb.646:
	v_cmp_gt_i16_e32 vcc_lo, 8, v10
	s_cbranch_vccnz .LBB14_656
; %bb.647:
	v_cmp_gt_i16_e32 vcc_lo, 9, v10
	s_cbranch_vccnz .LBB14_653
; %bb.648:
	v_cmp_lt_i16_e32 vcc_lo, 9, v10
	s_cbranch_vccz .LBB14_650
; %bb.649:
	s_bfe_i32 s0, s7, 0x80000
	v_mov_b32_e32 v5, 0
	s_sext_i32_i16 s0, s0
	s_delay_alu instid0(SALU_CYCLE_1) | instskip(SKIP_1) | instid1(VALU_DEP_2)
	v_cvt_f64_i32_e32 v[3:4], s0
	s_mov_b32 s0, 0
	v_mov_b32_e32 v6, v5
	global_store_b128 v[0:1], v[3:6], off
.LBB14_650:
	s_and_not1_b32 vcc_lo, exec_lo, s0
	s_cbranch_vccnz .LBB14_652
; %bb.651:
	s_bfe_i32 s0, s7, 0x80000
	v_mov_b32_e32 v4, 0
	s_sext_i32_i16 s0, s0
	s_delay_alu instid0(SALU_CYCLE_1)
	v_cvt_f32_i32_e32 v3, s0
	global_store_b64 v[0:1], v[3:4], off
.LBB14_652:
	s_mov_b32 s0, 0
.LBB14_653:
	s_delay_alu instid0(SALU_CYCLE_1)
	s_and_not1_b32 vcc_lo, exec_lo, s0
	s_cbranch_vccnz .LBB14_655
; %bb.654:
	s_bfe_i32 s0, s7, 0x80000
	s_delay_alu instid0(SALU_CYCLE_1) | instskip(NEXT) | instid1(VALU_DEP_1)
	v_cvt_f16_i16_e32 v3, s0
	v_and_b32_e32 v3, 0xffff, v3
	global_store_b32 v[0:1], v3, off
.LBB14_655:
	s_mov_b32 s0, 0
.LBB14_656:
	s_delay_alu instid0(SALU_CYCLE_1)
	s_and_not1_b32 vcc_lo, exec_lo, s0
	s_cbranch_vccnz .LBB14_665
; %bb.657:
	v_cmp_gt_i16_e32 vcc_lo, 6, v10
	s_mov_b32 s0, -1
	s_cbranch_vccnz .LBB14_663
; %bb.658:
	v_cmp_lt_i16_e32 vcc_lo, 6, v10
	s_cbranch_vccz .LBB14_660
; %bb.659:
	s_bfe_i32 s0, s7, 0x80000
	s_delay_alu instid0(SALU_CYCLE_1) | instskip(NEXT) | instid1(SALU_CYCLE_1)
	s_sext_i32_i16 s0, s0
	v_cvt_f64_i32_e32 v[3:4], s0
	s_mov_b32 s0, 0
	global_store_b64 v[0:1], v[3:4], off
.LBB14_660:
	s_and_not1_b32 vcc_lo, exec_lo, s0
	s_cbranch_vccnz .LBB14_662
; %bb.661:
	s_bfe_i32 s0, s7, 0x80000
	s_delay_alu instid0(SALU_CYCLE_1) | instskip(NEXT) | instid1(SALU_CYCLE_1)
	s_sext_i32_i16 s0, s0
	v_cvt_f32_i32_e32 v3, s0
	global_store_b32 v[0:1], v3, off
.LBB14_662:
	s_mov_b32 s0, 0
.LBB14_663:
	s_delay_alu instid0(SALU_CYCLE_1)
	s_and_not1_b32 vcc_lo, exec_lo, s0
	s_cbranch_vccnz .LBB14_665
; %bb.664:
	s_bfe_i32 s0, s7, 0x80000
	s_delay_alu instid0(SALU_CYCLE_1)
	v_cvt_f16_i16_e32 v3, s0
	global_store_b16 v[0:1], v3, off
.LBB14_665:
	s_mov_b32 s0, 0
.LBB14_666:
	s_delay_alu instid0(SALU_CYCLE_1)
	s_and_not1_b32 vcc_lo, exec_lo, s0
	s_cbranch_vccnz .LBB14_682
; %bb.667:
	v_cmp_gt_i16_e32 vcc_lo, 2, v10
	s_mov_b32 s0, -1
	s_cbranch_vccnz .LBB14_677
; %bb.668:
	v_cmp_gt_i16_e32 vcc_lo, 3, v10
	s_cbranch_vccnz .LBB14_674
; %bb.669:
	v_cmp_lt_i16_e32 vcc_lo, 3, v10
	s_cbranch_vccz .LBB14_671
; %bb.670:
	v_mov_b32_e32 v3, s7
	s_mov_b32 s0, 0
	s_delay_alu instid0(VALU_DEP_1) | instskip(NEXT) | instid1(VALU_DEP_1)
	v_bfe_i32 v3, v3, 0, 8
	v_ashrrev_i32_e32 v4, 31, v3
	global_store_b64 v[0:1], v[3:4], off
.LBB14_671:
	s_and_not1_b32 vcc_lo, exec_lo, s0
	s_cbranch_vccnz .LBB14_673
; %bb.672:
	s_sext_i32_i8 s0, s7
	s_delay_alu instid0(SALU_CYCLE_1)
	v_mov_b32_e32 v3, s0
	global_store_b32 v[0:1], v3, off
.LBB14_673:
	s_mov_b32 s0, 0
.LBB14_674:
	s_delay_alu instid0(SALU_CYCLE_1)
	s_and_not1_b32 vcc_lo, exec_lo, s0
	s_cbranch_vccnz .LBB14_676
; %bb.675:
	s_bfe_i32 s0, s7, 0x80000
	s_delay_alu instid0(SALU_CYCLE_1)
	v_mov_b32_e32 v3, s0
	global_store_b16 v[0:1], v3, off
.LBB14_676:
	s_mov_b32 s0, 0
.LBB14_677:
	s_delay_alu instid0(SALU_CYCLE_1)
	s_and_not1_b32 vcc_lo, exec_lo, s0
	s_cbranch_vccnz .LBB14_682
; %bb.678:
	v_cmp_lt_i16_e32 vcc_lo, 0, v10
	s_mov_b32 s0, -1
	s_cbranch_vccz .LBB14_680
; %bb.679:
	v_mov_b32_e32 v3, s7
	s_mov_b32 s0, 0
	global_store_b8 v[0:1], v3, off
.LBB14_680:
	s_and_not1_b32 vcc_lo, exec_lo, s0
	s_cbranch_vccnz .LBB14_682
; %bb.681:
	v_mov_b32_e32 v3, s7
	global_store_b8 v[0:1], v3, off
.LBB14_682:
	s_branch .LBB14_839
.LBB14_683:
	s_mov_b32 s0, 0
	s_mov_b32 s4, 0
                                        ; implicit-def: $vgpr10
                                        ; implicit-def: $vgpr0_vgpr1
.LBB14_684:
	s_and_not1_b32 s1, s1, exec_lo
	s_and_b32 s5, s3, exec_lo
	s_and_b32 s0, s0, exec_lo
	;; [unrolled: 1-line block ×3, first 2 shown]
	s_or_b32 s1, s1, s5
.LBB14_685:
	s_or_b32 exec_lo, exec_lo, s2
	s_and_saveexec_b32 s2, s1
	s_cbranch_execz .LBB14_688
; %bb.686:
	; divergent unreachable
	s_or_b32 exec_lo, exec_lo, s2
	s_and_saveexec_b32 s1, s3
	s_delay_alu instid0(SALU_CYCLE_1)
	s_xor_b32 s1, exec_lo, s1
	s_cbranch_execnz .LBB14_689
.LBB14_687:
	s_or_b32 exec_lo, exec_lo, s1
	s_and_saveexec_b32 s1, s0
	s_cbranch_execnz .LBB14_690
	s_branch .LBB14_727
.LBB14_688:
	s_or_b32 exec_lo, exec_lo, s2
	s_and_saveexec_b32 s1, s3
	s_delay_alu instid0(SALU_CYCLE_1)
	s_xor_b32 s1, exec_lo, s1
	s_cbranch_execz .LBB14_687
.LBB14_689:
	v_and_b32_e64 v2, 0xff, s7
	s_delay_alu instid0(VALU_DEP_1)
	v_cmp_ne_u16_e32 vcc_lo, 0, v2
	v_cndmask_b32_e64 v2, 0, 1, vcc_lo
	global_store_b8 v[0:1], v2, off
	s_or_b32 exec_lo, exec_lo, s1
	s_and_saveexec_b32 s1, s0
	s_cbranch_execz .LBB14_727
.LBB14_690:
	v_cmp_gt_i16_e32 vcc_lo, 5, v10
	s_mov_b32 s0, -1
	s_cbranch_vccnz .LBB14_711
; %bb.691:
	v_cmp_gt_i16_e32 vcc_lo, 8, v10
	s_cbranch_vccnz .LBB14_701
; %bb.692:
	v_cmp_gt_i16_e32 vcc_lo, 9, v10
	s_cbranch_vccnz .LBB14_698
; %bb.693:
	v_cmp_lt_i16_e32 vcc_lo, 9, v10
	s_cbranch_vccz .LBB14_695
; %bb.694:
	s_bfe_i32 s0, s7, 0x80000
	v_mov_b32_e32 v4, 0
	s_sext_i32_i16 s0, s0
	s_delay_alu instid0(SALU_CYCLE_1) | instskip(SKIP_1) | instid1(VALU_DEP_2)
	v_cvt_f64_i32_e32 v[2:3], s0
	s_mov_b32 s0, 0
	v_mov_b32_e32 v5, v4
	global_store_b128 v[0:1], v[2:5], off
.LBB14_695:
	s_and_not1_b32 vcc_lo, exec_lo, s0
	s_cbranch_vccnz .LBB14_697
; %bb.696:
	s_bfe_i32 s0, s7, 0x80000
	v_mov_b32_e32 v3, 0
	s_sext_i32_i16 s0, s0
	s_delay_alu instid0(SALU_CYCLE_1)
	v_cvt_f32_i32_e32 v2, s0
	global_store_b64 v[0:1], v[2:3], off
.LBB14_697:
	s_mov_b32 s0, 0
.LBB14_698:
	s_delay_alu instid0(SALU_CYCLE_1)
	s_and_not1_b32 vcc_lo, exec_lo, s0
	s_cbranch_vccnz .LBB14_700
; %bb.699:
	s_bfe_i32 s0, s7, 0x80000
	s_delay_alu instid0(SALU_CYCLE_1) | instskip(NEXT) | instid1(VALU_DEP_1)
	v_cvt_f16_i16_e32 v2, s0
	v_and_b32_e32 v2, 0xffff, v2
	global_store_b32 v[0:1], v2, off
.LBB14_700:
	s_mov_b32 s0, 0
.LBB14_701:
	s_delay_alu instid0(SALU_CYCLE_1)
	s_and_not1_b32 vcc_lo, exec_lo, s0
	s_cbranch_vccnz .LBB14_710
; %bb.702:
	v_cmp_gt_i16_e32 vcc_lo, 6, v10
	s_mov_b32 s0, -1
	s_cbranch_vccnz .LBB14_708
; %bb.703:
	v_cmp_lt_i16_e32 vcc_lo, 6, v10
	s_cbranch_vccz .LBB14_705
; %bb.704:
	s_bfe_i32 s0, s7, 0x80000
	s_delay_alu instid0(SALU_CYCLE_1) | instskip(NEXT) | instid1(SALU_CYCLE_1)
	s_sext_i32_i16 s0, s0
	v_cvt_f64_i32_e32 v[2:3], s0
	s_mov_b32 s0, 0
	global_store_b64 v[0:1], v[2:3], off
.LBB14_705:
	s_and_not1_b32 vcc_lo, exec_lo, s0
	s_cbranch_vccnz .LBB14_707
; %bb.706:
	s_bfe_i32 s0, s7, 0x80000
	s_delay_alu instid0(SALU_CYCLE_1) | instskip(NEXT) | instid1(SALU_CYCLE_1)
	s_sext_i32_i16 s0, s0
	v_cvt_f32_i32_e32 v2, s0
	global_store_b32 v[0:1], v2, off
.LBB14_707:
	s_mov_b32 s0, 0
.LBB14_708:
	s_delay_alu instid0(SALU_CYCLE_1)
	s_and_not1_b32 vcc_lo, exec_lo, s0
	s_cbranch_vccnz .LBB14_710
; %bb.709:
	s_bfe_i32 s0, s7, 0x80000
	s_delay_alu instid0(SALU_CYCLE_1)
	v_cvt_f16_i16_e32 v2, s0
	global_store_b16 v[0:1], v2, off
.LBB14_710:
	s_mov_b32 s0, 0
.LBB14_711:
	s_delay_alu instid0(SALU_CYCLE_1)
	s_and_not1_b32 vcc_lo, exec_lo, s0
	s_cbranch_vccnz .LBB14_727
; %bb.712:
	v_cmp_gt_i16_e32 vcc_lo, 2, v10
	s_mov_b32 s0, -1
	s_cbranch_vccnz .LBB14_722
; %bb.713:
	v_cmp_gt_i16_e32 vcc_lo, 3, v10
	s_cbranch_vccnz .LBB14_719
; %bb.714:
	v_cmp_lt_i16_e32 vcc_lo, 3, v10
	s_cbranch_vccz .LBB14_716
; %bb.715:
	v_mov_b32_e32 v2, s7
	s_mov_b32 s0, 0
	s_delay_alu instid0(VALU_DEP_1) | instskip(NEXT) | instid1(VALU_DEP_1)
	v_bfe_i32 v2, v2, 0, 8
	v_ashrrev_i32_e32 v3, 31, v2
	global_store_b64 v[0:1], v[2:3], off
.LBB14_716:
	s_and_not1_b32 vcc_lo, exec_lo, s0
	s_cbranch_vccnz .LBB14_718
; %bb.717:
	s_sext_i32_i8 s0, s7
	s_delay_alu instid0(SALU_CYCLE_1)
	v_mov_b32_e32 v2, s0
	global_store_b32 v[0:1], v2, off
.LBB14_718:
	s_mov_b32 s0, 0
.LBB14_719:
	s_delay_alu instid0(SALU_CYCLE_1)
	s_and_not1_b32 vcc_lo, exec_lo, s0
	s_cbranch_vccnz .LBB14_721
; %bb.720:
	s_bfe_i32 s0, s7, 0x80000
	s_delay_alu instid0(SALU_CYCLE_1)
	v_mov_b32_e32 v2, s0
	global_store_b16 v[0:1], v2, off
.LBB14_721:
	s_mov_b32 s0, 0
.LBB14_722:
	s_delay_alu instid0(SALU_CYCLE_1)
	s_and_not1_b32 vcc_lo, exec_lo, s0
	s_cbranch_vccnz .LBB14_727
; %bb.723:
	v_cmp_lt_i16_e32 vcc_lo, 0, v10
	s_mov_b32 s0, -1
	s_cbranch_vccz .LBB14_725
; %bb.724:
	v_mov_b32_e32 v2, s7
	s_mov_b32 s0, 0
	global_store_b8 v[0:1], v2, off
.LBB14_725:
	s_and_not1_b32 vcc_lo, exec_lo, s0
	s_cbranch_vccnz .LBB14_727
; %bb.726:
	v_mov_b32_e32 v2, s7
	global_store_b8 v[0:1], v2, off
	s_nop 0
	s_sendmsg sendmsg(MSG_DEALLOC_VGPRS)
	s_endpgm
.LBB14_727:
	s_nop 0
	s_sendmsg sendmsg(MSG_DEALLOC_VGPRS)
	s_endpgm
.LBB14_728:
	s_cbranch_execnz .LBB14_730
; %bb.729:
	s_or_b32 s3, s3, exec_lo
	s_cbranch_execz .LBB14_613
	s_branch .LBB14_614
.LBB14_730:
	s_trap 2
	s_sendmsg_rtn_b32 s0, sendmsg(MSG_RTN_GET_DOORBELL)
	s_mov_b32 ttmp2, m0
	s_waitcnt lgkmcnt(0)
	s_and_b32 s0, s0, 0x3ff
	s_delay_alu instid0(SALU_CYCLE_1) | instskip(NEXT) | instid1(SALU_CYCLE_1)
	s_bitset1_b32 s0, 10
	s_mov_b32 m0, s0
	s_sendmsg sendmsg(MSG_INTERRUPT)
	s_mov_b32 m0, ttmp2
.LBB14_731:                             ; =>This Inner Loop Header: Depth=1
	s_sethalt 5
	s_branch .LBB14_731
.LBB14_732:
	s_mov_b32 s11, -1
	s_mov_b32 s10, 0
                                        ; implicit-def: $sgpr12
.LBB14_733:
	v_mov_b32_e32 v3, s12
	s_and_not1_b32 vcc_lo, exec_lo, s11
                                        ; implicit-def: $sgpr11
	s_cbranch_vccnz .LBB14_735
; %bb.734:
	v_add_f32_e64 v3, 0x46000000, |s9|
	s_mov_b32 s11, 0
	s_delay_alu instid0(VALU_DEP_1) | instskip(NEXT) | instid1(VALU_DEP_1)
	v_and_b32_e32 v3, 0xff, v3
	v_cmp_ne_u32_e64 s10, 0, v3
.LBB14_735:
	v_mov_b32_e32 v4, s11
	s_delay_alu instid0(VALU_DEP_2)
	s_and_not1_b32 vcc_lo, exec_lo, s10
	s_cbranch_vccnz .LBB14_737
; %bb.736:
	s_lshr_b32 s9, s9, 24
	s_delay_alu instid0(SALU_CYCLE_1) | instskip(NEXT) | instid1(SALU_CYCLE_1)
	s_and_b32 s9, s9, 0x80
	v_or_b32_e32 v4, s9, v3
.LBB14_737:
	global_store_b8 v[0:1], v4, off
.LBB14_738:
	s_mov_b32 s9, -1
.LBB14_739:
	s_mov_b32 s10, 0
.LBB14_740:
	s_delay_alu instid0(SALU_CYCLE_1)
	s_and_b32 vcc_lo, exec_lo, s10
	s_cbranch_vccz .LBB14_834
; %bb.741:
	v_cmp_lt_i16_e32 vcc_lo, 22, v10
	s_mov_b32 s8, -1
	s_cbranch_vccz .LBB14_827
; %bb.742:
	v_cmp_gt_i16_e32 vcc_lo, 24, v10
	s_cbranch_vccnz .LBB14_814
; %bb.743:
	v_cmp_lt_i16_e32 vcc_lo, 24, v10
	s_cbranch_vccz .LBB14_801
; %bb.744:
	s_bfe_i32 s8, s7, 0x80000
	v_mov_b32_e32 v4, 0x80
	s_sext_i32_i16 s8, s8
	s_delay_alu instid0(SALU_CYCLE_1) | instskip(NEXT) | instid1(VALU_DEP_1)
	v_cvt_f32_i32_e32 v3, s8
	v_readfirstlane_b32 s8, v3
	s_delay_alu instid0(VALU_DEP_1) | instskip(NEXT) | instid1(SALU_CYCLE_1)
	s_and_b32 s9, s8, 0x7fffffff
	s_cmp_gt_u32 s9, 0x477fffff
	s_cbranch_scc1 .LBB14_800
; %bb.745:
	s_cmp_gt_u32 s9, 0x37ffffff
	s_cbranch_scc0 .LBB14_795
; %bb.746:
	s_bfe_u32 s9, s8, 0x10015
	s_mov_b32 s10, 0
	s_add_i32 s9, s8, s9
	s_delay_alu instid0(SALU_CYCLE_1) | instskip(NEXT) | instid1(SALU_CYCLE_1)
	s_add_i32 s9, s9, 0x88fffff
	s_lshr_b32 s11, s9, 21
	s_mov_b32 s9, -1
	s_branch .LBB14_796
.LBB14_747:
	s_mov_b32 s36, 0
.LBB14_748:
	s_delay_alu instid0(SALU_CYCLE_1)
	s_and_b32 vcc_lo, exec_lo, s36
	s_cbranch_vccz .LBB14_751
; %bb.749:
	v_cmp_eq_u16_e32 vcc_lo, 29, v10
	s_mov_b32 s1, -1
	s_cbranch_vccz .LBB14_751
; %bb.750:
	s_mov_b32 s1, 0
	global_store_b64 v[8:9], v[6:7], off
.LBB14_751:
	s_mov_b32 s36, 0
.LBB14_752:
	s_delay_alu instid0(SALU_CYCLE_1)
	s_and_b32 vcc_lo, exec_lo, s36
	s_cbranch_vccz .LBB14_764
; %bb.753:
	v_cmp_gt_i16_e32 vcc_lo, 27, v10
	s_mov_b32 s0, -1
	s_cbranch_vccnz .LBB14_759
; %bb.754:
	v_cmp_lt_i16_e32 vcc_lo, 27, v10
	s_cbranch_vccz .LBB14_756
; %bb.755:
	v_mov_b32_e32 v2, s9
	s_mov_b32 s0, 0
	global_store_b32 v[8:9], v2, off
.LBB14_756:
	s_and_not1_b32 vcc_lo, exec_lo, s0
	s_cbranch_vccnz .LBB14_758
; %bb.757:
	v_mov_b32_e32 v2, s8
	global_store_b16 v[8:9], v2, off
.LBB14_758:
	s_mov_b32 s0, 0
.LBB14_759:
	s_delay_alu instid0(SALU_CYCLE_1)
	s_and_not1_b32 vcc_lo, exec_lo, s0
	s_cbranch_vccnz .LBB14_764
; %bb.760:
	v_mov_b32_e32 v2, 0x80
	s_and_not1_b32 vcc_lo, exec_lo, s24
	s_cbranch_vccnz .LBB14_763
; %bb.761:
	v_mov_b32_e32 v2, 0
	s_or_b32 s0, s20, s27
	s_delay_alu instid0(SALU_CYCLE_1)
	s_and_not1_b32 vcc_lo, exec_lo, s0
	s_cbranch_vccnz .LBB14_763
; %bb.762:
	v_cndmask_b32_e64 v2, v17, s26, s20
	s_delay_alu instid0(VALU_DEP_1)
	v_or_b32_e32 v2, v2, v15
.LBB14_763:
	global_store_b8 v[8:9], v2, off
.LBB14_764:
	s_mov_b32 s36, 0
.LBB14_765:
	s_delay_alu instid0(SALU_CYCLE_1)
	s_and_b32 vcc_lo, exec_lo, s36
	s_mov_b32 s0, 0
	s_cbranch_vccz .LBB14_786
; %bb.766:
	v_cmp_lt_i16_e32 vcc_lo, 22, v10
	s_mov_b32 s20, -1
	s_cbranch_vccz .LBB14_779
; %bb.767:
	v_cmp_gt_i16_e32 vcc_lo, 24, v10
	s_cbranch_vccnz .LBB14_776
; %bb.768:
	v_cmp_lt_i16_e32 vcc_lo, 24, v10
	s_cbranch_vccz .LBB14_773
; %bb.769:
	v_mov_b32_e32 v2, 0x80
	s_and_not1_b32 vcc_lo, exec_lo, s23
	s_cbranch_vccnz .LBB14_772
; %bb.770:
	v_mov_b32_e32 v2, 0
	s_or_b32 s20, s17, s25
	s_delay_alu instid0(SALU_CYCLE_1)
	s_and_not1_b32 vcc_lo, exec_lo, s20
	s_cbranch_vccnz .LBB14_772
; %bb.771:
	v_cndmask_b32_e64 v2, v16, s21, s17
	s_delay_alu instid0(VALU_DEP_1)
	v_or_b32_e32 v2, v2, v15
.LBB14_772:
	s_mov_b32 s20, 0
	global_store_b8 v[8:9], v2, off
.LBB14_773:
	s_and_b32 vcc_lo, exec_lo, s20
	s_cbranch_vccz .LBB14_775
; %bb.774:
	s_and_b32 s15, s15, exec_lo
	s_cselect_b32 s15, s19, s18
	s_and_b32 s13, s13, exec_lo
	s_cselect_b32 s13, s22, s15
	s_delay_alu instid0(SALU_CYCLE_1)
	v_or_b32_e32 v2, s13, v15
	global_store_b8 v[8:9], v2, off
.LBB14_775:
	s_mov_b32 s20, 0
.LBB14_776:
	s_delay_alu instid0(SALU_CYCLE_1)
	s_and_not1_b32 vcc_lo, exec_lo, s20
	s_cbranch_vccnz .LBB14_778
; %bb.777:
	s_and_b32 s11, s11, exec_lo
	s_cselect_b32 s11, s14, s12
	s_and_b32 s10, s10, exec_lo
	s_cselect_b32 s10, s16, s11
	s_delay_alu instid0(SALU_CYCLE_1)
	v_or_b32_e32 v2, s10, v15
	global_store_b8 v[8:9], v2, off
.LBB14_778:
	s_mov_b32 s20, 0
.LBB14_779:
	s_delay_alu instid0(SALU_CYCLE_1)
	s_and_not1_b32 vcc_lo, exec_lo, s20
	s_mov_b32 s10, 0
	s_cbranch_vccnz .LBB14_787
; %bb.780:
	v_cmp_lt_i16_e32 vcc_lo, 14, v10
	s_mov_b32 s10, -1
	s_cbranch_vccz .LBB14_784
; %bb.781:
	v_cmp_eq_u16_e32 vcc_lo, 15, v10
	s_mov_b32 s1, -1
	s_cbranch_vccz .LBB14_783
; %bb.782:
	s_mov_b32 s1, 0
	global_store_b16 v[8:9], v14, off
.LBB14_783:
	s_mov_b32 s10, 0
.LBB14_784:
	s_delay_alu instid0(SALU_CYCLE_1)
	s_and_b32 vcc_lo, exec_lo, s10
	s_mov_b32 s10, 0
	s_cbranch_vccz .LBB14_787
; %bb.785:
	v_cmp_ne_u16_e32 vcc_lo, 11, v10
	s_and_not1_b32 s1, s1, exec_lo
	s_mov_b32 s10, -1
	s_and_b32 s11, vcc_lo, exec_lo
	s_delay_alu instid0(SALU_CYCLE_1)
	s_or_b32 s1, s1, s11
	s_branch .LBB14_787
.LBB14_786:
	s_mov_b32 s10, 0
.LBB14_787:
	s_and_b32 s36, s0, exec_lo
	s_and_not1_b32 s0, s35, exec_lo
	s_and_b32 s11, s1, exec_lo
	s_and_b32 s1, s10, exec_lo
	s_or_b32 s37, s0, s11
.LBB14_788:
	s_or_b32 exec_lo, exec_lo, s28
	s_delay_alu instid0(SALU_CYCLE_1)
	s_and_not1_b32 s0, s35, exec_lo
	s_and_b32 s10, s37, exec_lo
	s_and_b32 s36, s36, exec_lo
	;; [unrolled: 1-line block ×3, first 2 shown]
	s_or_b32 s35, s0, s10
.LBB14_789:
	s_or_b32 exec_lo, exec_lo, s34
	s_delay_alu instid0(SALU_CYCLE_1)
	s_and_not1_b32 s0, s31, exec_lo
	s_and_b32 s10, s35, exec_lo
	s_and_b32 s36, s36, exec_lo
	;; [unrolled: 1-line block ×3, first 2 shown]
	s_or_b32 s31, s0, s10
.LBB14_790:
	s_or_b32 exec_lo, exec_lo, s33
	s_delay_alu instid0(SALU_CYCLE_1)
	s_and_not1_b32 s0, s29, exec_lo
	s_and_b32 s10, s31, exec_lo
	s_and_b32 s1, s36, exec_lo
	;; [unrolled: 1-line block ×3, first 2 shown]
	s_or_b32 s29, s0, s10
	s_or_b32 exec_lo, exec_lo, s30
	s_mov_b32 s0, 0
	s_and_saveexec_b32 s10, s29
	s_cbranch_execz .LBB14_110
.LBB14_791:
	s_cbranch_execnz .LBB14_793
; %bb.792:
	s_mov_b32 s0, exec_lo
	s_and_not1_b32 s31, s31, exec_lo
	s_or_b32 exec_lo, exec_lo, s10
	s_and_saveexec_b32 s10, s31
	s_delay_alu instid0(SALU_CYCLE_1)
	s_xor_b32 s10, exec_lo, s10
	s_cbranch_execnz .LBB14_111
	s_branch .LBB14_112
.LBB14_793:
	s_trap 2
	s_sendmsg_rtn_b32 s0, sendmsg(MSG_RTN_GET_DOORBELL)
	s_mov_b32 ttmp2, m0
	s_waitcnt lgkmcnt(0)
	s_and_b32 s0, s0, 0x3ff
	s_delay_alu instid0(SALU_CYCLE_1) | instskip(NEXT) | instid1(SALU_CYCLE_1)
	s_bitset1_b32 s0, 10
	s_mov_b32 m0, s0
	s_sendmsg sendmsg(MSG_INTERRUPT)
	s_mov_b32 m0, ttmp2
.LBB14_794:                             ; =>This Inner Loop Header: Depth=1
	s_sethalt 5
	s_branch .LBB14_794
.LBB14_795:
	s_mov_b32 s10, -1
	s_mov_b32 s9, 0
                                        ; implicit-def: $sgpr11
.LBB14_796:
	v_mov_b32_e32 v3, s11
	s_and_not1_b32 vcc_lo, exec_lo, s10
                                        ; implicit-def: $sgpr10
	s_cbranch_vccnz .LBB14_798
; %bb.797:
	v_add_f32_e64 v3, 0x42800000, |s8|
	s_mov_b32 s10, 0
	s_delay_alu instid0(VALU_DEP_1) | instskip(NEXT) | instid1(VALU_DEP_1)
	v_and_b32_e32 v3, 0xff, v3
	v_cmp_ne_u32_e64 s9, 0, v3
.LBB14_798:
	v_mov_b32_e32 v4, s10
	s_delay_alu instid0(VALU_DEP_2)
	s_and_not1_b32 vcc_lo, exec_lo, s9
	s_cbranch_vccnz .LBB14_800
; %bb.799:
	s_lshr_b32 s8, s8, 24
	s_delay_alu instid0(SALU_CYCLE_1) | instskip(NEXT) | instid1(SALU_CYCLE_1)
	s_and_b32 s8, s8, 0x80
	v_or_b32_e32 v4, s8, v3
.LBB14_800:
	s_mov_b32 s8, 0
	global_store_b8 v[0:1], v4, off
.LBB14_801:
	s_and_b32 vcc_lo, exec_lo, s8
	s_cbranch_vccz .LBB14_813
; %bb.802:
	s_bfe_i32 s8, s7, 0x80000
	s_delay_alu instid0(SALU_CYCLE_1) | instskip(NEXT) | instid1(SALU_CYCLE_1)
	s_sext_i32_i16 s8, s8
	v_cvt_f32_i32_e32 v3, s8
	s_delay_alu instid0(VALU_DEP_1) | instskip(NEXT) | instid1(VALU_DEP_1)
	v_readfirstlane_b32 s8, v3
	s_and_b32 s9, s8, 0x7fffffff
	s_delay_alu instid0(SALU_CYCLE_1)
	s_cmp_lt_u32 s9, 0x43f00000
	s_cbranch_scc0 .LBB14_805
; %bb.803:
	s_cmp_gt_u32 s9, 0x3c7fffff
	s_cbranch_scc0 .LBB14_806
; %bb.804:
	s_bfe_u32 s10, s8, 0x10014
	s_delay_alu instid0(SALU_CYCLE_1) | instskip(NEXT) | instid1(SALU_CYCLE_1)
	s_add_i32 s10, s8, s10
	s_add_i32 s10, s10, 0x407ffff
	s_delay_alu instid0(SALU_CYCLE_1)
	s_and_b32 s11, s10, 0xff00000
	s_lshr_b32 s10, s10, 20
	s_cmp_lg_u32 s11, 0x7f00000
	s_cselect_b32 s11, s10, 0x7e
	s_mov_b32 s10, 0
	s_branch .LBB14_807
.LBB14_805:
	s_mov_b32 s10, -1
                                        ; implicit-def: $vgpr4
	s_branch .LBB14_810
.LBB14_806:
	s_mov_b32 s10, -1
                                        ; implicit-def: $sgpr11
.LBB14_807:
	v_mov_b32_e32 v4, s11
	s_and_not1_b32 vcc_lo, exec_lo, s10
	s_cbranch_vccnz .LBB14_809
; %bb.808:
	v_add_f32_e64 v4, 0x46800000, |v3|
.LBB14_809:
	s_mov_b32 s10, 0
.LBB14_810:
	s_delay_alu instid0(SALU_CYCLE_1)
	s_and_not1_b32 vcc_lo, exec_lo, s10
	s_cbranch_vccnz .LBB14_812
; %bb.811:
	s_cmp_gt_u32 s9, 0x7f800000
	s_movk_i32 s9, 0x7f
	s_delay_alu instid0(SALU_CYCLE_1) | instskip(NEXT) | instid1(SALU_CYCLE_1)
	s_cselect_b32 s9, s9, 0x7e
	v_mov_b32_e32 v4, s9
.LBB14_812:
	s_lshr_b32 s8, s8, 24
	s_delay_alu instid0(SALU_CYCLE_1)
	s_and_b32 s8, s8, 0x80
	s_delay_alu instid0(VALU_DEP_1) | instid1(SALU_CYCLE_1)
	v_or_b32_e32 v3, s8, v4
	global_store_b8 v[0:1], v3, off
.LBB14_813:
	s_mov_b32 s8, 0
.LBB14_814:
	s_delay_alu instid0(SALU_CYCLE_1)
	s_and_not1_b32 vcc_lo, exec_lo, s8
	s_cbranch_vccnz .LBB14_826
; %bb.815:
	s_bfe_i32 s8, s7, 0x80000
	s_delay_alu instid0(SALU_CYCLE_1) | instskip(NEXT) | instid1(SALU_CYCLE_1)
	s_sext_i32_i16 s8, s8
	v_cvt_f32_i32_e32 v3, s8
	s_delay_alu instid0(VALU_DEP_1) | instskip(NEXT) | instid1(VALU_DEP_1)
	v_readfirstlane_b32 s8, v3
	s_and_b32 s9, s8, 0x7fffffff
	s_delay_alu instid0(SALU_CYCLE_1)
	s_cmp_lt_u32 s9, 0x47800000
	s_cbranch_scc0 .LBB14_818
; %bb.816:
	s_cmp_gt_u32 s9, 0x387fffff
	s_cbranch_scc0 .LBB14_819
; %bb.817:
	s_bfe_u32 s10, s8, 0x10015
	s_delay_alu instid0(SALU_CYCLE_1) | instskip(NEXT) | instid1(SALU_CYCLE_1)
	s_add_i32 s10, s8, s10
	s_add_i32 s10, s10, 0x80fffff
	s_delay_alu instid0(SALU_CYCLE_1)
	s_lshr_b32 s11, s10, 21
	s_mov_b32 s10, 0
	s_branch .LBB14_820
.LBB14_818:
	s_mov_b32 s10, -1
                                        ; implicit-def: $vgpr4
	s_branch .LBB14_823
.LBB14_819:
	s_mov_b32 s10, -1
                                        ; implicit-def: $sgpr11
.LBB14_820:
	v_mov_b32_e32 v4, s11
	s_and_not1_b32 vcc_lo, exec_lo, s10
	s_cbranch_vccnz .LBB14_822
; %bb.821:
	v_add_f32_e64 v4, 0x43000000, |v3|
.LBB14_822:
	s_mov_b32 s10, 0
.LBB14_823:
	s_delay_alu instid0(SALU_CYCLE_1)
	s_and_not1_b32 vcc_lo, exec_lo, s10
	s_cbranch_vccnz .LBB14_825
; %bb.824:
	s_cmp_gt_u32 s9, 0x7f800000
	s_movk_i32 s9, 0x7f
	s_delay_alu instid0(SALU_CYCLE_1) | instskip(NEXT) | instid1(SALU_CYCLE_1)
	s_cselect_b32 s9, s9, 0x7c
	v_mov_b32_e32 v4, s9
.LBB14_825:
	s_lshr_b32 s8, s8, 24
	s_delay_alu instid0(SALU_CYCLE_1)
	s_and_b32 s8, s8, 0x80
	s_delay_alu instid0(VALU_DEP_1) | instid1(SALU_CYCLE_1)
	v_or_b32_e32 v3, s8, v4
	global_store_b8 v[0:1], v3, off
.LBB14_826:
	s_mov_b32 s8, 0
	s_mov_b32 s9, -1
.LBB14_827:
	s_and_not1_b32 vcc_lo, exec_lo, s8
	s_mov_b32 s8, 0
	s_cbranch_vccnz .LBB14_834
; %bb.828:
	v_cmp_lt_i16_e32 vcc_lo, 14, v10
	s_mov_b32 s8, -1
	s_cbranch_vccz .LBB14_832
; %bb.829:
	v_cmp_eq_u16_e32 vcc_lo, 15, v10
	s_mov_b32 s0, -1
	s_cbranch_vccz .LBB14_831
; %bb.830:
	s_bfe_i32 s0, s7, 0x80000
	s_mov_b32 s9, -1
	s_sext_i32_i16 s0, s0
	s_delay_alu instid0(SALU_CYCLE_1) | instskip(SKIP_1) | instid1(VALU_DEP_1)
	v_cvt_f32_i32_e32 v3, s0
	s_mov_b32 s0, 0
	v_bfe_u32 v4, v3, 16, 1
	s_delay_alu instid0(VALU_DEP_1) | instskip(NEXT) | instid1(VALU_DEP_1)
	v_add_nc_u32_e32 v3, v3, v4
	v_add_nc_u32_e32 v3, 0x7fff, v3
	global_store_d16_hi_b16 v[0:1], v3, off
.LBB14_831:
	s_mov_b32 s8, 0
.LBB14_832:
	s_delay_alu instid0(SALU_CYCLE_1)
	s_and_b32 vcc_lo, exec_lo, s8
	s_mov_b32 s8, 0
	s_cbranch_vccz .LBB14_834
; %bb.833:
	v_cmp_ne_u16_e64 s0, 11, v10
	s_mov_b32 s8, -1
.LBB14_834:
	s_delay_alu instid0(VALU_DEP_1)
	s_and_b32 vcc_lo, exec_lo, s0
	s_cbranch_vccnz .LBB14_869
; %bb.835:
	s_and_not1_b32 vcc_lo, exec_lo, s8
	s_cbranch_vccnz .LBB14_837
.LBB14_836:
	v_and_b32_e64 v3, 0xff, s7
	s_mov_b32 s9, -1
	s_delay_alu instid0(VALU_DEP_1)
	v_cmp_ne_u16_e32 vcc_lo, 0, v3
	v_cndmask_b32_e64 v3, 0, 1, vcc_lo
	global_store_b8 v[0:1], v3, off
.LBB14_837:
.LBB14_838:
	s_and_not1_b32 vcc_lo, exec_lo, s9
	s_cbranch_vccnz .LBB14_683
.LBB14_839:
	v_add_nc_u32_e32 v0, s6, v2
	v_cmp_gt_i16_e32 vcc_lo, 11, v10
	s_delay_alu instid0(VALU_DEP_2) | instskip(SKIP_1) | instid1(VALU_DEP_1)
	v_ashrrev_i32_e32 v1, 31, v0
	v_add_co_u32 v0, s0, s4, v0
	v_add_co_ci_u32_e64 v1, s0, s5, v1, s0
	s_cbranch_vccnz .LBB14_868
; %bb.840:
	v_cmp_lt_i16_e32 vcc_lo, 25, v10
	s_mov_b32 s5, -1
	s_mov_b32 s4, 0
	s_mov_b32 s0, 0
	s_cbranch_vccz .LBB14_880
; %bb.841:
	v_cmp_lt_i16_e32 vcc_lo, 28, v10
	s_cbranch_vccz .LBB14_857
; %bb.842:
	v_cmp_lt_i16_e32 vcc_lo, 43, v10
	;; [unrolled: 3-line block ×3, first 2 shown]
	s_cbranch_vccz .LBB14_847
; %bb.844:
	v_cmp_eq_u16_e32 vcc_lo, 46, v10
	s_mov_b32 s0, -1
	s_cbranch_vccz .LBB14_846
; %bb.845:
	s_bfe_i32 s0, s7, 0x80000
	s_delay_alu instid0(SALU_CYCLE_1) | instskip(NEXT) | instid1(SALU_CYCLE_1)
	s_sext_i32_i16 s0, s0
	v_cvt_f32_i32_e32 v2, s0
	s_mov_b32 s0, 0
	s_delay_alu instid0(VALU_DEP_1) | instskip(NEXT) | instid1(VALU_DEP_1)
	v_bfe_u32 v3, v2, 16, 1
	v_add_nc_u32_e32 v2, v2, v3
	s_delay_alu instid0(VALU_DEP_1) | instskip(NEXT) | instid1(VALU_DEP_1)
	v_add_nc_u32_e32 v2, 0x7fff, v2
	v_lshrrev_b32_e32 v2, 16, v2
	global_store_b32 v[0:1], v2, off
.LBB14_846:
	s_mov_b32 s5, 0
.LBB14_847:
	s_delay_alu instid0(SALU_CYCLE_1)
	s_and_b32 vcc_lo, exec_lo, s5
	s_cbranch_vccz .LBB14_852
; %bb.848:
	v_cmp_eq_u16_e32 vcc_lo, 44, v10
	s_mov_b32 s0, -1
	s_cbranch_vccz .LBB14_852
; %bb.849:
	s_bfe_i32 s0, s7, 0x80000
	v_mov_b32_e32 v3, 0xff
	s_sext_i32_i16 s0, s0
	s_delay_alu instid0(SALU_CYCLE_1) | instskip(NEXT) | instid1(VALU_DEP_1)
	v_cvt_f32_i32_e32 v2, s0
	v_readfirstlane_b32 s0, v2
	s_delay_alu instid0(VALU_DEP_1) | instskip(NEXT) | instid1(SALU_CYCLE_1)
	s_bfe_u32 s5, s0, 0x80017
	s_cmpk_eq_i32 s5, 0xff
	s_cbranch_scc1 .LBB14_851
; %bb.850:
	s_bitcmp1_b32 s0, 22
	v_lshrrev_b32_e32 v2, 23, v2
	s_cselect_b32 s6, -1, 0
	s_and_b32 s0, s0, 0x3fffff
	s_delay_alu instid0(SALU_CYCLE_1) | instskip(NEXT) | instid1(SALU_CYCLE_1)
	s_or_b32 s0, s5, s0
	s_cmp_lg_u32 s0, 0
	s_cselect_b32 s0, -1, 0
	s_delay_alu instid0(SALU_CYCLE_1) | instskip(NEXT) | instid1(SALU_CYCLE_1)
	s_and_b32 s0, s6, s0
	v_cndmask_b32_e64 v3, 0, 1, s0
	s_delay_alu instid0(VALU_DEP_1)
	v_add_nc_u32_e32 v3, v2, v3
.LBB14_851:
	s_mov_b32 s0, 0
	global_store_b8 v[0:1], v3, off
.LBB14_852:
	s_mov_b32 s5, 0
.LBB14_853:
	s_delay_alu instid0(SALU_CYCLE_1)
	s_and_b32 vcc_lo, exec_lo, s5
	s_cbranch_vccz .LBB14_856
; %bb.854:
	v_cmp_eq_u16_e32 vcc_lo, 29, v10
	s_mov_b32 s0, -1
	s_cbranch_vccz .LBB14_856
; %bb.855:
	v_mov_b32_e32 v2, s7
	s_mov_b32 s0, 0
	s_delay_alu instid0(VALU_DEP_1) | instskip(NEXT) | instid1(VALU_DEP_1)
	v_bfe_i32 v2, v2, 0, 8
	v_ashrrev_i32_e32 v3, 31, v2
	global_store_b64 v[0:1], v[2:3], off
.LBB14_856:
	s_mov_b32 s5, 0
.LBB14_857:
	s_delay_alu instid0(SALU_CYCLE_1)
	s_and_b32 vcc_lo, exec_lo, s5
	s_cbranch_vccz .LBB14_879
; %bb.858:
	v_cmp_gt_i16_e32 vcc_lo, 27, v10
	s_mov_b32 s5, -1
	s_cbranch_vccnz .LBB14_864
; %bb.859:
	v_cmp_lt_i16_e32 vcc_lo, 27, v10
	s_cbranch_vccz .LBB14_861
; %bb.860:
	s_sext_i32_i8 s5, s7
	s_delay_alu instid0(SALU_CYCLE_1)
	v_mov_b32_e32 v2, s5
	s_mov_b32 s5, 0
	global_store_b32 v[0:1], v2, off
.LBB14_861:
	s_and_not1_b32 vcc_lo, exec_lo, s5
	s_cbranch_vccnz .LBB14_863
; %bb.862:
	s_bfe_i32 s5, s7, 0x80000
	s_delay_alu instid0(SALU_CYCLE_1)
	v_mov_b32_e32 v2, s5
	global_store_b16 v[0:1], v2, off
.LBB14_863:
	s_mov_b32 s5, 0
.LBB14_864:
	s_delay_alu instid0(SALU_CYCLE_1)
	s_and_not1_b32 vcc_lo, exec_lo, s5
	s_cbranch_vccnz .LBB14_879
; %bb.865:
	s_bfe_i32 s5, s7, 0x80000
	v_mov_b32_e32 v3, 0x80
	s_sext_i32_i16 s5, s5
	s_delay_alu instid0(SALU_CYCLE_1) | instskip(NEXT) | instid1(VALU_DEP_1)
	v_cvt_f32_i32_e32 v2, s5
	v_readfirstlane_b32 s5, v2
	s_delay_alu instid0(VALU_DEP_1) | instskip(NEXT) | instid1(SALU_CYCLE_1)
	s_and_b32 s6, s5, 0x7fffffff
	s_cmp_gt_u32 s6, 0x437fffff
	s_cbranch_scc1 .LBB14_878
; %bb.866:
	s_cmp_gt_u32 s6, 0x3bffffff
	s_cbranch_scc0 .LBB14_873
; %bb.867:
	s_bfe_u32 s6, s5, 0x10014
	s_mov_b32 s8, 0
	s_add_i32 s6, s5, s6
	s_delay_alu instid0(SALU_CYCLE_1) | instskip(NEXT) | instid1(SALU_CYCLE_1)
	s_add_i32 s6, s6, 0x487ffff
	s_lshr_b32 s9, s6, 20
	s_mov_b32 s6, -1
	s_branch .LBB14_874
.LBB14_868:
	s_mov_b32 s4, 0
	s_mov_b32 s0, -1
	s_branch .LBB14_684
.LBB14_869:
	s_cbranch_execnz .LBB14_871
; %bb.870:
	s_or_b32 s3, s3, exec_lo
	s_cbranch_execz .LBB14_836
	s_branch .LBB14_837
.LBB14_871:
	s_trap 2
	s_sendmsg_rtn_b32 s0, sendmsg(MSG_RTN_GET_DOORBELL)
	s_mov_b32 ttmp2, m0
	s_waitcnt lgkmcnt(0)
	s_and_b32 s0, s0, 0x3ff
	s_delay_alu instid0(SALU_CYCLE_1) | instskip(NEXT) | instid1(SALU_CYCLE_1)
	s_bitset1_b32 s0, 10
	s_mov_b32 m0, s0
	s_sendmsg sendmsg(MSG_INTERRUPT)
	s_mov_b32 m0, ttmp2
.LBB14_872:                             ; =>This Inner Loop Header: Depth=1
	s_sethalt 5
	s_branch .LBB14_872
.LBB14_873:
	s_mov_b32 s8, -1
	s_mov_b32 s6, 0
                                        ; implicit-def: $sgpr9
.LBB14_874:
	v_mov_b32_e32 v2, s9
	s_and_not1_b32 vcc_lo, exec_lo, s8
                                        ; implicit-def: $sgpr8
	s_cbranch_vccnz .LBB14_876
; %bb.875:
	v_add_f32_e64 v2, 0x46000000, |s5|
	s_mov_b32 s8, 0
	s_delay_alu instid0(VALU_DEP_1) | instskip(NEXT) | instid1(VALU_DEP_1)
	v_and_b32_e32 v2, 0xff, v2
	v_cmp_ne_u32_e64 s6, 0, v2
.LBB14_876:
	v_mov_b32_e32 v3, s8
	s_delay_alu instid0(VALU_DEP_2)
	s_and_not1_b32 vcc_lo, exec_lo, s6
	s_cbranch_vccnz .LBB14_878
; %bb.877:
	s_lshr_b32 s5, s5, 24
	s_delay_alu instid0(SALU_CYCLE_1) | instskip(NEXT) | instid1(SALU_CYCLE_1)
	s_and_b32 s5, s5, 0x80
	v_or_b32_e32 v3, s5, v2
.LBB14_878:
	global_store_b8 v[0:1], v3, off
.LBB14_879:
	s_mov_b32 s5, 0
.LBB14_880:
	s_delay_alu instid0(SALU_CYCLE_1)
	s_and_b32 vcc_lo, exec_lo, s5
	s_cbranch_vccz .LBB14_926
; %bb.881:
	v_cmp_lt_i16_e32 vcc_lo, 22, v10
	s_mov_b32 s4, -1
	s_cbranch_vccz .LBB14_919
; %bb.882:
	v_cmp_gt_i16_e32 vcc_lo, 24, v10
	s_cbranch_vccnz .LBB14_906
; %bb.883:
	v_cmp_lt_i16_e32 vcc_lo, 24, v10
	s_cbranch_vccz .LBB14_893
; %bb.884:
	s_bfe_i32 s4, s7, 0x80000
	v_mov_b32_e32 v3, 0x80
	s_sext_i32_i16 s4, s4
	s_delay_alu instid0(SALU_CYCLE_1) | instskip(NEXT) | instid1(VALU_DEP_1)
	v_cvt_f32_i32_e32 v2, s4
	v_readfirstlane_b32 s4, v2
	s_delay_alu instid0(VALU_DEP_1) | instskip(NEXT) | instid1(SALU_CYCLE_1)
	s_and_b32 s5, s4, 0x7fffffff
	s_cmp_gt_u32 s5, 0x477fffff
	s_cbranch_scc1 .LBB14_892
; %bb.885:
	s_cmp_gt_u32 s5, 0x37ffffff
	s_cbranch_scc0 .LBB14_887
; %bb.886:
	s_bfe_u32 s5, s4, 0x10015
	s_mov_b32 s6, 0
	s_add_i32 s5, s4, s5
	s_delay_alu instid0(SALU_CYCLE_1) | instskip(NEXT) | instid1(SALU_CYCLE_1)
	s_add_i32 s5, s5, 0x88fffff
	s_lshr_b32 s8, s5, 21
	s_mov_b32 s5, -1
	s_branch .LBB14_888
.LBB14_887:
	s_mov_b32 s6, -1
	s_mov_b32 s5, 0
                                        ; implicit-def: $sgpr8
.LBB14_888:
	v_mov_b32_e32 v2, s8
	s_and_not1_b32 vcc_lo, exec_lo, s6
                                        ; implicit-def: $sgpr6
	s_cbranch_vccnz .LBB14_890
; %bb.889:
	v_add_f32_e64 v2, 0x42800000, |s4|
	s_mov_b32 s6, 0
	s_delay_alu instid0(VALU_DEP_1) | instskip(NEXT) | instid1(VALU_DEP_1)
	v_and_b32_e32 v2, 0xff, v2
	v_cmp_ne_u32_e64 s5, 0, v2
.LBB14_890:
	v_mov_b32_e32 v3, s6
	s_delay_alu instid0(VALU_DEP_2)
	s_and_not1_b32 vcc_lo, exec_lo, s5
	s_cbranch_vccnz .LBB14_892
; %bb.891:
	s_lshr_b32 s4, s4, 24
	s_delay_alu instid0(SALU_CYCLE_1) | instskip(NEXT) | instid1(SALU_CYCLE_1)
	s_and_b32 s4, s4, 0x80
	v_or_b32_e32 v3, s4, v2
.LBB14_892:
	s_mov_b32 s4, 0
	global_store_b8 v[0:1], v3, off
.LBB14_893:
	s_and_b32 vcc_lo, exec_lo, s4
	s_cbranch_vccz .LBB14_905
; %bb.894:
	s_bfe_i32 s4, s7, 0x80000
	s_delay_alu instid0(SALU_CYCLE_1) | instskip(NEXT) | instid1(SALU_CYCLE_1)
	s_sext_i32_i16 s4, s4
	v_cvt_f32_i32_e32 v2, s4
	s_delay_alu instid0(VALU_DEP_1) | instskip(NEXT) | instid1(VALU_DEP_1)
	v_readfirstlane_b32 s4, v2
	s_and_b32 s5, s4, 0x7fffffff
	s_delay_alu instid0(SALU_CYCLE_1)
	s_cmp_lt_u32 s5, 0x43f00000
	s_cbranch_scc0 .LBB14_897
; %bb.895:
	s_cmp_gt_u32 s5, 0x3c7fffff
	s_cbranch_scc0 .LBB14_898
; %bb.896:
	s_bfe_u32 s6, s4, 0x10014
	s_delay_alu instid0(SALU_CYCLE_1) | instskip(NEXT) | instid1(SALU_CYCLE_1)
	s_add_i32 s6, s4, s6
	s_add_i32 s6, s6, 0x407ffff
	s_delay_alu instid0(SALU_CYCLE_1)
	s_and_b32 s8, s6, 0xff00000
	s_lshr_b32 s6, s6, 20
	s_cmp_lg_u32 s8, 0x7f00000
	s_cselect_b32 s8, s6, 0x7e
	s_mov_b32 s6, 0
	s_branch .LBB14_899
.LBB14_897:
	s_mov_b32 s6, -1
                                        ; implicit-def: $vgpr3
	s_branch .LBB14_902
.LBB14_898:
	s_mov_b32 s6, -1
                                        ; implicit-def: $sgpr8
.LBB14_899:
	v_mov_b32_e32 v3, s8
	s_and_not1_b32 vcc_lo, exec_lo, s6
	s_cbranch_vccnz .LBB14_901
; %bb.900:
	v_add_f32_e64 v3, 0x46800000, |v2|
.LBB14_901:
	s_mov_b32 s6, 0
.LBB14_902:
	s_delay_alu instid0(SALU_CYCLE_1)
	s_and_not1_b32 vcc_lo, exec_lo, s6
	s_cbranch_vccnz .LBB14_904
; %bb.903:
	s_cmp_gt_u32 s5, 0x7f800000
	s_movk_i32 s5, 0x7f
	s_delay_alu instid0(SALU_CYCLE_1) | instskip(NEXT) | instid1(SALU_CYCLE_1)
	s_cselect_b32 s5, s5, 0x7e
	v_mov_b32_e32 v3, s5
.LBB14_904:
	s_lshr_b32 s4, s4, 24
	s_delay_alu instid0(SALU_CYCLE_1)
	s_and_b32 s4, s4, 0x80
	s_delay_alu instid0(VALU_DEP_1) | instid1(SALU_CYCLE_1)
	v_or_b32_e32 v2, s4, v3
	global_store_b8 v[0:1], v2, off
.LBB14_905:
	s_mov_b32 s4, 0
.LBB14_906:
	s_delay_alu instid0(SALU_CYCLE_1)
	s_and_not1_b32 vcc_lo, exec_lo, s4
	s_cbranch_vccnz .LBB14_918
; %bb.907:
	s_bfe_i32 s4, s7, 0x80000
	s_delay_alu instid0(SALU_CYCLE_1) | instskip(NEXT) | instid1(SALU_CYCLE_1)
	s_sext_i32_i16 s4, s4
	v_cvt_f32_i32_e32 v2, s4
	s_delay_alu instid0(VALU_DEP_1) | instskip(NEXT) | instid1(VALU_DEP_1)
	v_readfirstlane_b32 s4, v2
	s_and_b32 s5, s4, 0x7fffffff
	s_delay_alu instid0(SALU_CYCLE_1)
	s_cmp_lt_u32 s5, 0x47800000
	s_cbranch_scc0 .LBB14_910
; %bb.908:
	s_cmp_gt_u32 s5, 0x387fffff
	s_cbranch_scc0 .LBB14_911
; %bb.909:
	s_bfe_u32 s6, s4, 0x10015
	s_delay_alu instid0(SALU_CYCLE_1) | instskip(NEXT) | instid1(SALU_CYCLE_1)
	s_add_i32 s6, s4, s6
	s_add_i32 s6, s6, 0x80fffff
	s_delay_alu instid0(SALU_CYCLE_1)
	s_lshr_b32 s8, s6, 21
	s_mov_b32 s6, 0
	s_branch .LBB14_912
.LBB14_910:
	s_mov_b32 s6, -1
                                        ; implicit-def: $vgpr3
	s_branch .LBB14_915
.LBB14_911:
	s_mov_b32 s6, -1
                                        ; implicit-def: $sgpr8
.LBB14_912:
	v_mov_b32_e32 v3, s8
	s_and_not1_b32 vcc_lo, exec_lo, s6
	s_cbranch_vccnz .LBB14_914
; %bb.913:
	v_add_f32_e64 v3, 0x43000000, |v2|
.LBB14_914:
	s_mov_b32 s6, 0
.LBB14_915:
	s_delay_alu instid0(SALU_CYCLE_1)
	s_and_not1_b32 vcc_lo, exec_lo, s6
	s_cbranch_vccnz .LBB14_917
; %bb.916:
	s_cmp_gt_u32 s5, 0x7f800000
	s_movk_i32 s5, 0x7f
	s_delay_alu instid0(SALU_CYCLE_1) | instskip(NEXT) | instid1(SALU_CYCLE_1)
	s_cselect_b32 s5, s5, 0x7c
	v_mov_b32_e32 v3, s5
.LBB14_917:
	s_lshr_b32 s4, s4, 24
	s_delay_alu instid0(SALU_CYCLE_1)
	s_and_b32 s4, s4, 0x80
	s_delay_alu instid0(VALU_DEP_1) | instid1(SALU_CYCLE_1)
	v_or_b32_e32 v2, s4, v3
	global_store_b8 v[0:1], v2, off
.LBB14_918:
	s_mov_b32 s4, 0
.LBB14_919:
	s_delay_alu instid0(SALU_CYCLE_1)
	s_and_not1_b32 vcc_lo, exec_lo, s4
	s_mov_b32 s4, 0
	s_cbranch_vccnz .LBB14_926
; %bb.920:
	v_cmp_lt_i16_e32 vcc_lo, 14, v10
	s_mov_b32 s4, -1
	s_cbranch_vccz .LBB14_924
; %bb.921:
	v_cmp_eq_u16_e32 vcc_lo, 15, v10
	s_mov_b32 s0, -1
	s_cbranch_vccz .LBB14_923
; %bb.922:
	s_bfe_i32 s0, s7, 0x80000
	s_delay_alu instid0(SALU_CYCLE_1) | instskip(NEXT) | instid1(SALU_CYCLE_1)
	s_sext_i32_i16 s0, s0
	v_cvt_f32_i32_e32 v2, s0
	s_mov_b32 s0, 0
	s_delay_alu instid0(VALU_DEP_1) | instskip(NEXT) | instid1(VALU_DEP_1)
	v_bfe_u32 v3, v2, 16, 1
	v_add_nc_u32_e32 v2, v2, v3
	s_delay_alu instid0(VALU_DEP_1)
	v_add_nc_u32_e32 v2, 0x7fff, v2
	global_store_d16_hi_b16 v[0:1], v2, off
.LBB14_923:
	s_mov_b32 s4, 0
.LBB14_924:
	s_delay_alu instid0(SALU_CYCLE_1)
	s_and_b32 vcc_lo, exec_lo, s4
	s_mov_b32 s4, 0
	s_cbranch_vccz .LBB14_926
; %bb.925:
	v_cmp_ne_u16_e64 s0, 11, v10
	s_mov_b32 s4, -1
.LBB14_926:
	s_delay_alu instid0(VALU_DEP_1)
	s_and_b32 vcc_lo, exec_lo, s0
	s_cbranch_vccnz .LBB14_928
.LBB14_927:
	s_mov_b32 s0, 0
	s_branch .LBB14_684
.LBB14_928:
	s_cbranch_execnz .LBB14_930
; %bb.929:
	s_mov_b32 s4, 0
	s_or_b32 s3, s3, exec_lo
	s_branch .LBB14_927
.LBB14_930:
	s_trap 2
	s_sendmsg_rtn_b32 s0, sendmsg(MSG_RTN_GET_DOORBELL)
	s_mov_b32 ttmp2, m0
	s_waitcnt lgkmcnt(0)
	s_and_b32 s0, s0, 0x3ff
	s_delay_alu instid0(SALU_CYCLE_1) | instskip(NEXT) | instid1(SALU_CYCLE_1)
	s_bitset1_b32 s0, 10
	s_mov_b32 m0, s0
	s_sendmsg sendmsg(MSG_INTERRUPT)
	s_mov_b32 m0, ttmp2
.LBB14_931:                             ; =>This Inner Loop Header: Depth=1
	s_sethalt 5
	s_branch .LBB14_931
	.section	.rodata,"a",@progbits
	.p2align	6, 0x0
	.amdhsa_kernel _ZN2at6native32elementwise_kernel_manual_unrollILi128ELi4EZNS0_15gpu_kernel_implINS0_11FillFunctorIaEEEEvRNS_18TensorIteratorBaseERKT_EUlibE_EEviT1_
		.amdhsa_group_segment_fixed_size 0
		.amdhsa_private_segment_fixed_size 0
		.amdhsa_kernarg_size 24
		.amdhsa_user_sgpr_count 15
		.amdhsa_user_sgpr_dispatch_ptr 0
		.amdhsa_user_sgpr_queue_ptr 0
		.amdhsa_user_sgpr_kernarg_segment_ptr 1
		.amdhsa_user_sgpr_dispatch_id 0
		.amdhsa_user_sgpr_private_segment_size 0
		.amdhsa_wavefront_size32 1
		.amdhsa_uses_dynamic_stack 0
		.amdhsa_enable_private_segment 0
		.amdhsa_system_sgpr_workgroup_id_x 1
		.amdhsa_system_sgpr_workgroup_id_y 0
		.amdhsa_system_sgpr_workgroup_id_z 0
		.amdhsa_system_sgpr_workgroup_info 0
		.amdhsa_system_vgpr_workitem_id 0
		.amdhsa_next_free_vgpr 20
		.amdhsa_next_free_sgpr 38
		.amdhsa_reserve_vcc 1
		.amdhsa_float_round_mode_32 0
		.amdhsa_float_round_mode_16_64 0
		.amdhsa_float_denorm_mode_32 3
		.amdhsa_float_denorm_mode_16_64 3
		.amdhsa_dx10_clamp 1
		.amdhsa_ieee_mode 1
		.amdhsa_fp16_overflow 0
		.amdhsa_workgroup_processor_mode 1
		.amdhsa_memory_ordered 1
		.amdhsa_forward_progress 0
		.amdhsa_shared_vgpr_count 0
		.amdhsa_exception_fp_ieee_invalid_op 0
		.amdhsa_exception_fp_denorm_src 0
		.amdhsa_exception_fp_ieee_div_zero 0
		.amdhsa_exception_fp_ieee_overflow 0
		.amdhsa_exception_fp_ieee_underflow 0
		.amdhsa_exception_fp_ieee_inexact 0
		.amdhsa_exception_int_div_zero 0
	.end_amdhsa_kernel
	.section	.text._ZN2at6native32elementwise_kernel_manual_unrollILi128ELi4EZNS0_15gpu_kernel_implINS0_11FillFunctorIaEEEEvRNS_18TensorIteratorBaseERKT_EUlibE_EEviT1_,"axG",@progbits,_ZN2at6native32elementwise_kernel_manual_unrollILi128ELi4EZNS0_15gpu_kernel_implINS0_11FillFunctorIaEEEEvRNS_18TensorIteratorBaseERKT_EUlibE_EEviT1_,comdat
.Lfunc_end14:
	.size	_ZN2at6native32elementwise_kernel_manual_unrollILi128ELi4EZNS0_15gpu_kernel_implINS0_11FillFunctorIaEEEEvRNS_18TensorIteratorBaseERKT_EUlibE_EEviT1_, .Lfunc_end14-_ZN2at6native32elementwise_kernel_manual_unrollILi128ELi4EZNS0_15gpu_kernel_implINS0_11FillFunctorIaEEEEvRNS_18TensorIteratorBaseERKT_EUlibE_EEviT1_
                                        ; -- End function
	.section	.AMDGPU.csdata,"",@progbits
; Kernel info:
; codeLenInByte = 14564
; NumSgprs: 40
; NumVgprs: 20
; ScratchSize: 0
; MemoryBound: 0
; FloatMode: 240
; IeeeMode: 1
; LDSByteSize: 0 bytes/workgroup (compile time only)
; SGPRBlocks: 4
; VGPRBlocks: 2
; NumSGPRsForWavesPerEU: 40
; NumVGPRsForWavesPerEU: 20
; Occupancy: 16
; WaveLimiterHint : 0
; COMPUTE_PGM_RSRC2:SCRATCH_EN: 0
; COMPUTE_PGM_RSRC2:USER_SGPR: 15
; COMPUTE_PGM_RSRC2:TRAP_HANDLER: 0
; COMPUTE_PGM_RSRC2:TGID_X_EN: 1
; COMPUTE_PGM_RSRC2:TGID_Y_EN: 0
; COMPUTE_PGM_RSRC2:TGID_Z_EN: 0
; COMPUTE_PGM_RSRC2:TIDIG_COMP_CNT: 0
	.section	.text._ZN2at6native32elementwise_kernel_manual_unrollILi128ELi4EZNS0_15gpu_kernel_implINS0_11FillFunctorIaEEEEvRNS_18TensorIteratorBaseERKT_EUlibE0_EEviT1_,"axG",@progbits,_ZN2at6native32elementwise_kernel_manual_unrollILi128ELi4EZNS0_15gpu_kernel_implINS0_11FillFunctorIaEEEEvRNS_18TensorIteratorBaseERKT_EUlibE0_EEviT1_,comdat
	.protected	_ZN2at6native32elementwise_kernel_manual_unrollILi128ELi4EZNS0_15gpu_kernel_implINS0_11FillFunctorIaEEEEvRNS_18TensorIteratorBaseERKT_EUlibE0_EEviT1_ ; -- Begin function _ZN2at6native32elementwise_kernel_manual_unrollILi128ELi4EZNS0_15gpu_kernel_implINS0_11FillFunctorIaEEEEvRNS_18TensorIteratorBaseERKT_EUlibE0_EEviT1_
	.globl	_ZN2at6native32elementwise_kernel_manual_unrollILi128ELi4EZNS0_15gpu_kernel_implINS0_11FillFunctorIaEEEEvRNS_18TensorIteratorBaseERKT_EUlibE0_EEviT1_
	.p2align	8
	.type	_ZN2at6native32elementwise_kernel_manual_unrollILi128ELi4EZNS0_15gpu_kernel_implINS0_11FillFunctorIaEEEEvRNS_18TensorIteratorBaseERKT_EUlibE0_EEviT1_,@function
_ZN2at6native32elementwise_kernel_manual_unrollILi128ELi4EZNS0_15gpu_kernel_implINS0_11FillFunctorIaEEEEvRNS_18TensorIteratorBaseERKT_EUlibE0_EEviT1_: ; @_ZN2at6native32elementwise_kernel_manual_unrollILi128ELi4EZNS0_15gpu_kernel_implINS0_11FillFunctorIaEEEEvRNS_18TensorIteratorBaseERKT_EUlibE0_EEviT1_
; %bb.0:
	s_clause 0x1
	s_load_b32 s9, s[0:1], 0x8
	s_load_b32 s49, s[0:1], 0x0
	v_lshl_or_b32 v10, s15, 9, v0
	s_or_b32 s0, s0, 8
	s_mov_b32 s20, -1
	s_mov_b32 s3, 0
	s_mov_b32 s6, 0
	v_or_b32_e32 v4, 0x180, v10
	s_mov_b32 s2, exec_lo
	s_waitcnt lgkmcnt(0)
	s_add_i32 s24, s9, -1
	s_delay_alu instid0(SALU_CYCLE_1)
	s_cmp_gt_u32 s24, 1
	s_cselect_b32 s25, -1, 0
	v_cmpx_le_i32_e64 s49, v4
	s_xor_b32 s26, exec_lo, s2
	s_cbranch_execz .LBB15_159
; %bb.1:
	s_load_b32 s8, s[0:1], 0x110
	s_cmp_lg_u32 s9, 0
	s_clause 0x1
	s_load_b64 s[14:15], s[0:1], 0xc4
	s_load_b64 s[12:13], s[0:1], 0x108
	s_cselect_b32 s51, -1, 0
	s_add_u32 s18, s0, 0xc4
	s_addc_u32 s19, s1, 0
	s_min_u32 s50, s24, 15
	s_cmp_gt_u32 s9, 1
	s_clause 0x1
	s_load_b128 s[4:7], s[0:1], 0x4
	s_load_b64 s[16:17], s[0:1], 0x14
	s_cselect_b32 s48, -1, 0
	s_movk_i32 s22, 0x7f
	s_movk_i32 s23, 0x7c
	s_mov_b32 s54, 0
	s_mov_b32 s52, 0
	s_mov_b32 s53, exec_lo
	s_waitcnt lgkmcnt(0)
	s_bfe_i32 s27, s8, 0x80000
	s_and_b32 s28, s8, 0xffff
	s_sext_i32_i16 s21, s27
	s_bfe_i64 s[10:11], s[8:9], 0x80000
	v_cvt_f32_i32_e32 v4, s21
	v_and_b32_e64 v3, 0xff, s8
	v_cvt_f16_i16_e32 v9, s27
	v_lshrrev_b16 v8, 8, s8
	s_sext_i32_i8 s28, s28
	v_bfe_u32 v2, v4, 23, 8
	v_and_b32_e32 v0, 0x3fffff, v4
	v_and_b32_e32 v1, 0x400000, v4
	v_readfirstlane_b32 s30, v4
	v_add_f32_e64 v16, 0x46000000, |v4|
	v_add_f32_e64 v15, 0x42800000, |v4|
	v_or_b32_e32 v0, v2, v0
	v_cmp_ne_u32_e32 vcc_lo, 0, v1
	s_and_b32 s36, s30, 0x7fffffff
	v_bfe_u32 v12, v4, 16, 1
	v_readfirstlane_b32 s33, v15
	v_cmp_ne_u32_e64 s2, 0, v0
	v_cvt_f64_i32_e32 v[0:1], s21
	v_lshrrev_b32_e32 v6, 24, v4
	v_lshrrev_b32_e32 v5, 23, v4
	v_add_f32_e64 v7, 0x46800000, |v4|
	s_and_b32 s31, vcc_lo, s2
	s_cmp_lt_u32 s36, 0x43800000
	v_readfirstlane_b32 s2, v16
	s_cselect_b32 s46, -1, 0
	s_cmp_gt_u32 s36, 0x3bffffff
	v_add_f32_e64 v11, 0x43000000, |v4|
	s_cselect_b32 s44, -1, 0
	s_bfe_u32 s21, s30, 0x10014
	s_and_b32 s2, s2, 0xff
	s_add_i32 s21, s30, s21
	v_and_b32_e32 v14, 0x80, v6
	s_add_i32 s29, s21, 0x487ffff
	v_cndmask_b32_e64 v6, 0, 1, s31
	s_lshr_b32 s45, s29, 20
	s_cmp_lg_u32 s2, 0
	v_cmp_ne_u16_e32 vcc_lo, 0, v3
	s_cselect_b32 s47, -1, 0
	s_cmp_gt_u32 s36, 0x477fffff
	v_readfirstlane_b32 s34, v7
	s_cselect_b32 s29, -1, 0
	s_cmp_lt_u32 s36, 0x47800000
	v_add_nc_u32_e32 v17, v5, v6
	s_cselect_b32 s42, -1, 0
	s_cmp_gt_u32 s36, 0x37ffffff
	s_cselect_b32 s38, -1, 0
	s_bfe_u32 s2, s30, 0x10015
	s_and_b32 s33, s33, 0xff
	s_add_i32 s41, s30, s2
	v_cmp_eq_u32_e64 s2, 0xff, v2
	s_add_i32 s30, s41, 0x88fffff
	v_add_nc_u32_e32 v2, v4, v12
	s_lshr_b32 s40, s30, 21
	s_cmp_lg_u32 s33, 0
	v_readfirstlane_b32 s30, v11
	s_cselect_b32 s43, -1, 0
	s_cmp_gt_u32 s36, 0x43efffff
	v_add_nc_u32_e32 v2, 0x7fff, v2
	s_cselect_b32 s35, -1, 0
	s_cmp_lt_u32 s36, 0x3c800000
	v_cndmask_b32_e64 v12, 0, 1, vcc_lo
	s_cselect_b32 s37, -1, 0
	s_add_i32 s21, s21, 0x407ffff
	v_lshrrev_b32_e32 v13, 16, v2
	s_and_b32 s33, s21, 0xff00000
	s_lshr_b32 s21, s21, 20
	s_cmp_lg_u32 s33, 0x7f00000
	v_and_b32_e32 v11, 0xffff, v9
	s_cselect_b32 s39, s21, 0x7e
	s_cmp_lt_u32 s36, 0x38800000
	s_cselect_b32 s31, -1, 0
	s_add_i32 s41, s41, 0x80fffff
	s_delay_alu instid0(SALU_CYCLE_1)
	s_lshr_b32 s33, s41, 21
	s_cmp_gt_u32 s36, 0x7f800000
	s_cselect_b32 s41, s22, 0x7e
	s_cselect_b32 s36, 0x7f, s23
	v_cmpx_gt_i32_e64 s49, v10
	s_cbranch_execz .LBB15_110
; %bb.2:
	s_and_not1_b32 vcc_lo, exec_lo, s25
	s_cbranch_vccnz .LBB15_7
; %bb.3:
	v_mov_b32_e32 v2, 0
	s_and_not1_b32 vcc_lo, exec_lo, s51
	s_cbranch_vccnz .LBB15_12
; %bb.4:
	s_add_i32 s55, s50, 1
	s_cmp_eq_u32 s24, 2
	s_cbranch_scc1 .LBB15_8
; %bb.5:
	v_dual_mov_b32 v2, 0 :: v_dual_mov_b32 v3, v10
	s_and_b32 s52, s55, 28
	s_mov_b32 s56, 0
	s_mov_b64 s[20:21], s[0:1]
	s_mov_b64 s[22:23], s[18:19]
.LBB15_6:                               ; =>This Inner Loop Header: Depth=1
	s_clause 0x1
	s_load_b256 s[60:67], s[20:21], 0x4
	s_load_b128 s[68:71], s[20:21], 0x24
	s_load_b128 s[72:75], s[22:23], 0x0
	s_add_u32 s20, s20, 48
	s_addc_u32 s21, s21, 0
	s_add_i32 s56, s56, 4
	s_add_u32 s22, s22, 16
	s_addc_u32 s23, s23, 0
	s_cmp_lg_u32 s52, s56
	s_waitcnt lgkmcnt(0)
	v_mul_hi_u32 v5, s61, v3
	s_delay_alu instid0(VALU_DEP_1) | instskip(NEXT) | instid1(VALU_DEP_1)
	v_add_nc_u32_e32 v5, v3, v5
	v_lshrrev_b32_e32 v5, s62, v5
	s_delay_alu instid0(VALU_DEP_1) | instskip(SKIP_1) | instid1(VALU_DEP_2)
	v_mul_hi_u32 v6, s64, v5
	v_mul_lo_u32 v19, v5, s60
	v_add_nc_u32_e32 v6, v5, v6
	s_delay_alu instid0(VALU_DEP_2) | instskip(NEXT) | instid1(VALU_DEP_2)
	v_sub_nc_u32_e32 v19, v3, v19
	v_lshrrev_b32_e32 v6, s65, v6
	s_delay_alu instid0(VALU_DEP_2) | instskip(NEXT) | instid1(VALU_DEP_2)
	v_mul_lo_u32 v19, v19, s72
	v_mul_hi_u32 v7, s67, v6
	v_mul_lo_u32 v20, v6, s63
	s_delay_alu instid0(VALU_DEP_2) | instskip(NEXT) | instid1(VALU_DEP_2)
	v_add_nc_u32_e32 v7, v6, v7
	v_sub_nc_u32_e32 v5, v5, v20
	s_delay_alu instid0(VALU_DEP_2) | instskip(NEXT) | instid1(VALU_DEP_2)
	v_lshrrev_b32_e32 v7, s68, v7
	v_mul_lo_u32 v5, v5, s73
	s_delay_alu instid0(VALU_DEP_2) | instskip(NEXT) | instid1(VALU_DEP_2)
	v_mul_hi_u32 v18, s70, v7
	v_add3_u32 v2, v19, v2, v5
	s_delay_alu instid0(VALU_DEP_2) | instskip(NEXT) | instid1(VALU_DEP_1)
	v_add_nc_u32_e32 v18, v7, v18
	v_lshrrev_b32_e32 v3, s71, v18
	v_mul_lo_u32 v18, v7, s66
	s_delay_alu instid0(VALU_DEP_2) | instskip(NEXT) | instid1(VALU_DEP_2)
	v_mul_lo_u32 v21, v3, s69
	v_sub_nc_u32_e32 v6, v6, v18
	s_delay_alu instid0(VALU_DEP_2) | instskip(NEXT) | instid1(VALU_DEP_2)
	v_sub_nc_u32_e32 v7, v7, v21
	v_mul_lo_u32 v6, v6, s74
	s_delay_alu instid0(VALU_DEP_2) | instskip(NEXT) | instid1(VALU_DEP_1)
	v_mul_lo_u32 v7, v7, s75
	v_add3_u32 v2, v6, v2, v7
	s_cbranch_scc1 .LBB15_6
	s_branch .LBB15_9
.LBB15_7:
                                        ; implicit-def: $vgpr2
	s_and_not1_b32 vcc_lo, exec_lo, s20
	s_cbranch_vccz .LBB15_13
	s_branch .LBB15_15
.LBB15_8:
	v_mov_b32_e32 v3, v10
.LBB15_9:
	s_and_b32 s55, s55, 3
	s_delay_alu instid0(SALU_CYCLE_1)
	s_cmp_eq_u32 s55, 0
	s_cbranch_scc1 .LBB15_12
; %bb.10:
	s_lshl_b32 s20, s52, 2
	s_mul_i32 s22, s52, 12
	s_add_u32 s20, s20, s0
	s_addc_u32 s21, s1, 0
	s_add_u32 s20, s20, 0xc4
	s_addc_u32 s21, s21, 0
	s_add_u32 s22, s0, s22
	s_addc_u32 s23, s1, 0
	.p2align	6
.LBB15_11:                              ; =>This Inner Loop Header: Depth=1
	s_clause 0x1
	s_load_b64 s[56:57], s[22:23], 0x4
	s_load_b32 s52, s[22:23], 0xc
	s_add_u32 s22, s22, 12
	s_addc_u32 s23, s23, 0
	s_waitcnt lgkmcnt(0)
	v_mul_hi_u32 v5, s57, v3
	s_load_b32 s57, s[20:21], 0x0
	s_add_u32 s20, s20, 4
	s_addc_u32 s21, s21, 0
	s_add_i32 s55, s55, -1
	s_delay_alu instid0(SALU_CYCLE_1) | instskip(NEXT) | instid1(VALU_DEP_1)
	s_cmp_lg_u32 s55, 0
	v_add_nc_u32_e32 v5, v3, v5
	s_delay_alu instid0(VALU_DEP_1) | instskip(NEXT) | instid1(VALU_DEP_1)
	v_lshrrev_b32_e32 v7, s52, v5
	v_mul_lo_u32 v5, v7, s56
	s_delay_alu instid0(VALU_DEP_1) | instskip(SKIP_1) | instid1(VALU_DEP_1)
	v_sub_nc_u32_e32 v3, v3, v5
	s_waitcnt lgkmcnt(0)
	v_mad_u64_u32 v[5:6], null, v3, s57, v[2:3]
	s_delay_alu instid0(VALU_DEP_1)
	v_dual_mov_b32 v3, v7 :: v_dual_mov_b32 v2, v5
	s_cbranch_scc1 .LBB15_11
.LBB15_12:
	s_cbranch_execnz .LBB15_15
.LBB15_13:
	v_mul_hi_u32 v2, s5, v10
	s_and_not1_b32 vcc_lo, exec_lo, s48
	s_delay_alu instid0(VALU_DEP_1) | instskip(NEXT) | instid1(VALU_DEP_1)
	v_add_nc_u32_e32 v2, v10, v2
	v_lshrrev_b32_e32 v3, s6, v2
	s_delay_alu instid0(VALU_DEP_1) | instskip(NEXT) | instid1(VALU_DEP_1)
	v_mul_lo_u32 v2, v3, s4
	v_sub_nc_u32_e32 v2, v10, v2
	s_delay_alu instid0(VALU_DEP_1)
	v_mul_lo_u32 v2, v2, s14
	s_cbranch_vccnz .LBB15_15
; %bb.14:
	v_mul_hi_u32 v5, s16, v3
	s_delay_alu instid0(VALU_DEP_1) | instskip(NEXT) | instid1(VALU_DEP_1)
	v_add_nc_u32_e32 v5, v3, v5
	v_lshrrev_b32_e32 v5, s17, v5
	s_delay_alu instid0(VALU_DEP_1) | instskip(NEXT) | instid1(VALU_DEP_1)
	v_mul_lo_u32 v5, v5, s7
	v_sub_nc_u32_e32 v3, v3, v5
	s_delay_alu instid0(VALU_DEP_1) | instskip(NEXT) | instid1(VALU_DEP_1)
	v_mad_u64_u32 v[5:6], null, v3, s15, v[2:3]
	v_mov_b32_e32 v2, v5
.LBB15_15:
	v_cmp_gt_i16_e32 vcc_lo, 11, v8
	s_delay_alu instid0(VALU_DEP_2) | instskip(NEXT) | instid1(VALU_DEP_1)
	v_add_co_u32 v6, s21, s12, v2
	v_add_co_ci_u32_e64 v7, null, s13, 0, s21
	s_mov_b32 s20, 0
	s_mov_b32 s22, -1
	s_mov_b32 s21, 0
	s_cbranch_vccnz .LBB15_69
; %bb.16:
	v_cmp_lt_i16_e32 vcc_lo, 25, v8
	s_cbranch_vccz .LBB15_44
; %bb.17:
	v_cmp_lt_i16_e32 vcc_lo, 28, v8
	s_cbranch_vccz .LBB15_30
	;; [unrolled: 3-line block ×4, first 2 shown]
; %bb.20:
	v_cmp_eq_u16_e32 vcc_lo, 46, v8
	s_mov_b32 s22, 0
	s_mov_b32 s20, -1
	s_cbranch_vccz .LBB15_22
; %bb.21:
	s_mov_b32 s21, -1
	s_mov_b32 s20, 0
	global_store_b32 v[6:7], v13, off
.LBB15_22:
	s_and_b32 vcc_lo, exec_lo, s22
	s_cbranch_vccz .LBB15_25
; %bb.23:
	v_cmp_eq_u16_e32 vcc_lo, 44, v8
	s_mov_b32 s20, -1
	s_cbranch_vccz .LBB15_25
; %bb.24:
	v_cndmask_b32_e64 v2, v17, 0xff, s2
	s_mov_b32 s21, -1
	s_mov_b32 s20, 0
	global_store_b8 v[6:7], v2, off
.LBB15_25:
	s_mov_b32 s22, 0
.LBB15_26:
	s_delay_alu instid0(SALU_CYCLE_1)
	s_and_b32 vcc_lo, exec_lo, s22
	s_cbranch_vccz .LBB15_29
; %bb.27:
	v_cmp_eq_u16_e32 vcc_lo, 29, v8
	s_mov_b32 s20, -1
	s_cbranch_vccz .LBB15_29
; %bb.28:
	v_dual_mov_b32 v2, s10 :: v_dual_mov_b32 v3, s11
	s_mov_b32 s21, -1
	s_mov_b32 s20, 0
	global_store_b64 v[6:7], v[2:3], off
.LBB15_29:
	s_mov_b32 s22, 0
.LBB15_30:
	s_delay_alu instid0(SALU_CYCLE_1)
	s_and_b32 vcc_lo, exec_lo, s22
	s_cbranch_vccz .LBB15_43
; %bb.31:
	v_cmp_gt_i16_e32 vcc_lo, 27, v8
	s_mov_b32 s21, -1
	s_cbranch_vccnz .LBB15_37
; %bb.32:
	v_cmp_lt_i16_e32 vcc_lo, 27, v8
	s_cbranch_vccz .LBB15_34
; %bb.33:
	v_mov_b32_e32 v2, s28
	s_mov_b32 s21, 0
	global_store_b32 v[6:7], v2, off
.LBB15_34:
	s_and_not1_b32 vcc_lo, exec_lo, s21
	s_cbranch_vccnz .LBB15_36
; %bb.35:
	v_mov_b32_e32 v2, s27
	global_store_b16 v[6:7], v2, off
.LBB15_36:
	s_mov_b32 s21, 0
.LBB15_37:
	s_delay_alu instid0(SALU_CYCLE_1)
	s_and_not1_b32 vcc_lo, exec_lo, s21
	s_cbranch_vccnz .LBB15_42
; %bb.38:
	v_mov_b32_e32 v2, 0x80
	s_and_not1_b32 vcc_lo, exec_lo, s46
	s_cbranch_vccnz .LBB15_41
; %bb.39:
	v_mov_b32_e32 v2, 0
	s_or_b32 s21, s44, s47
	s_delay_alu instid0(SALU_CYCLE_1)
	s_and_not1_b32 vcc_lo, exec_lo, s21
	s_cbranch_vccnz .LBB15_41
; %bb.40:
	v_cndmask_b32_e64 v2, v16, s45, s44
	s_delay_alu instid0(VALU_DEP_1)
	v_or_b32_e32 v2, v2, v14
.LBB15_41:
	global_store_b8 v[6:7], v2, off
.LBB15_42:
	s_mov_b32 s21, -1
.LBB15_43:
	s_mov_b32 s22, 0
.LBB15_44:
	s_delay_alu instid0(SALU_CYCLE_1)
	s_and_b32 vcc_lo, exec_lo, s22
	s_cbranch_vccz .LBB15_66
; %bb.45:
	v_cmp_lt_i16_e32 vcc_lo, 22, v8
	s_mov_b32 s22, -1
	s_cbranch_vccz .LBB15_58
; %bb.46:
	v_cmp_gt_i16_e32 vcc_lo, 24, v8
	s_mov_b32 s21, -1
	s_cbranch_vccnz .LBB15_55
; %bb.47:
	v_cmp_lt_i16_e32 vcc_lo, 24, v8
	s_cbranch_vccz .LBB15_52
; %bb.48:
	v_mov_b32_e32 v2, 0x80
	s_and_not1_b32 vcc_lo, exec_lo, s42
	s_cbranch_vccnz .LBB15_51
; %bb.49:
	v_mov_b32_e32 v2, 0
	s_or_b32 s21, s38, s43
	s_delay_alu instid0(SALU_CYCLE_1)
	s_and_not1_b32 vcc_lo, exec_lo, s21
	s_cbranch_vccnz .LBB15_51
; %bb.50:
	v_cndmask_b32_e64 v2, v15, s40, s38
	s_delay_alu instid0(VALU_DEP_1)
	v_or_b32_e32 v2, v2, v14
.LBB15_51:
	s_mov_b32 s21, 0
	global_store_b8 v[6:7], v2, off
.LBB15_52:
	s_and_b32 vcc_lo, exec_lo, s21
	s_cbranch_vccz .LBB15_54
; %bb.53:
	s_and_b32 s21, s37, exec_lo
	s_cselect_b32 s21, s34, s39
	s_and_b32 s22, s35, exec_lo
	s_cselect_b32 s21, s41, s21
	s_delay_alu instid0(SALU_CYCLE_1)
	v_or_b32_e32 v2, s21, v14
	global_store_b8 v[6:7], v2, off
.LBB15_54:
	s_mov_b32 s21, 0
.LBB15_55:
	s_delay_alu instid0(SALU_CYCLE_1)
	s_and_not1_b32 vcc_lo, exec_lo, s21
	s_cbranch_vccnz .LBB15_57
; %bb.56:
	s_and_b32 s21, s31, exec_lo
	s_cselect_b32 s21, s30, s33
	s_and_b32 s22, s29, exec_lo
	s_cselect_b32 s21, s36, s21
	s_delay_alu instid0(SALU_CYCLE_1)
	v_or_b32_e32 v2, s21, v14
	global_store_b8 v[6:7], v2, off
.LBB15_57:
	s_mov_b32 s22, 0
	s_mov_b32 s21, -1
.LBB15_58:
	s_and_not1_b32 vcc_lo, exec_lo, s22
	s_cbranch_vccnz .LBB15_66
; %bb.59:
	v_cmp_lt_i16_e32 vcc_lo, 14, v8
	s_mov_b32 s22, -1
	s_cbranch_vccz .LBB15_63
; %bb.60:
	v_cmp_eq_u16_e32 vcc_lo, 15, v8
	s_mov_b32 s20, -1
	s_cbranch_vccz .LBB15_62
; %bb.61:
	s_mov_b32 s21, -1
	s_mov_b32 s20, 0
	global_store_b16 v[6:7], v13, off
.LBB15_62:
	s_mov_b32 s22, 0
.LBB15_63:
	s_delay_alu instid0(SALU_CYCLE_1)
	s_and_b32 vcc_lo, exec_lo, s22
	s_cbranch_vccz .LBB15_66
; %bb.64:
	v_cmp_eq_u16_e32 vcc_lo, 11, v8
	s_mov_b32 s20, -1
	s_cbranch_vccz .LBB15_66
; %bb.65:
	s_mov_b32 s21, -1
	s_mov_b32 s20, 0
	global_store_b8 v[6:7], v12, off
.LBB15_66:
.LBB15_67:
	s_and_not1_b32 vcc_lo, exec_lo, s21
	s_cbranch_vccnz .LBB15_108
.LBB15_68:
	v_add_nc_u32_e32 v10, 0x80, v10
	s_mov_b32 s21, -1
	s_branch .LBB15_109
.LBB15_69:
	s_and_b32 vcc_lo, exec_lo, s22
	s_cbranch_vccz .LBB15_67
; %bb.70:
	v_cmp_gt_i16_e32 vcc_lo, 5, v8
	s_mov_b32 s21, -1
	s_cbranch_vccnz .LBB15_91
; %bb.71:
	v_cmp_gt_i16_e32 vcc_lo, 8, v8
	s_cbranch_vccnz .LBB15_81
; %bb.72:
	v_cmp_gt_i16_e32 vcc_lo, 9, v8
	s_cbranch_vccnz .LBB15_78
; %bb.73:
	v_cmp_lt_i16_e32 vcc_lo, 9, v8
	s_cbranch_vccz .LBB15_75
; %bb.74:
	v_mov_b32_e32 v2, 0
	s_mov_b32 s21, 0
	s_delay_alu instid0(VALU_DEP_1)
	v_mov_b32_e32 v3, v2
	global_store_b128 v[6:7], v[0:3], off
.LBB15_75:
	s_and_not1_b32 vcc_lo, exec_lo, s21
	s_cbranch_vccnz .LBB15_77
; %bb.76:
	v_mov_b32_e32 v5, 0
	global_store_b64 v[6:7], v[4:5], off
.LBB15_77:
	s_mov_b32 s21, 0
.LBB15_78:
	s_delay_alu instid0(SALU_CYCLE_1)
	s_and_not1_b32 vcc_lo, exec_lo, s21
	s_cbranch_vccnz .LBB15_80
; %bb.79:
	global_store_b32 v[6:7], v11, off
.LBB15_80:
	s_mov_b32 s21, 0
.LBB15_81:
	s_delay_alu instid0(SALU_CYCLE_1)
	s_and_not1_b32 vcc_lo, exec_lo, s21
	s_cbranch_vccnz .LBB15_90
; %bb.82:
	v_cmp_gt_i16_e32 vcc_lo, 6, v8
	s_mov_b32 s21, -1
	s_cbranch_vccnz .LBB15_88
; %bb.83:
	v_cmp_lt_i16_e32 vcc_lo, 6, v8
	s_cbranch_vccz .LBB15_85
; %bb.84:
	s_mov_b32 s21, 0
	global_store_b64 v[6:7], v[0:1], off
.LBB15_85:
	s_and_not1_b32 vcc_lo, exec_lo, s21
	s_cbranch_vccnz .LBB15_87
; %bb.86:
	global_store_b32 v[6:7], v4, off
.LBB15_87:
	s_mov_b32 s21, 0
.LBB15_88:
	s_delay_alu instid0(SALU_CYCLE_1)
	s_and_not1_b32 vcc_lo, exec_lo, s21
	s_cbranch_vccnz .LBB15_90
; %bb.89:
	global_store_b16 v[6:7], v9, off
.LBB15_90:
	s_mov_b32 s21, 0
.LBB15_91:
	s_delay_alu instid0(SALU_CYCLE_1)
	s_and_not1_b32 vcc_lo, exec_lo, s21
	s_cbranch_vccnz .LBB15_107
; %bb.92:
	v_cmp_gt_i16_e32 vcc_lo, 2, v8
	s_mov_b32 s21, -1
	s_cbranch_vccnz .LBB15_102
; %bb.93:
	v_cmp_gt_i16_e32 vcc_lo, 3, v8
	s_cbranch_vccnz .LBB15_99
; %bb.94:
	v_cmp_lt_i16_e32 vcc_lo, 3, v8
	s_cbranch_vccz .LBB15_96
; %bb.95:
	v_dual_mov_b32 v2, s10 :: v_dual_mov_b32 v3, s11
	s_mov_b32 s21, 0
	global_store_b64 v[6:7], v[2:3], off
.LBB15_96:
	s_and_not1_b32 vcc_lo, exec_lo, s21
	s_cbranch_vccnz .LBB15_98
; %bb.97:
	v_mov_b32_e32 v2, s28
	global_store_b32 v[6:7], v2, off
.LBB15_98:
	s_mov_b32 s21, 0
.LBB15_99:
	s_delay_alu instid0(SALU_CYCLE_1)
	s_and_not1_b32 vcc_lo, exec_lo, s21
	s_cbranch_vccnz .LBB15_101
; %bb.100:
	v_mov_b32_e32 v2, s27
	global_store_b16 v[6:7], v2, off
.LBB15_101:
	s_mov_b32 s21, 0
.LBB15_102:
	s_delay_alu instid0(SALU_CYCLE_1)
	s_and_not1_b32 vcc_lo, exec_lo, s21
	s_cbranch_vccnz .LBB15_107
; %bb.103:
	v_cmp_lt_i16_e32 vcc_lo, 0, v8
	s_mov_b32 s21, -1
	s_cbranch_vccz .LBB15_105
; %bb.104:
	v_mov_b32_e32 v2, s8
	s_mov_b32 s21, 0
	global_store_b8 v[6:7], v2, off
.LBB15_105:
	s_and_not1_b32 vcc_lo, exec_lo, s21
	s_cbranch_vccnz .LBB15_107
; %bb.106:
	v_mov_b32_e32 v2, s8
	global_store_b8 v[6:7], v2, off
.LBB15_107:
	s_branch .LBB15_68
.LBB15_108:
	s_mov_b32 s21, 0
                                        ; implicit-def: $vgpr10
.LBB15_109:
	s_and_b32 s52, s20, exec_lo
	s_or_not1_b32 s20, s21, exec_lo
.LBB15_110:
	s_or_b32 exec_lo, exec_lo, s53
	s_mov_b32 s21, 0
                                        ; implicit-def: $vgpr6_vgpr7
	s_and_saveexec_b32 s53, s20
	s_cbranch_execz .LBB15_117
; %bb.111:
	s_mov_b32 s22, -1
	s_mov_b32 s54, s52
	s_mov_b32 s55, exec_lo
	v_cmpx_gt_i32_e64 s49, v10
	s_cbranch_execz .LBB15_362
; %bb.112:
	s_and_not1_b32 vcc_lo, exec_lo, s25
	s_cbranch_vccnz .LBB15_240
; %bb.113:
	v_mov_b32_e32 v2, 0
	s_and_not1_b32 vcc_lo, exec_lo, s51
	s_cbranch_vccnz .LBB15_245
; %bb.114:
	s_add_i32 s56, s50, 1
	s_cmp_eq_u32 s24, 2
	s_mov_b32 s54, 0
	s_cbranch_scc1 .LBB15_241
; %bb.115:
	v_dual_mov_b32 v2, 0 :: v_dual_mov_b32 v3, v10
	s_and_b32 s54, s56, 28
	s_mov_b32 s57, 0
	s_mov_b64 s[20:21], s[0:1]
	s_mov_b64 s[22:23], s[18:19]
.LBB15_116:                             ; =>This Inner Loop Header: Depth=1
	s_clause 0x1
	s_load_b256 s[60:67], s[20:21], 0x4
	s_load_b128 s[68:71], s[20:21], 0x24
	s_load_b128 s[72:75], s[22:23], 0x0
	s_add_u32 s20, s20, 48
	s_addc_u32 s21, s21, 0
	s_add_i32 s57, s57, 4
	s_add_u32 s22, s22, 16
	s_addc_u32 s23, s23, 0
	s_cmp_eq_u32 s54, s57
	s_waitcnt lgkmcnt(0)
	v_mul_hi_u32 v5, s61, v3
	s_delay_alu instid0(VALU_DEP_1) | instskip(NEXT) | instid1(VALU_DEP_1)
	v_add_nc_u32_e32 v5, v3, v5
	v_lshrrev_b32_e32 v5, s62, v5
	s_delay_alu instid0(VALU_DEP_1) | instskip(SKIP_1) | instid1(VALU_DEP_2)
	v_mul_hi_u32 v6, s64, v5
	v_mul_lo_u32 v19, v5, s60
	v_add_nc_u32_e32 v6, v5, v6
	s_delay_alu instid0(VALU_DEP_2) | instskip(NEXT) | instid1(VALU_DEP_2)
	v_sub_nc_u32_e32 v19, v3, v19
	v_lshrrev_b32_e32 v6, s65, v6
	s_delay_alu instid0(VALU_DEP_2) | instskip(NEXT) | instid1(VALU_DEP_2)
	v_mul_lo_u32 v19, v19, s72
	v_mul_hi_u32 v7, s67, v6
	v_mul_lo_u32 v20, v6, s63
	s_delay_alu instid0(VALU_DEP_2) | instskip(NEXT) | instid1(VALU_DEP_2)
	v_add_nc_u32_e32 v7, v6, v7
	v_sub_nc_u32_e32 v5, v5, v20
	s_delay_alu instid0(VALU_DEP_2) | instskip(NEXT) | instid1(VALU_DEP_2)
	v_lshrrev_b32_e32 v7, s68, v7
	v_mul_lo_u32 v5, v5, s73
	s_delay_alu instid0(VALU_DEP_2) | instskip(NEXT) | instid1(VALU_DEP_2)
	v_mul_hi_u32 v18, s70, v7
	v_add3_u32 v2, v19, v2, v5
	s_delay_alu instid0(VALU_DEP_2) | instskip(NEXT) | instid1(VALU_DEP_1)
	v_add_nc_u32_e32 v18, v7, v18
	v_lshrrev_b32_e32 v3, s71, v18
	v_mul_lo_u32 v18, v7, s66
	s_delay_alu instid0(VALU_DEP_2) | instskip(NEXT) | instid1(VALU_DEP_2)
	v_mul_lo_u32 v21, v3, s69
	v_sub_nc_u32_e32 v6, v6, v18
	s_delay_alu instid0(VALU_DEP_2) | instskip(NEXT) | instid1(VALU_DEP_2)
	v_sub_nc_u32_e32 v7, v7, v21
	v_mul_lo_u32 v6, v6, s74
	s_delay_alu instid0(VALU_DEP_2) | instskip(NEXT) | instid1(VALU_DEP_1)
	v_mul_lo_u32 v7, v7, s75
	v_add3_u32 v2, v6, v2, v7
	s_cbranch_scc0 .LBB15_116
	s_branch .LBB15_242
.LBB15_117:
	s_or_b32 exec_lo, exec_lo, s53
	s_mov_b32 s2, 0
	s_and_saveexec_b32 s4, s52
	s_cbranch_execnz .LBB15_677
.LBB15_118:
	s_or_b32 exec_lo, exec_lo, s4
	s_and_saveexec_b32 s4, s54
	s_delay_alu instid0(SALU_CYCLE_1)
	s_xor_b32 s4, exec_lo, s4
	s_cbranch_execz .LBB15_120
.LBB15_119:
	global_store_b8 v[6:7], v12, off
.LBB15_120:
	s_or_b32 exec_lo, exec_lo, s4
	s_and_saveexec_b32 s4, s21
	s_delay_alu instid0(SALU_CYCLE_1)
	s_xor_b32 s4, exec_lo, s4
	s_cbranch_execz .LBB15_158
; %bb.121:
	v_cmp_gt_i16_e32 vcc_lo, 5, v8
	s_mov_b32 s5, -1
	s_cbranch_vccnz .LBB15_142
; %bb.122:
	v_cmp_gt_i16_e32 vcc_lo, 8, v8
	s_cbranch_vccnz .LBB15_132
; %bb.123:
	v_cmp_gt_i16_e32 vcc_lo, 9, v8
	s_cbranch_vccnz .LBB15_129
; %bb.124:
	v_cmp_lt_i16_e32 vcc_lo, 9, v8
	s_cbranch_vccz .LBB15_126
; %bb.125:
	v_mov_b32_e32 v2, 0
	s_mov_b32 s5, 0
	s_delay_alu instid0(VALU_DEP_1)
	v_mov_b32_e32 v3, v2
	global_store_b128 v[6:7], v[0:3], off
.LBB15_126:
	s_and_not1_b32 vcc_lo, exec_lo, s5
	s_cbranch_vccnz .LBB15_128
; %bb.127:
	v_mov_b32_e32 v5, 0
	global_store_b64 v[6:7], v[4:5], off
.LBB15_128:
	s_mov_b32 s5, 0
.LBB15_129:
	s_delay_alu instid0(SALU_CYCLE_1)
	s_and_not1_b32 vcc_lo, exec_lo, s5
	s_cbranch_vccnz .LBB15_131
; %bb.130:
	global_store_b32 v[6:7], v11, off
.LBB15_131:
	s_mov_b32 s5, 0
.LBB15_132:
	s_delay_alu instid0(SALU_CYCLE_1)
	s_and_not1_b32 vcc_lo, exec_lo, s5
	s_cbranch_vccnz .LBB15_141
; %bb.133:
	v_cmp_gt_i16_e32 vcc_lo, 6, v8
	s_mov_b32 s5, -1
	s_cbranch_vccnz .LBB15_139
; %bb.134:
	v_cmp_lt_i16_e32 vcc_lo, 6, v8
	s_cbranch_vccz .LBB15_136
; %bb.135:
	s_mov_b32 s5, 0
	global_store_b64 v[6:7], v[0:1], off
.LBB15_136:
	s_and_not1_b32 vcc_lo, exec_lo, s5
	s_cbranch_vccnz .LBB15_138
; %bb.137:
	global_store_b32 v[6:7], v4, off
.LBB15_138:
	s_mov_b32 s5, 0
.LBB15_139:
	s_delay_alu instid0(SALU_CYCLE_1)
	s_and_not1_b32 vcc_lo, exec_lo, s5
	s_cbranch_vccnz .LBB15_141
; %bb.140:
	global_store_b16 v[6:7], v9, off
.LBB15_141:
	s_mov_b32 s5, 0
.LBB15_142:
	s_delay_alu instid0(SALU_CYCLE_1)
	s_and_not1_b32 vcc_lo, exec_lo, s5
	s_cbranch_vccnz .LBB15_158
; %bb.143:
	v_cmp_gt_i16_e32 vcc_lo, 2, v8
	s_mov_b32 s5, -1
	s_cbranch_vccnz .LBB15_153
; %bb.144:
	v_cmp_gt_i16_e32 vcc_lo, 3, v8
	s_cbranch_vccnz .LBB15_150
; %bb.145:
	v_cmp_lt_i16_e32 vcc_lo, 3, v8
	s_cbranch_vccz .LBB15_147
; %bb.146:
	v_dual_mov_b32 v0, s10 :: v_dual_mov_b32 v1, s11
	s_mov_b32 s5, 0
	global_store_b64 v[6:7], v[0:1], off
.LBB15_147:
	s_and_not1_b32 vcc_lo, exec_lo, s5
	s_cbranch_vccnz .LBB15_149
; %bb.148:
	v_mov_b32_e32 v0, s28
	global_store_b32 v[6:7], v0, off
.LBB15_149:
	s_mov_b32 s5, 0
.LBB15_150:
	s_delay_alu instid0(SALU_CYCLE_1)
	s_and_not1_b32 vcc_lo, exec_lo, s5
	s_cbranch_vccnz .LBB15_152
; %bb.151:
	v_mov_b32_e32 v0, s27
	global_store_b16 v[6:7], v0, off
.LBB15_152:
	s_mov_b32 s5, 0
.LBB15_153:
	s_delay_alu instid0(SALU_CYCLE_1)
	s_and_not1_b32 vcc_lo, exec_lo, s5
	s_cbranch_vccnz .LBB15_158
; %bb.154:
	v_cmp_lt_i16_e32 vcc_lo, 0, v8
	s_mov_b32 s5, -1
	s_cbranch_vccz .LBB15_156
; %bb.155:
	v_mov_b32_e32 v0, s8
	s_mov_b32 s5, 0
	global_store_b8 v[6:7], v0, off
.LBB15_156:
	s_and_not1_b32 vcc_lo, exec_lo, s5
	s_cbranch_vccnz .LBB15_158
; %bb.157:
	v_mov_b32_e32 v0, s8
	global_store_b8 v[6:7], v0, off
.LBB15_158:
	s_or_b32 exec_lo, exec_lo, s4
	s_delay_alu instid0(SALU_CYCLE_1)
	s_and_b32 s6, s2, exec_lo
                                        ; implicit-def: $vgpr4
                                        ; implicit-def: $vgpr10
.LBB15_159:
	s_or_saveexec_b32 s7, s26
	s_mov_b32 s5, 0
                                        ; implicit-def: $vgpr5
                                        ; implicit-def: $vgpr0_vgpr1
                                        ; implicit-def: $sgpr2
	s_xor_b32 exec_lo, exec_lo, s7
	s_cbranch_execz .LBB15_925
; %bb.160:
	v_cndmask_b32_e64 v0, 0, 1, s25
	s_and_not1_b32 vcc_lo, exec_lo, s25
	s_cbranch_vccnz .LBB15_166
; %bb.161:
	v_mov_b32_e32 v3, 0
	s_cmp_eq_u32 s9, 0
	s_mov_b32 s8, 0
	s_cbranch_scc1 .LBB15_170
; %bb.162:
	s_min_u32 s10, s24, 15
	v_mov_b32_e32 v3, 0
	s_add_i32 s10, s10, 1
	s_cmp_eq_u32 s24, 2
	s_mov_b32 s11, 0
	s_cbranch_scc1 .LBB15_167
; %bb.163:
	v_mov_b32_e32 v3, 0
	v_mov_b32_e32 v1, v10
	s_add_u32 s2, s0, 0xc4
	s_addc_u32 s3, s1, 0
	s_and_b32 s11, s10, 28
	s_mov_b32 s12, 0
	s_mov_b64 s[4:5], s[0:1]
.LBB15_164:                             ; =>This Inner Loop Header: Depth=1
	s_clause 0x1
	s_load_b256 s[16:23], s[4:5], 0x4
	s_load_b128 s[28:31], s[4:5], 0x24
	s_load_b128 s[36:39], s[2:3], 0x0
	s_add_u32 s4, s4, 48
	s_addc_u32 s5, s5, 0
	s_add_i32 s12, s12, 4
	s_add_u32 s2, s2, 16
	s_addc_u32 s3, s3, 0
	s_cmp_lg_u32 s11, s12
	s_waitcnt lgkmcnt(0)
	v_mul_hi_u32 v2, s17, v1
	s_delay_alu instid0(VALU_DEP_1) | instskip(NEXT) | instid1(VALU_DEP_1)
	v_add_nc_u32_e32 v2, v1, v2
	v_lshrrev_b32_e32 v2, s18, v2
	s_delay_alu instid0(VALU_DEP_1) | instskip(SKIP_1) | instid1(VALU_DEP_2)
	v_mul_hi_u32 v5, s20, v2
	v_mul_lo_u32 v8, v2, s16
	v_add_nc_u32_e32 v5, v2, v5
	s_delay_alu instid0(VALU_DEP_2) | instskip(NEXT) | instid1(VALU_DEP_2)
	v_sub_nc_u32_e32 v8, v1, v8
	v_lshrrev_b32_e32 v5, s21, v5
	s_delay_alu instid0(VALU_DEP_2) | instskip(NEXT) | instid1(VALU_DEP_2)
	v_mul_lo_u32 v8, v8, s36
	v_mul_hi_u32 v6, s23, v5
	v_mul_lo_u32 v9, v5, s19
	s_delay_alu instid0(VALU_DEP_2) | instskip(NEXT) | instid1(VALU_DEP_2)
	v_add_nc_u32_e32 v6, v5, v6
	v_sub_nc_u32_e32 v2, v2, v9
	s_delay_alu instid0(VALU_DEP_2) | instskip(NEXT) | instid1(VALU_DEP_2)
	v_lshrrev_b32_e32 v6, s28, v6
	v_mul_lo_u32 v2, v2, s37
	s_delay_alu instid0(VALU_DEP_2) | instskip(NEXT) | instid1(VALU_DEP_2)
	v_mul_hi_u32 v7, s30, v6
	v_add3_u32 v2, v8, v3, v2
	s_delay_alu instid0(VALU_DEP_2) | instskip(NEXT) | instid1(VALU_DEP_1)
	v_add_nc_u32_e32 v7, v6, v7
	v_lshrrev_b32_e32 v1, s31, v7
	v_mul_lo_u32 v7, v6, s22
	s_delay_alu instid0(VALU_DEP_2) | instskip(NEXT) | instid1(VALU_DEP_2)
	v_mul_lo_u32 v11, v1, s29
	v_sub_nc_u32_e32 v5, v5, v7
	s_delay_alu instid0(VALU_DEP_2) | instskip(NEXT) | instid1(VALU_DEP_2)
	v_sub_nc_u32_e32 v6, v6, v11
	v_mul_lo_u32 v5, v5, s38
	s_delay_alu instid0(VALU_DEP_2) | instskip(NEXT) | instid1(VALU_DEP_1)
	v_mul_lo_u32 v6, v6, s39
	v_add3_u32 v3, v5, v2, v6
	s_cbranch_scc1 .LBB15_164
; %bb.165:
	s_and_b32 s10, s10, 3
	s_delay_alu instid0(SALU_CYCLE_1)
	s_cmp_eq_u32 s10, 0
	s_cbranch_scc0 .LBB15_168
	s_branch .LBB15_170
.LBB15_166:
	s_mov_b32 s8, -1
                                        ; implicit-def: $vgpr3
	s_branch .LBB15_170
.LBB15_167:
	v_mov_b32_e32 v1, v10
	s_and_b32 s10, s10, 3
	s_delay_alu instid0(SALU_CYCLE_1)
	s_cmp_eq_u32 s10, 0
	s_cbranch_scc1 .LBB15_170
.LBB15_168:
	s_lshl_b32 s2, s11, 2
	s_mul_i32 s4, s11, 12
	s_add_u32 s2, s2, s0
	s_addc_u32 s3, 0, s1
	s_add_u32 s2, s2, 0xc4
	s_addc_u32 s3, s3, 0
	;; [unrolled: 2-line block ×3, first 2 shown]
	.p2align	6
.LBB15_169:                             ; =>This Inner Loop Header: Depth=1
	s_clause 0x1
	s_load_b64 s[12:13], s[4:5], 0x4
	s_load_b32 s11, s[4:5], 0xc
	s_add_u32 s4, s4, 12
	s_addc_u32 s5, s5, 0
	s_waitcnt lgkmcnt(0)
	v_mul_hi_u32 v2, s13, v1
	s_load_b32 s13, s[2:3], 0x0
	s_add_u32 s2, s2, 4
	s_addc_u32 s3, s3, 0
	s_add_i32 s10, s10, -1
	s_delay_alu instid0(SALU_CYCLE_1) | instskip(NEXT) | instid1(VALU_DEP_1)
	s_cmp_lg_u32 s10, 0
	v_add_nc_u32_e32 v2, v1, v2
	s_delay_alu instid0(VALU_DEP_1) | instskip(NEXT) | instid1(VALU_DEP_1)
	v_lshrrev_b32_e32 v2, s11, v2
	v_mul_lo_u32 v5, v2, s12
	s_delay_alu instid0(VALU_DEP_1) | instskip(SKIP_1) | instid1(VALU_DEP_1)
	v_sub_nc_u32_e32 v1, v1, v5
	s_waitcnt lgkmcnt(0)
	v_mad_u64_u32 v[5:6], null, v1, s13, v[3:4]
	v_mov_b32_e32 v1, v2
	s_delay_alu instid0(VALU_DEP_2)
	v_mov_b32_e32 v3, v5
	s_cbranch_scc1 .LBB15_169
.LBB15_170:
	s_and_not1_b32 vcc_lo, exec_lo, s8
	s_cbranch_vccnz .LBB15_173
; %bb.171:
	s_clause 0x1
	s_load_b128 s[12:15], s[0:1], 0x4
	s_load_b32 s2, s[0:1], 0xc4
	s_cmp_lt_u32 s9, 2
	s_waitcnt lgkmcnt(0)
	v_mul_hi_u32 v1, s13, v10
	s_delay_alu instid0(VALU_DEP_1) | instskip(NEXT) | instid1(VALU_DEP_1)
	v_add_nc_u32_e32 v1, v10, v1
	v_lshrrev_b32_e32 v1, s14, v1
	s_delay_alu instid0(VALU_DEP_1) | instskip(NEXT) | instid1(VALU_DEP_1)
	v_mul_lo_u32 v2, v1, s12
	v_sub_nc_u32_e32 v2, v10, v2
	s_delay_alu instid0(VALU_DEP_1)
	v_mul_lo_u32 v3, v2, s2
	s_cbranch_scc1 .LBB15_173
; %bb.172:
	s_clause 0x1
	s_load_b128 s[12:15], s[0:1], 0x10
	s_load_b32 s2, s[0:1], 0xc8
	s_waitcnt lgkmcnt(0)
	v_mul_hi_u32 v2, s13, v1
	s_delay_alu instid0(VALU_DEP_1) | instskip(NEXT) | instid1(VALU_DEP_1)
	v_add_nc_u32_e32 v2, v1, v2
	v_lshrrev_b32_e32 v2, s14, v2
	s_delay_alu instid0(VALU_DEP_1) | instskip(NEXT) | instid1(VALU_DEP_1)
	v_mul_lo_u32 v2, v2, s12
	v_sub_nc_u32_e32 v5, v1, v2
	s_delay_alu instid0(VALU_DEP_1) | instskip(NEXT) | instid1(VALU_DEP_1)
	v_mad_u64_u32 v[1:2], null, v5, s2, v[3:4]
	v_mov_b32_e32 v3, v1
.LBB15_173:
	v_cmp_ne_u32_e32 vcc_lo, 1, v0
	v_add_nc_u32_e32 v1, 0x80, v10
	s_cbranch_vccnz .LBB15_179
; %bb.174:
	v_mov_b32_e32 v2, 0
	s_cmp_eq_u32 s9, 0
	s_mov_b32 s8, 0
	s_cbranch_scc1 .LBB15_183
; %bb.175:
	s_min_u32 s10, s24, 15
	v_mov_b32_e32 v2, 0
	s_add_i32 s10, s10, 1
	s_cmp_eq_u32 s24, 2
	s_mov_b32 s11, 0
	s_cbranch_scc1 .LBB15_180
; %bb.176:
	v_dual_mov_b32 v2, 0 :: v_dual_mov_b32 v5, v1
	s_add_u32 s2, s0, 0xc4
	s_addc_u32 s3, s1, 0
	s_and_b32 s11, s10, 28
	s_mov_b32 s12, 0
	s_mov_b64 s[4:5], s[0:1]
.LBB15_177:                             ; =>This Inner Loop Header: Depth=1
	s_clause 0x1
	s_load_b256 s[16:23], s[4:5], 0x4
	s_load_b128 s[28:31], s[4:5], 0x24
	s_load_b128 s[36:39], s[2:3], 0x0
	s_add_u32 s4, s4, 48
	s_addc_u32 s5, s5, 0
	s_add_i32 s12, s12, 4
	s_add_u32 s2, s2, 16
	s_addc_u32 s3, s3, 0
	s_cmp_lg_u32 s11, s12
	s_waitcnt lgkmcnt(0)
	v_mul_hi_u32 v6, s17, v5
	s_delay_alu instid0(VALU_DEP_1) | instskip(NEXT) | instid1(VALU_DEP_1)
	v_add_nc_u32_e32 v6, v5, v6
	v_lshrrev_b32_e32 v6, s18, v6
	s_delay_alu instid0(VALU_DEP_1) | instskip(SKIP_1) | instid1(VALU_DEP_2)
	v_mul_hi_u32 v7, s20, v6
	v_mul_lo_u32 v11, v6, s16
	v_add_nc_u32_e32 v7, v6, v7
	s_delay_alu instid0(VALU_DEP_2) | instskip(NEXT) | instid1(VALU_DEP_2)
	v_sub_nc_u32_e32 v11, v5, v11
	v_lshrrev_b32_e32 v7, s21, v7
	s_delay_alu instid0(VALU_DEP_2) | instskip(NEXT) | instid1(VALU_DEP_2)
	v_mul_lo_u32 v11, v11, s36
	v_mul_hi_u32 v8, s23, v7
	v_mul_lo_u32 v12, v7, s19
	s_delay_alu instid0(VALU_DEP_2) | instskip(NEXT) | instid1(VALU_DEP_2)
	v_add_nc_u32_e32 v8, v7, v8
	v_sub_nc_u32_e32 v6, v6, v12
	s_delay_alu instid0(VALU_DEP_2) | instskip(NEXT) | instid1(VALU_DEP_2)
	v_lshrrev_b32_e32 v8, s28, v8
	v_mul_lo_u32 v6, v6, s37
	s_delay_alu instid0(VALU_DEP_2) | instskip(NEXT) | instid1(VALU_DEP_2)
	v_mul_hi_u32 v9, s30, v8
	v_add3_u32 v2, v11, v2, v6
	s_delay_alu instid0(VALU_DEP_2) | instskip(NEXT) | instid1(VALU_DEP_1)
	v_add_nc_u32_e32 v9, v8, v9
	v_lshrrev_b32_e32 v5, s31, v9
	v_mul_lo_u32 v9, v8, s22
	s_delay_alu instid0(VALU_DEP_2) | instskip(NEXT) | instid1(VALU_DEP_2)
	v_mul_lo_u32 v13, v5, s29
	v_sub_nc_u32_e32 v7, v7, v9
	s_delay_alu instid0(VALU_DEP_2) | instskip(NEXT) | instid1(VALU_DEP_2)
	v_sub_nc_u32_e32 v8, v8, v13
	v_mul_lo_u32 v7, v7, s38
	s_delay_alu instid0(VALU_DEP_2) | instskip(NEXT) | instid1(VALU_DEP_1)
	v_mul_lo_u32 v8, v8, s39
	v_add3_u32 v2, v7, v2, v8
	s_cbranch_scc1 .LBB15_177
; %bb.178:
	s_and_b32 s10, s10, 3
	s_delay_alu instid0(SALU_CYCLE_1)
	s_cmp_eq_u32 s10, 0
	s_cbranch_scc0 .LBB15_181
	s_branch .LBB15_183
.LBB15_179:
	s_mov_b32 s8, -1
                                        ; implicit-def: $vgpr2
	s_branch .LBB15_183
.LBB15_180:
	v_mov_b32_e32 v5, v1
	s_and_b32 s10, s10, 3
	s_delay_alu instid0(SALU_CYCLE_1)
	s_cmp_eq_u32 s10, 0
	s_cbranch_scc1 .LBB15_183
.LBB15_181:
	s_lshl_b32 s2, s11, 2
	s_mul_i32 s4, s11, 12
	s_add_u32 s2, s2, s0
	s_addc_u32 s3, 0, s1
	s_add_u32 s2, s2, 0xc4
	s_addc_u32 s3, s3, 0
	s_add_u32 s4, s0, s4
	s_addc_u32 s5, 0, s1
	.p2align	6
.LBB15_182:                             ; =>This Inner Loop Header: Depth=1
	s_clause 0x1
	s_load_b64 s[12:13], s[4:5], 0x4
	s_load_b32 s11, s[4:5], 0xc
	s_add_u32 s4, s4, 12
	s_addc_u32 s5, s5, 0
	s_waitcnt lgkmcnt(0)
	v_mul_hi_u32 v6, s13, v5
	s_load_b32 s13, s[2:3], 0x0
	s_add_u32 s2, s2, 4
	s_addc_u32 s3, s3, 0
	s_add_i32 s10, s10, -1
	s_delay_alu instid0(SALU_CYCLE_1) | instskip(NEXT) | instid1(VALU_DEP_1)
	s_cmp_lg_u32 s10, 0
	v_add_nc_u32_e32 v6, v5, v6
	s_delay_alu instid0(VALU_DEP_1) | instskip(NEXT) | instid1(VALU_DEP_1)
	v_lshrrev_b32_e32 v8, s11, v6
	v_mul_lo_u32 v6, v8, s12
	s_delay_alu instid0(VALU_DEP_1) | instskip(SKIP_1) | instid1(VALU_DEP_1)
	v_sub_nc_u32_e32 v5, v5, v6
	s_waitcnt lgkmcnt(0)
	v_mad_u64_u32 v[6:7], null, v5, s13, v[2:3]
	s_delay_alu instid0(VALU_DEP_1)
	v_dual_mov_b32 v5, v8 :: v_dual_mov_b32 v2, v6
	s_cbranch_scc1 .LBB15_182
.LBB15_183:
	s_and_not1_b32 vcc_lo, exec_lo, s8
	s_cbranch_vccnz .LBB15_186
; %bb.184:
	s_clause 0x1
	s_load_b128 s[12:15], s[0:1], 0x4
	s_load_b32 s2, s[0:1], 0xc4
	s_cmp_lt_u32 s9, 2
	s_waitcnt lgkmcnt(0)
	v_mul_hi_u32 v2, s13, v1
	s_delay_alu instid0(VALU_DEP_1) | instskip(NEXT) | instid1(VALU_DEP_1)
	v_add_nc_u32_e32 v2, v1, v2
	v_lshrrev_b32_e32 v5, s14, v2
	s_delay_alu instid0(VALU_DEP_1) | instskip(NEXT) | instid1(VALU_DEP_1)
	v_mul_lo_u32 v2, v5, s12
	v_sub_nc_u32_e32 v1, v1, v2
	s_delay_alu instid0(VALU_DEP_1)
	v_mul_lo_u32 v2, v1, s2
	s_cbranch_scc1 .LBB15_186
; %bb.185:
	s_clause 0x1
	s_load_b128 s[12:15], s[0:1], 0x10
	s_load_b32 s2, s[0:1], 0xc8
	s_waitcnt lgkmcnt(0)
	v_mul_hi_u32 v1, s13, v5
	s_delay_alu instid0(VALU_DEP_1) | instskip(NEXT) | instid1(VALU_DEP_1)
	v_add_nc_u32_e32 v1, v5, v1
	v_lshrrev_b32_e32 v1, s14, v1
	s_delay_alu instid0(VALU_DEP_1) | instskip(NEXT) | instid1(VALU_DEP_1)
	v_mul_lo_u32 v1, v1, s12
	v_sub_nc_u32_e32 v1, v5, v1
	s_delay_alu instid0(VALU_DEP_1) | instskip(NEXT) | instid1(VALU_DEP_1)
	v_mad_u64_u32 v[5:6], null, v1, s2, v[2:3]
	v_mov_b32_e32 v2, v5
.LBB15_186:
	v_cmp_ne_u32_e32 vcc_lo, 1, v0
	v_add_nc_u32_e32 v5, 0x100, v10
	s_cbranch_vccnz .LBB15_192
; %bb.187:
	v_mov_b32_e32 v1, 0
	s_cmp_eq_u32 s9, 0
	s_mov_b32 s8, 0
	s_cbranch_scc1 .LBB15_196
; %bb.188:
	s_min_u32 s10, s24, 15
	v_mov_b32_e32 v1, 0
	s_add_i32 s10, s10, 1
	s_cmp_eq_u32 s24, 2
	s_mov_b32 s11, 0
	s_cbranch_scc1 .LBB15_193
; %bb.189:
	v_dual_mov_b32 v1, 0 :: v_dual_mov_b32 v6, v5
	s_add_u32 s2, s0, 0xc4
	s_addc_u32 s3, s1, 0
	s_and_b32 s11, s10, 28
	s_mov_b32 s12, 0
	s_mov_b64 s[4:5], s[0:1]
.LBB15_190:                             ; =>This Inner Loop Header: Depth=1
	s_clause 0x1
	s_load_b256 s[16:23], s[4:5], 0x4
	s_load_b128 s[28:31], s[4:5], 0x24
	s_load_b128 s[36:39], s[2:3], 0x0
	s_add_u32 s4, s4, 48
	s_addc_u32 s5, s5, 0
	s_add_i32 s12, s12, 4
	s_add_u32 s2, s2, 16
	s_addc_u32 s3, s3, 0
	s_cmp_lg_u32 s11, s12
	s_waitcnt lgkmcnt(0)
	v_mul_hi_u32 v7, s17, v6
	s_delay_alu instid0(VALU_DEP_1) | instskip(NEXT) | instid1(VALU_DEP_1)
	v_add_nc_u32_e32 v7, v6, v7
	v_lshrrev_b32_e32 v7, s18, v7
	s_delay_alu instid0(VALU_DEP_1) | instskip(SKIP_1) | instid1(VALU_DEP_2)
	v_mul_hi_u32 v8, s20, v7
	v_mul_lo_u32 v11, v7, s16
	v_add_nc_u32_e32 v8, v7, v8
	s_delay_alu instid0(VALU_DEP_2) | instskip(NEXT) | instid1(VALU_DEP_2)
	v_sub_nc_u32_e32 v11, v6, v11
	v_lshrrev_b32_e32 v8, s21, v8
	s_delay_alu instid0(VALU_DEP_2) | instskip(NEXT) | instid1(VALU_DEP_2)
	v_mul_lo_u32 v11, v11, s36
	v_mul_hi_u32 v9, s23, v8
	v_mul_lo_u32 v12, v8, s19
	s_delay_alu instid0(VALU_DEP_2) | instskip(NEXT) | instid1(VALU_DEP_2)
	v_add_nc_u32_e32 v9, v8, v9
	v_sub_nc_u32_e32 v7, v7, v12
	s_delay_alu instid0(VALU_DEP_2) | instskip(NEXT) | instid1(VALU_DEP_2)
	v_lshrrev_b32_e32 v9, s28, v9
	v_mul_lo_u32 v7, v7, s37
	s_delay_alu instid0(VALU_DEP_2) | instskip(NEXT) | instid1(VALU_DEP_2)
	v_mul_hi_u32 v10, s30, v9
	v_add3_u32 v1, v11, v1, v7
	s_delay_alu instid0(VALU_DEP_2) | instskip(NEXT) | instid1(VALU_DEP_1)
	v_add_nc_u32_e32 v10, v9, v10
	v_lshrrev_b32_e32 v6, s31, v10
	v_mul_lo_u32 v10, v9, s22
	s_delay_alu instid0(VALU_DEP_2) | instskip(NEXT) | instid1(VALU_DEP_2)
	v_mul_lo_u32 v13, v6, s29
	v_sub_nc_u32_e32 v8, v8, v10
	s_delay_alu instid0(VALU_DEP_2) | instskip(NEXT) | instid1(VALU_DEP_2)
	v_sub_nc_u32_e32 v9, v9, v13
	v_mul_lo_u32 v8, v8, s38
	s_delay_alu instid0(VALU_DEP_2) | instskip(NEXT) | instid1(VALU_DEP_1)
	v_mul_lo_u32 v9, v9, s39
	v_add3_u32 v1, v8, v1, v9
	s_cbranch_scc1 .LBB15_190
; %bb.191:
	s_and_b32 s10, s10, 3
	s_delay_alu instid0(SALU_CYCLE_1)
	s_cmp_eq_u32 s10, 0
	s_cbranch_scc0 .LBB15_194
	s_branch .LBB15_196
.LBB15_192:
	s_mov_b32 s8, -1
                                        ; implicit-def: $vgpr1
	s_branch .LBB15_196
.LBB15_193:
	v_mov_b32_e32 v6, v5
	s_and_b32 s10, s10, 3
	s_delay_alu instid0(SALU_CYCLE_1)
	s_cmp_eq_u32 s10, 0
	s_cbranch_scc1 .LBB15_196
.LBB15_194:
	s_lshl_b32 s2, s11, 2
	s_mul_i32 s4, s11, 12
	s_add_u32 s2, s2, s0
	s_addc_u32 s3, 0, s1
	s_add_u32 s2, s2, 0xc4
	s_addc_u32 s3, s3, 0
	;; [unrolled: 2-line block ×3, first 2 shown]
	.p2align	6
.LBB15_195:                             ; =>This Inner Loop Header: Depth=1
	s_clause 0x1
	s_load_b64 s[12:13], s[4:5], 0x4
	s_load_b32 s11, s[4:5], 0xc
	s_add_u32 s4, s4, 12
	s_addc_u32 s5, s5, 0
	s_waitcnt lgkmcnt(0)
	v_mul_hi_u32 v7, s13, v6
	s_load_b32 s13, s[2:3], 0x0
	s_add_u32 s2, s2, 4
	s_addc_u32 s3, s3, 0
	s_add_i32 s10, s10, -1
	s_delay_alu instid0(SALU_CYCLE_1) | instskip(NEXT) | instid1(VALU_DEP_1)
	s_cmp_lg_u32 s10, 0
	v_add_nc_u32_e32 v7, v6, v7
	s_delay_alu instid0(VALU_DEP_1) | instskip(NEXT) | instid1(VALU_DEP_1)
	v_lshrrev_b32_e32 v9, s11, v7
	v_mul_lo_u32 v7, v9, s12
	s_delay_alu instid0(VALU_DEP_1) | instskip(SKIP_1) | instid1(VALU_DEP_1)
	v_sub_nc_u32_e32 v6, v6, v7
	s_waitcnt lgkmcnt(0)
	v_mad_u64_u32 v[7:8], null, v6, s13, v[1:2]
	s_delay_alu instid0(VALU_DEP_1)
	v_dual_mov_b32 v6, v9 :: v_dual_mov_b32 v1, v7
	s_cbranch_scc1 .LBB15_195
.LBB15_196:
	s_and_not1_b32 vcc_lo, exec_lo, s8
	s_cbranch_vccnz .LBB15_199
; %bb.197:
	s_clause 0x1
	s_load_b128 s[12:15], s[0:1], 0x4
	s_load_b32 s2, s[0:1], 0xc4
	s_cmp_lt_u32 s9, 2
	s_waitcnt lgkmcnt(0)
	v_mul_hi_u32 v1, s13, v5
	s_delay_alu instid0(VALU_DEP_1) | instskip(NEXT) | instid1(VALU_DEP_1)
	v_add_nc_u32_e32 v1, v5, v1
	v_lshrrev_b32_e32 v6, s14, v1
	s_delay_alu instid0(VALU_DEP_1) | instskip(NEXT) | instid1(VALU_DEP_1)
	v_mul_lo_u32 v1, v6, s12
	v_sub_nc_u32_e32 v1, v5, v1
	s_delay_alu instid0(VALU_DEP_1)
	v_mul_lo_u32 v1, v1, s2
	s_cbranch_scc1 .LBB15_199
; %bb.198:
	s_clause 0x1
	s_load_b128 s[12:15], s[0:1], 0x10
	s_load_b32 s2, s[0:1], 0xc8
	s_waitcnt lgkmcnt(0)
	v_mul_hi_u32 v5, s13, v6
	s_delay_alu instid0(VALU_DEP_1) | instskip(NEXT) | instid1(VALU_DEP_1)
	v_add_nc_u32_e32 v5, v6, v5
	v_lshrrev_b32_e32 v5, s14, v5
	s_delay_alu instid0(VALU_DEP_1) | instskip(NEXT) | instid1(VALU_DEP_1)
	v_mul_lo_u32 v5, v5, s12
	v_sub_nc_u32_e32 v7, v6, v5
	s_delay_alu instid0(VALU_DEP_1) | instskip(NEXT) | instid1(VALU_DEP_1)
	v_mad_u64_u32 v[5:6], null, v7, s2, v[1:2]
	v_mov_b32_e32 v1, v5
.LBB15_199:
	v_cmp_ne_u32_e32 vcc_lo, 1, v0
	s_cbranch_vccnz .LBB15_205
; %bb.200:
	v_mov_b32_e32 v0, 0
	s_cmp_eq_u32 s9, 0
	s_mov_b32 s8, 0
	s_cbranch_scc1 .LBB15_209
; %bb.201:
	s_min_u32 s10, s24, 15
	v_mov_b32_e32 v0, 0
	s_add_i32 s10, s10, 1
	s_cmp_eq_u32 s24, 2
	s_mov_b32 s11, 0
	s_cbranch_scc1 .LBB15_206
; %bb.202:
	v_dual_mov_b32 v0, 0 :: v_dual_mov_b32 v5, v4
	s_add_u32 s2, s0, 0xc4
	s_addc_u32 s3, s1, 0
	s_and_b32 s11, s10, 28
	s_mov_b32 s12, 0
	s_mov_b64 s[4:5], s[0:1]
.LBB15_203:                             ; =>This Inner Loop Header: Depth=1
	s_clause 0x1
	s_load_b256 s[16:23], s[4:5], 0x4
	s_load_b128 s[24:27], s[4:5], 0x24
	s_load_b128 s[28:31], s[2:3], 0x0
	s_add_u32 s4, s4, 48
	s_addc_u32 s5, s5, 0
	s_add_i32 s12, s12, 4
	s_add_u32 s2, s2, 16
	s_addc_u32 s3, s3, 0
	s_cmp_lg_u32 s11, s12
	s_waitcnt lgkmcnt(0)
	v_mul_hi_u32 v6, s17, v5
	s_delay_alu instid0(VALU_DEP_1) | instskip(NEXT) | instid1(VALU_DEP_1)
	v_add_nc_u32_e32 v6, v5, v6
	v_lshrrev_b32_e32 v6, s18, v6
	s_delay_alu instid0(VALU_DEP_1) | instskip(SKIP_1) | instid1(VALU_DEP_2)
	v_mul_hi_u32 v7, s20, v6
	v_mul_lo_u32 v10, v6, s16
	v_add_nc_u32_e32 v7, v6, v7
	s_delay_alu instid0(VALU_DEP_2) | instskip(NEXT) | instid1(VALU_DEP_2)
	v_sub_nc_u32_e32 v10, v5, v10
	v_lshrrev_b32_e32 v7, s21, v7
	s_delay_alu instid0(VALU_DEP_2) | instskip(NEXT) | instid1(VALU_DEP_2)
	v_mul_lo_u32 v10, v10, s28
	v_mul_hi_u32 v8, s23, v7
	v_mul_lo_u32 v11, v7, s19
	s_delay_alu instid0(VALU_DEP_2) | instskip(NEXT) | instid1(VALU_DEP_2)
	v_add_nc_u32_e32 v8, v7, v8
	v_sub_nc_u32_e32 v6, v6, v11
	s_delay_alu instid0(VALU_DEP_2) | instskip(NEXT) | instid1(VALU_DEP_2)
	v_lshrrev_b32_e32 v8, s24, v8
	v_mul_lo_u32 v6, v6, s29
	s_delay_alu instid0(VALU_DEP_2) | instskip(NEXT) | instid1(VALU_DEP_2)
	v_mul_hi_u32 v9, s26, v8
	v_add3_u32 v0, v10, v0, v6
	s_delay_alu instid0(VALU_DEP_2) | instskip(NEXT) | instid1(VALU_DEP_1)
	v_add_nc_u32_e32 v9, v8, v9
	v_lshrrev_b32_e32 v5, s27, v9
	v_mul_lo_u32 v9, v8, s22
	s_delay_alu instid0(VALU_DEP_2) | instskip(NEXT) | instid1(VALU_DEP_2)
	v_mul_lo_u32 v12, v5, s25
	v_sub_nc_u32_e32 v7, v7, v9
	s_delay_alu instid0(VALU_DEP_2) | instskip(NEXT) | instid1(VALU_DEP_2)
	v_sub_nc_u32_e32 v8, v8, v12
	v_mul_lo_u32 v7, v7, s30
	s_delay_alu instid0(VALU_DEP_2) | instskip(NEXT) | instid1(VALU_DEP_1)
	v_mul_lo_u32 v8, v8, s31
	v_add3_u32 v0, v7, v0, v8
	s_cbranch_scc1 .LBB15_203
; %bb.204:
	s_and_b32 s10, s10, 3
	s_delay_alu instid0(SALU_CYCLE_1)
	s_cmp_eq_u32 s10, 0
	s_cbranch_scc0 .LBB15_207
	s_branch .LBB15_209
.LBB15_205:
	s_mov_b32 s8, -1
                                        ; implicit-def: $vgpr0
	s_branch .LBB15_209
.LBB15_206:
	v_mov_b32_e32 v5, v4
	s_and_b32 s10, s10, 3
	s_delay_alu instid0(SALU_CYCLE_1)
	s_cmp_eq_u32 s10, 0
	s_cbranch_scc1 .LBB15_209
.LBB15_207:
	s_lshl_b32 s2, s11, 2
	s_mul_i32 s4, s11, 12
	s_add_u32 s2, s2, s0
	s_addc_u32 s3, 0, s1
	s_add_u32 s2, s2, 0xc4
	s_addc_u32 s3, s3, 0
	;; [unrolled: 2-line block ×3, first 2 shown]
	.p2align	6
.LBB15_208:                             ; =>This Inner Loop Header: Depth=1
	s_clause 0x1
	s_load_b64 s[12:13], s[4:5], 0x4
	s_load_b32 s11, s[4:5], 0xc
	s_add_u32 s4, s4, 12
	s_addc_u32 s5, s5, 0
	s_waitcnt lgkmcnt(0)
	v_mul_hi_u32 v6, s13, v5
	s_load_b32 s13, s[2:3], 0x0
	s_add_u32 s2, s2, 4
	s_addc_u32 s3, s3, 0
	s_add_i32 s10, s10, -1
	s_delay_alu instid0(SALU_CYCLE_1) | instskip(NEXT) | instid1(VALU_DEP_1)
	s_cmp_lg_u32 s10, 0
	v_add_nc_u32_e32 v6, v5, v6
	s_delay_alu instid0(VALU_DEP_1) | instskip(NEXT) | instid1(VALU_DEP_1)
	v_lshrrev_b32_e32 v8, s11, v6
	v_mul_lo_u32 v6, v8, s12
	s_delay_alu instid0(VALU_DEP_1) | instskip(SKIP_1) | instid1(VALU_DEP_1)
	v_sub_nc_u32_e32 v5, v5, v6
	s_waitcnt lgkmcnt(0)
	v_mad_u64_u32 v[6:7], null, v5, s13, v[0:1]
	s_delay_alu instid0(VALU_DEP_1)
	v_dual_mov_b32 v5, v8 :: v_dual_mov_b32 v0, v6
	s_cbranch_scc1 .LBB15_208
.LBB15_209:
	s_and_not1_b32 vcc_lo, exec_lo, s8
	s_cbranch_vccnz .LBB15_212
; %bb.210:
	s_clause 0x1
	s_load_b128 s[12:15], s[0:1], 0x4
	s_load_b32 s2, s[0:1], 0xc4
	s_cmp_lt_u32 s9, 2
	s_waitcnt lgkmcnt(0)
	v_mul_hi_u32 v0, s13, v4
	s_delay_alu instid0(VALU_DEP_1) | instskip(NEXT) | instid1(VALU_DEP_1)
	v_add_nc_u32_e32 v0, v4, v0
	v_lshrrev_b32_e32 v5, s14, v0
	s_delay_alu instid0(VALU_DEP_1) | instskip(NEXT) | instid1(VALU_DEP_1)
	v_mul_lo_u32 v0, v5, s12
	v_sub_nc_u32_e32 v0, v4, v0
	s_delay_alu instid0(VALU_DEP_1)
	v_mul_lo_u32 v0, v0, s2
	s_cbranch_scc1 .LBB15_212
; %bb.211:
	s_clause 0x1
	s_load_b128 s[8:11], s[0:1], 0x10
	s_load_b32 s2, s[0:1], 0xc8
	s_waitcnt lgkmcnt(0)
	v_mul_hi_u32 v4, s9, v5
	s_delay_alu instid0(VALU_DEP_1) | instskip(NEXT) | instid1(VALU_DEP_1)
	v_add_nc_u32_e32 v4, v5, v4
	v_lshrrev_b32_e32 v4, s10, v4
	s_delay_alu instid0(VALU_DEP_1) | instskip(NEXT) | instid1(VALU_DEP_1)
	v_mul_lo_u32 v4, v4, s8
	v_sub_nc_u32_e32 v6, v5, v4
	s_delay_alu instid0(VALU_DEP_1) | instskip(NEXT) | instid1(VALU_DEP_1)
	v_mad_u64_u32 v[4:5], null, v6, s2, v[0:1]
	v_mov_b32_e32 v0, v4
.LBB15_212:
	s_clause 0x1
	s_load_b32 s2, s[0:1], 0x110
	s_load_b64 s[0:1], s[0:1], 0x108
	s_mov_b32 s5, 0
	s_mov_b32 s4, -1
	s_waitcnt lgkmcnt(0)
	v_lshrrev_b16 v5, 8, s2
	v_add_co_u32 v3, s3, s0, v3
	s_delay_alu instid0(VALU_DEP_1) | instskip(NEXT) | instid1(VALU_DEP_3)
	v_add_co_ci_u32_e64 v4, null, s1, 0, s3
	v_cmp_gt_i16_e32 vcc_lo, 11, v5
	s_mov_b32 s3, s6
	s_cbranch_vccnz .LBB15_471
; %bb.213:
	v_cmp_lt_i16_e32 vcc_lo, 25, v5
	s_mov_b32 s8, -1
	s_mov_b32 s4, 0
	s_mov_b32 s3, 0
	s_cbranch_vccz .LBB15_306
; %bb.214:
	v_cmp_lt_i16_e32 vcc_lo, 28, v5
	s_cbranch_vccz .LBB15_229
; %bb.215:
	v_cmp_lt_i16_e32 vcc_lo, 43, v5
	;; [unrolled: 3-line block ×3, first 2 shown]
	s_cbranch_vccz .LBB15_219
; %bb.217:
	v_cmp_eq_u16_e32 vcc_lo, 46, v5
	s_mov_b32 s3, -1
	s_mov_b32 s8, 0
	s_cbranch_vccz .LBB15_219
; %bb.218:
	s_bfe_i32 s3, s2, 0x80000
	s_mov_b32 s5, -1
	s_sext_i32_i16 s3, s3
	s_delay_alu instid0(SALU_CYCLE_1) | instskip(SKIP_1) | instid1(VALU_DEP_1)
	v_cvt_f32_i32_e32 v6, s3
	s_mov_b32 s3, 0
	v_bfe_u32 v7, v6, 16, 1
	s_delay_alu instid0(VALU_DEP_1) | instskip(NEXT) | instid1(VALU_DEP_1)
	v_add_nc_u32_e32 v6, v6, v7
	v_add_nc_u32_e32 v6, 0x7fff, v6
	s_delay_alu instid0(VALU_DEP_1)
	v_lshrrev_b32_e32 v6, 16, v6
	global_store_b32 v[3:4], v6, off
.LBB15_219:
	s_and_b32 vcc_lo, exec_lo, s8
	s_cbranch_vccz .LBB15_224
; %bb.220:
	v_cmp_eq_u16_e32 vcc_lo, 44, v5
	s_mov_b32 s3, -1
	s_cbranch_vccz .LBB15_224
; %bb.221:
	s_bfe_i32 s3, s2, 0x80000
	v_mov_b32_e32 v7, 0xff
	s_sext_i32_i16 s3, s3
	s_delay_alu instid0(SALU_CYCLE_1) | instskip(NEXT) | instid1(VALU_DEP_1)
	v_cvt_f32_i32_e32 v6, s3
	v_readfirstlane_b32 s3, v6
	s_delay_alu instid0(VALU_DEP_1) | instskip(NEXT) | instid1(SALU_CYCLE_1)
	s_bfe_u32 s5, s3, 0x80017
	s_cmpk_eq_i32 s5, 0xff
	s_cbranch_scc1 .LBB15_223
; %bb.222:
	s_bitcmp1_b32 s3, 22
	v_lshrrev_b32_e32 v6, 23, v6
	s_cselect_b32 s8, -1, 0
	s_and_b32 s3, s3, 0x3fffff
	s_delay_alu instid0(SALU_CYCLE_1) | instskip(NEXT) | instid1(SALU_CYCLE_1)
	s_or_b32 s3, s5, s3
	s_cmp_lg_u32 s3, 0
	s_cselect_b32 s3, -1, 0
	s_delay_alu instid0(SALU_CYCLE_1) | instskip(NEXT) | instid1(SALU_CYCLE_1)
	s_and_b32 s3, s8, s3
	v_cndmask_b32_e64 v7, 0, 1, s3
	s_delay_alu instid0(VALU_DEP_1)
	v_add_nc_u32_e32 v7, v6, v7
.LBB15_223:
	s_mov_b32 s3, 0
	s_mov_b32 s5, -1
	global_store_b8 v[3:4], v7, off
.LBB15_224:
	s_mov_b32 s8, 0
.LBB15_225:
	s_delay_alu instid0(SALU_CYCLE_1)
	s_and_b32 vcc_lo, exec_lo, s8
	s_cbranch_vccz .LBB15_228
; %bb.226:
	v_cmp_eq_u16_e32 vcc_lo, 29, v5
	s_mov_b32 s3, -1
	s_cbranch_vccz .LBB15_228
; %bb.227:
	v_mov_b32_e32 v6, s2
	s_mov_b32 s3, 0
	s_mov_b32 s5, -1
	s_delay_alu instid0(VALU_DEP_1) | instskip(NEXT) | instid1(VALU_DEP_1)
	v_bfe_i32 v6, v6, 0, 8
	v_ashrrev_i32_e32 v7, 31, v6
	global_store_b64 v[3:4], v[6:7], off
.LBB15_228:
	s_mov_b32 s8, 0
.LBB15_229:
	s_delay_alu instid0(SALU_CYCLE_1)
	s_and_b32 vcc_lo, exec_lo, s8
	s_cbranch_vccz .LBB15_305
; %bb.230:
	v_cmp_gt_i16_e32 vcc_lo, 27, v5
	s_mov_b32 s5, -1
	s_cbranch_vccnz .LBB15_236
; %bb.231:
	v_cmp_lt_i16_e32 vcc_lo, 27, v5
	s_cbranch_vccz .LBB15_233
; %bb.232:
	s_sext_i32_i8 s5, s2
	s_delay_alu instid0(SALU_CYCLE_1)
	v_mov_b32_e32 v6, s5
	s_mov_b32 s5, 0
	global_store_b32 v[3:4], v6, off
.LBB15_233:
	s_and_not1_b32 vcc_lo, exec_lo, s5
	s_cbranch_vccnz .LBB15_235
; %bb.234:
	s_bfe_i32 s5, s2, 0x80000
	s_delay_alu instid0(SALU_CYCLE_1)
	v_mov_b32_e32 v6, s5
	global_store_b16 v[3:4], v6, off
.LBB15_235:
	s_mov_b32 s5, 0
.LBB15_236:
	s_delay_alu instid0(SALU_CYCLE_1)
	s_and_not1_b32 vcc_lo, exec_lo, s5
	s_cbranch_vccnz .LBB15_304
; %bb.237:
	s_bfe_i32 s5, s2, 0x80000
	v_mov_b32_e32 v7, 0x80
	s_sext_i32_i16 s5, s5
	s_delay_alu instid0(SALU_CYCLE_1) | instskip(NEXT) | instid1(VALU_DEP_1)
	v_cvt_f32_i32_e32 v6, s5
	v_readfirstlane_b32 s5, v6
	s_delay_alu instid0(VALU_DEP_1) | instskip(NEXT) | instid1(SALU_CYCLE_1)
	s_and_b32 s8, s5, 0x7fffffff
	s_cmp_gt_u32 s8, 0x437fffff
	s_cbranch_scc1 .LBB15_303
; %bb.238:
	s_cmp_gt_u32 s8, 0x3bffffff
	s_cbranch_scc0 .LBB15_298
; %bb.239:
	s_bfe_u32 s8, s5, 0x10014
	s_mov_b32 s9, 0
	s_add_i32 s8, s5, s8
	s_delay_alu instid0(SALU_CYCLE_1) | instskip(NEXT) | instid1(SALU_CYCLE_1)
	s_add_i32 s8, s8, 0x487ffff
	s_lshr_b32 s10, s8, 20
	s_mov_b32 s8, -1
	s_branch .LBB15_299
.LBB15_240:
                                        ; implicit-def: $vgpr2
	s_branch .LBB15_246
.LBB15_241:
	v_mov_b32_e32 v3, v10
.LBB15_242:
	s_and_b32 s56, s56, 3
	s_delay_alu instid0(SALU_CYCLE_1)
	s_cmp_eq_u32 s56, 0
	s_cbranch_scc1 .LBB15_245
; %bb.243:
	s_lshl_b32 s20, s54, 2
	s_mul_i32 s22, s54, 12
	s_add_u32 s20, s20, s0
	s_addc_u32 s21, s1, 0
	s_add_u32 s20, s20, 0xc4
	s_addc_u32 s21, s21, 0
	;; [unrolled: 2-line block ×3, first 2 shown]
	.p2align	6
.LBB15_244:                             ; =>This Inner Loop Header: Depth=1
	s_clause 0x1
	s_load_b64 s[58:59], s[22:23], 0x4
	s_load_b32 s54, s[22:23], 0xc
	s_load_b32 s57, s[20:21], 0x0
	s_add_u32 s22, s22, 12
	s_addc_u32 s23, s23, 0
	s_add_u32 s20, s20, 4
	s_addc_u32 s21, s21, 0
	s_add_i32 s56, s56, -1
	s_delay_alu instid0(SALU_CYCLE_1) | instskip(SKIP_2) | instid1(VALU_DEP_1)
	s_cmp_lg_u32 s56, 0
	s_waitcnt lgkmcnt(0)
	v_mul_hi_u32 v5, s59, v3
	v_add_nc_u32_e32 v5, v3, v5
	s_delay_alu instid0(VALU_DEP_1) | instskip(NEXT) | instid1(VALU_DEP_1)
	v_lshrrev_b32_e32 v7, s54, v5
	v_mul_lo_u32 v5, v7, s58
	s_delay_alu instid0(VALU_DEP_1) | instskip(NEXT) | instid1(VALU_DEP_1)
	v_sub_nc_u32_e32 v3, v3, v5
	v_mad_u64_u32 v[5:6], null, v3, s57, v[2:3]
	s_delay_alu instid0(VALU_DEP_1)
	v_dual_mov_b32 v3, v7 :: v_dual_mov_b32 v2, v5
	s_cbranch_scc1 .LBB15_244
.LBB15_245:
	s_cbranch_execnz .LBB15_248
.LBB15_246:
	v_mul_hi_u32 v2, s5, v10
	s_and_not1_b32 vcc_lo, exec_lo, s48
	s_delay_alu instid0(VALU_DEP_1) | instskip(NEXT) | instid1(VALU_DEP_1)
	v_add_nc_u32_e32 v2, v10, v2
	v_lshrrev_b32_e32 v3, s6, v2
	s_delay_alu instid0(VALU_DEP_1) | instskip(NEXT) | instid1(VALU_DEP_1)
	v_mul_lo_u32 v2, v3, s4
	v_sub_nc_u32_e32 v2, v10, v2
	s_delay_alu instid0(VALU_DEP_1)
	v_mul_lo_u32 v2, v2, s14
	s_cbranch_vccnz .LBB15_248
; %bb.247:
	v_mul_hi_u32 v5, s16, v3
	s_delay_alu instid0(VALU_DEP_1) | instskip(NEXT) | instid1(VALU_DEP_1)
	v_add_nc_u32_e32 v5, v3, v5
	v_lshrrev_b32_e32 v5, s17, v5
	s_delay_alu instid0(VALU_DEP_1) | instskip(NEXT) | instid1(VALU_DEP_1)
	v_mul_lo_u32 v5, v5, s7
	v_sub_nc_u32_e32 v3, v3, v5
	s_delay_alu instid0(VALU_DEP_1) | instskip(NEXT) | instid1(VALU_DEP_1)
	v_mad_u64_u32 v[5:6], null, v3, s15, v[2:3]
	v_mov_b32_e32 v2, v5
.LBB15_248:
	v_cmp_gt_i16_e32 vcc_lo, 11, v8
	s_delay_alu instid0(VALU_DEP_2) | instskip(NEXT) | instid1(VALU_DEP_1)
	v_add_co_u32 v6, s20, s12, v2
	v_add_co_ci_u32_e64 v7, null, s13, 0, s20
	s_mov_b32 s21, 0
	s_mov_b32 s22, -1
	s_mov_b32 s20, s52
	s_cbranch_vccnz .LBB15_255
; %bb.249:
	v_cmp_lt_i16_e32 vcc_lo, 25, v8
	s_cbranch_vccz .LBB15_295
; %bb.250:
	v_cmp_lt_i16_e32 vcc_lo, 28, v8
	s_cbranch_vccz .LBB15_296
	;; [unrolled: 3-line block ×4, first 2 shown]
; %bb.253:
	v_cmp_eq_u16_e32 vcc_lo, 46, v8
	s_mov_b32 s22, 0
	s_mov_b32 s20, -1
	s_cbranch_vccz .LBB15_314
; %bb.254:
	s_mov_b32 s21, -1
	s_mov_b32 s20, 0
	global_store_b32 v[6:7], v13, off
	s_branch .LBB15_314
.LBB15_255:
	s_and_b32 vcc_lo, exec_lo, s22
	s_cbranch_vccz .LBB15_359
; %bb.256:
	v_cmp_gt_i16_e32 vcc_lo, 5, v8
	s_mov_b32 s21, -1
	s_cbranch_vccnz .LBB15_277
; %bb.257:
	v_cmp_gt_i16_e32 vcc_lo, 8, v8
	s_cbranch_vccnz .LBB15_267
; %bb.258:
	v_cmp_gt_i16_e32 vcc_lo, 9, v8
	s_cbranch_vccnz .LBB15_264
; %bb.259:
	v_cmp_lt_i16_e32 vcc_lo, 9, v8
	s_cbranch_vccz .LBB15_261
; %bb.260:
	v_mov_b32_e32 v2, 0
	s_mov_b32 s21, 0
	s_delay_alu instid0(VALU_DEP_1)
	v_mov_b32_e32 v3, v2
	global_store_b128 v[6:7], v[0:3], off
.LBB15_261:
	s_and_not1_b32 vcc_lo, exec_lo, s21
	s_cbranch_vccnz .LBB15_263
; %bb.262:
	v_mov_b32_e32 v5, 0
	global_store_b64 v[6:7], v[4:5], off
.LBB15_263:
	s_mov_b32 s21, 0
.LBB15_264:
	s_delay_alu instid0(SALU_CYCLE_1)
	s_and_not1_b32 vcc_lo, exec_lo, s21
	s_cbranch_vccnz .LBB15_266
; %bb.265:
	global_store_b32 v[6:7], v11, off
.LBB15_266:
	s_mov_b32 s21, 0
.LBB15_267:
	s_delay_alu instid0(SALU_CYCLE_1)
	s_and_not1_b32 vcc_lo, exec_lo, s21
	s_cbranch_vccnz .LBB15_276
; %bb.268:
	v_cmp_gt_i16_e32 vcc_lo, 6, v8
	s_mov_b32 s21, -1
	s_cbranch_vccnz .LBB15_274
; %bb.269:
	v_cmp_lt_i16_e32 vcc_lo, 6, v8
	s_cbranch_vccz .LBB15_271
; %bb.270:
	s_mov_b32 s21, 0
	global_store_b64 v[6:7], v[0:1], off
.LBB15_271:
	s_and_not1_b32 vcc_lo, exec_lo, s21
	s_cbranch_vccnz .LBB15_273
; %bb.272:
	global_store_b32 v[6:7], v4, off
.LBB15_273:
	s_mov_b32 s21, 0
.LBB15_274:
	s_delay_alu instid0(SALU_CYCLE_1)
	s_and_not1_b32 vcc_lo, exec_lo, s21
	s_cbranch_vccnz .LBB15_276
; %bb.275:
	global_store_b16 v[6:7], v9, off
.LBB15_276:
	s_mov_b32 s21, 0
.LBB15_277:
	s_delay_alu instid0(SALU_CYCLE_1)
	s_and_not1_b32 vcc_lo, exec_lo, s21
	s_cbranch_vccnz .LBB15_293
; %bb.278:
	v_cmp_gt_i16_e32 vcc_lo, 2, v8
	s_mov_b32 s21, -1
	s_cbranch_vccnz .LBB15_288
; %bb.279:
	v_cmp_gt_i16_e32 vcc_lo, 3, v8
	s_cbranch_vccnz .LBB15_285
; %bb.280:
	v_cmp_lt_i16_e32 vcc_lo, 3, v8
	s_cbranch_vccz .LBB15_282
; %bb.281:
	v_dual_mov_b32 v2, s10 :: v_dual_mov_b32 v3, s11
	s_mov_b32 s21, 0
	global_store_b64 v[6:7], v[2:3], off
.LBB15_282:
	s_and_not1_b32 vcc_lo, exec_lo, s21
	s_cbranch_vccnz .LBB15_284
; %bb.283:
	v_mov_b32_e32 v2, s28
	global_store_b32 v[6:7], v2, off
.LBB15_284:
	s_mov_b32 s21, 0
.LBB15_285:
	s_delay_alu instid0(SALU_CYCLE_1)
	s_and_not1_b32 vcc_lo, exec_lo, s21
	s_cbranch_vccnz .LBB15_287
; %bb.286:
	v_mov_b32_e32 v2, s27
	global_store_b16 v[6:7], v2, off
.LBB15_287:
	s_mov_b32 s21, 0
.LBB15_288:
	s_delay_alu instid0(SALU_CYCLE_1)
	s_and_not1_b32 vcc_lo, exec_lo, s21
	s_cbranch_vccnz .LBB15_293
; %bb.289:
	v_cmp_lt_i16_e32 vcc_lo, 0, v8
	s_mov_b32 s21, -1
	s_cbranch_vccz .LBB15_291
; %bb.290:
	v_mov_b32_e32 v2, s8
	s_mov_b32 s21, 0
	global_store_b8 v[6:7], v2, off
.LBB15_291:
	s_and_not1_b32 vcc_lo, exec_lo, s21
	s_cbranch_vccnz .LBB15_293
; %bb.292:
	v_mov_b32_e32 v2, s8
	global_store_b8 v[6:7], v2, off
.LBB15_293:
	s_branch .LBB15_360
.LBB15_294:
	s_mov_b32 s21, 0
                                        ; implicit-def: $vgpr10
	s_branch .LBB15_361
.LBB15_295:
	s_mov_b32 s20, s52
	s_branch .LBB15_336
.LBB15_296:
	s_mov_b32 s20, s52
	s_branch .LBB15_322
.LBB15_297:
	s_mov_b32 s20, s52
	s_branch .LBB15_318
.LBB15_298:
	s_mov_b32 s9, -1
	s_mov_b32 s8, 0
                                        ; implicit-def: $sgpr10
.LBB15_299:
	v_mov_b32_e32 v6, s10
	s_and_not1_b32 vcc_lo, exec_lo, s9
                                        ; implicit-def: $sgpr9
	s_cbranch_vccnz .LBB15_301
; %bb.300:
	v_add_f32_e64 v6, 0x46000000, |s5|
	s_mov_b32 s9, 0
	s_delay_alu instid0(VALU_DEP_1) | instskip(NEXT) | instid1(VALU_DEP_1)
	v_and_b32_e32 v6, 0xff, v6
	v_cmp_ne_u32_e64 s8, 0, v6
.LBB15_301:
	v_mov_b32_e32 v7, s9
	s_delay_alu instid0(VALU_DEP_2)
	s_and_not1_b32 vcc_lo, exec_lo, s8
	s_cbranch_vccnz .LBB15_303
; %bb.302:
	s_lshr_b32 s5, s5, 24
	s_delay_alu instid0(SALU_CYCLE_1) | instskip(NEXT) | instid1(SALU_CYCLE_1)
	s_and_b32 s5, s5, 0x80
	v_or_b32_e32 v7, s5, v6
.LBB15_303:
	global_store_b8 v[3:4], v7, off
.LBB15_304:
	s_mov_b32 s5, -1
.LBB15_305:
	s_mov_b32 s8, 0
.LBB15_306:
	s_delay_alu instid0(SALU_CYCLE_1)
	s_and_b32 vcc_lo, exec_lo, s8
	s_cbranch_vccz .LBB15_467
; %bb.307:
	v_cmp_lt_i16_e32 vcc_lo, 22, v5
	s_mov_b32 s4, -1
	s_cbranch_vccz .LBB15_460
; %bb.308:
	v_cmp_gt_i16_e32 vcc_lo, 24, v5
	s_cbranch_vccnz .LBB15_447
; %bb.309:
	v_cmp_lt_i16_e32 vcc_lo, 24, v5
	s_cbranch_vccz .LBB15_434
; %bb.310:
	s_bfe_i32 s4, s2, 0x80000
	v_mov_b32_e32 v7, 0x80
	s_sext_i32_i16 s4, s4
	s_delay_alu instid0(SALU_CYCLE_1) | instskip(NEXT) | instid1(VALU_DEP_1)
	v_cvt_f32_i32_e32 v6, s4
	v_readfirstlane_b32 s4, v6
	s_delay_alu instid0(VALU_DEP_1) | instskip(NEXT) | instid1(SALU_CYCLE_1)
	s_and_b32 s5, s4, 0x7fffffff
	s_cmp_gt_u32 s5, 0x477fffff
	s_cbranch_scc1 .LBB15_433
; %bb.311:
	s_cmp_gt_u32 s5, 0x37ffffff
	s_cbranch_scc0 .LBB15_428
; %bb.312:
	s_bfe_u32 s5, s4, 0x10015
	s_mov_b32 s8, 0
	s_add_i32 s5, s4, s5
	s_delay_alu instid0(SALU_CYCLE_1) | instskip(NEXT) | instid1(SALU_CYCLE_1)
	s_add_i32 s5, s5, 0x88fffff
	s_lshr_b32 s9, s5, 21
	s_mov_b32 s5, -1
	s_branch .LBB15_429
.LBB15_313:
	s_mov_b32 s20, s52
.LBB15_314:
	s_and_b32 vcc_lo, exec_lo, s22
	s_cbranch_vccz .LBB15_317
; %bb.315:
	v_cmp_eq_u16_e32 vcc_lo, 44, v8
	s_mov_b32 s20, -1
	s_cbranch_vccz .LBB15_317
; %bb.316:
	v_cndmask_b32_e64 v2, v17, 0xff, s2
	s_mov_b32 s21, -1
	s_mov_b32 s20, 0
	global_store_b8 v[6:7], v2, off
.LBB15_317:
	s_mov_b32 s22, 0
.LBB15_318:
	s_delay_alu instid0(SALU_CYCLE_1)
	s_and_b32 vcc_lo, exec_lo, s22
	s_cbranch_vccz .LBB15_321
; %bb.319:
	v_cmp_eq_u16_e32 vcc_lo, 29, v8
	s_mov_b32 s20, -1
	s_cbranch_vccz .LBB15_321
; %bb.320:
	v_dual_mov_b32 v2, s10 :: v_dual_mov_b32 v3, s11
	s_mov_b32 s21, -1
	s_mov_b32 s20, 0
	s_mov_b32 s22, 0
	global_store_b64 v[6:7], v[2:3], off
	s_branch .LBB15_322
.LBB15_321:
	s_mov_b32 s22, 0
.LBB15_322:
	s_delay_alu instid0(SALU_CYCLE_1)
	s_and_b32 vcc_lo, exec_lo, s22
	s_cbranch_vccz .LBB15_335
; %bb.323:
	v_cmp_gt_i16_e32 vcc_lo, 27, v8
	s_mov_b32 s21, -1
	s_cbranch_vccnz .LBB15_329
; %bb.324:
	v_cmp_lt_i16_e32 vcc_lo, 27, v8
	s_cbranch_vccz .LBB15_326
; %bb.325:
	v_mov_b32_e32 v2, s28
	s_mov_b32 s21, 0
	global_store_b32 v[6:7], v2, off
.LBB15_326:
	s_and_not1_b32 vcc_lo, exec_lo, s21
	s_cbranch_vccnz .LBB15_328
; %bb.327:
	v_mov_b32_e32 v2, s27
	global_store_b16 v[6:7], v2, off
.LBB15_328:
	s_mov_b32 s21, 0
.LBB15_329:
	s_delay_alu instid0(SALU_CYCLE_1)
	s_and_not1_b32 vcc_lo, exec_lo, s21
	s_cbranch_vccnz .LBB15_334
; %bb.330:
	v_mov_b32_e32 v2, 0x80
	s_and_not1_b32 vcc_lo, exec_lo, s46
	s_cbranch_vccnz .LBB15_333
; %bb.331:
	v_mov_b32_e32 v2, 0
	s_or_b32 s21, s44, s47
	s_delay_alu instid0(SALU_CYCLE_1)
	s_and_not1_b32 vcc_lo, exec_lo, s21
	s_cbranch_vccnz .LBB15_333
; %bb.332:
	v_cndmask_b32_e64 v2, v16, s45, s44
	s_delay_alu instid0(VALU_DEP_1)
	v_or_b32_e32 v2, v2, v14
.LBB15_333:
	global_store_b8 v[6:7], v2, off
.LBB15_334:
	s_mov_b32 s21, -1
.LBB15_335:
	s_mov_b32 s22, 0
.LBB15_336:
	s_delay_alu instid0(SALU_CYCLE_1)
	s_and_b32 vcc_lo, exec_lo, s22
	s_cbranch_vccz .LBB15_358
; %bb.337:
	v_cmp_lt_i16_e32 vcc_lo, 22, v8
	s_mov_b32 s22, -1
	s_cbranch_vccz .LBB15_350
; %bb.338:
	v_cmp_gt_i16_e32 vcc_lo, 24, v8
	s_mov_b32 s21, -1
	s_cbranch_vccnz .LBB15_347
; %bb.339:
	v_cmp_lt_i16_e32 vcc_lo, 24, v8
	s_cbranch_vccz .LBB15_344
; %bb.340:
	v_mov_b32_e32 v2, 0x80
	s_and_not1_b32 vcc_lo, exec_lo, s42
	s_cbranch_vccnz .LBB15_343
; %bb.341:
	v_mov_b32_e32 v2, 0
	s_or_b32 s21, s38, s43
	s_delay_alu instid0(SALU_CYCLE_1)
	s_and_not1_b32 vcc_lo, exec_lo, s21
	s_cbranch_vccnz .LBB15_343
; %bb.342:
	v_cndmask_b32_e64 v2, v15, s40, s38
	s_delay_alu instid0(VALU_DEP_1)
	v_or_b32_e32 v2, v2, v14
.LBB15_343:
	s_mov_b32 s21, 0
	global_store_b8 v[6:7], v2, off
.LBB15_344:
	s_and_b32 vcc_lo, exec_lo, s21
	s_cbranch_vccz .LBB15_346
; %bb.345:
	s_and_b32 s21, s37, exec_lo
	s_cselect_b32 s21, s34, s39
	s_and_b32 s22, s35, exec_lo
	s_cselect_b32 s21, s41, s21
	s_delay_alu instid0(SALU_CYCLE_1)
	v_or_b32_e32 v2, s21, v14
	global_store_b8 v[6:7], v2, off
.LBB15_346:
	s_mov_b32 s21, 0
.LBB15_347:
	s_delay_alu instid0(SALU_CYCLE_1)
	s_and_not1_b32 vcc_lo, exec_lo, s21
	s_cbranch_vccnz .LBB15_349
; %bb.348:
	s_and_b32 s21, s31, exec_lo
	s_cselect_b32 s21, s30, s33
	s_and_b32 s22, s29, exec_lo
	s_cselect_b32 s21, s36, s21
	s_delay_alu instid0(SALU_CYCLE_1)
	v_or_b32_e32 v2, s21, v14
	global_store_b8 v[6:7], v2, off
.LBB15_349:
	s_mov_b32 s22, 0
	s_mov_b32 s21, -1
.LBB15_350:
	s_and_not1_b32 vcc_lo, exec_lo, s22
	s_cbranch_vccnz .LBB15_358
; %bb.351:
	v_cmp_lt_i16_e32 vcc_lo, 14, v8
	s_mov_b32 s22, -1
	s_cbranch_vccz .LBB15_355
; %bb.352:
	v_cmp_eq_u16_e32 vcc_lo, 15, v8
	s_mov_b32 s20, -1
	s_cbranch_vccz .LBB15_354
; %bb.353:
	s_mov_b32 s21, -1
	s_mov_b32 s20, 0
	global_store_b16 v[6:7], v13, off
.LBB15_354:
	s_mov_b32 s22, 0
.LBB15_355:
	s_delay_alu instid0(SALU_CYCLE_1)
	s_and_b32 vcc_lo, exec_lo, s22
	s_cbranch_vccz .LBB15_358
; %bb.356:
	v_cmp_eq_u16_e32 vcc_lo, 11, v8
	s_mov_b32 s20, -1
	s_cbranch_vccz .LBB15_358
; %bb.357:
	s_mov_b32 s21, -1
	s_mov_b32 s20, 0
	global_store_b8 v[6:7], v12, off
.LBB15_358:
.LBB15_359:
	s_and_not1_b32 vcc_lo, exec_lo, s21
	s_cbranch_vccnz .LBB15_294
.LBB15_360:
	v_add_nc_u32_e32 v10, 0x80, v10
	s_mov_b32 s21, -1
.LBB15_361:
	s_and_not1_b32 s22, s52, exec_lo
	s_and_b32 s20, s20, exec_lo
	s_delay_alu instid0(SALU_CYCLE_1)
	s_or_b32 s54, s22, s20
	s_or_not1_b32 s22, s21, exec_lo
.LBB15_362:
	s_or_b32 exec_lo, exec_lo, s55
	s_mov_b32 s20, 0
	s_mov_b32 s21, 0
                                        ; implicit-def: $vgpr6_vgpr7
	s_and_saveexec_b32 s55, s22
	s_cbranch_execz .LBB15_676
; %bb.363:
	s_mov_b32 s57, -1
	s_mov_b32 s22, s54
	s_mov_b32 s56, exec_lo
	v_cmpx_gt_i32_e64 s49, v10
	s_cbranch_execz .LBB15_607
; %bb.364:
	s_and_not1_b32 vcc_lo, exec_lo, s25
	s_cbranch_vccnz .LBB15_369
; %bb.365:
	v_mov_b32_e32 v2, 0
	s_and_not1_b32 vcc_lo, exec_lo, s51
	s_cbranch_vccnz .LBB15_374
; %bb.366:
	s_add_i32 s58, s50, 1
	s_cmp_eq_u32 s24, 2
	s_mov_b32 s57, 0
	s_cbranch_scc1 .LBB15_370
; %bb.367:
	v_dual_mov_b32 v2, 0 :: v_dual_mov_b32 v3, v10
	s_and_b32 s57, s58, 28
	s_mov_b32 s59, 0
	s_mov_b64 s[20:21], s[0:1]
	s_mov_b64 s[22:23], s[18:19]
.LBB15_368:                             ; =>This Inner Loop Header: Depth=1
	s_clause 0x1
	s_load_b256 s[60:67], s[20:21], 0x4
	s_load_b128 s[68:71], s[20:21], 0x24
	s_load_b128 s[72:75], s[22:23], 0x0
	s_add_u32 s20, s20, 48
	s_addc_u32 s21, s21, 0
	s_add_i32 s59, s59, 4
	s_add_u32 s22, s22, 16
	s_addc_u32 s23, s23, 0
	s_cmp_eq_u32 s57, s59
	s_waitcnt lgkmcnt(0)
	v_mul_hi_u32 v5, s61, v3
	s_delay_alu instid0(VALU_DEP_1) | instskip(NEXT) | instid1(VALU_DEP_1)
	v_add_nc_u32_e32 v5, v3, v5
	v_lshrrev_b32_e32 v5, s62, v5
	s_delay_alu instid0(VALU_DEP_1) | instskip(SKIP_1) | instid1(VALU_DEP_2)
	v_mul_hi_u32 v6, s64, v5
	v_mul_lo_u32 v19, v5, s60
	v_add_nc_u32_e32 v6, v5, v6
	s_delay_alu instid0(VALU_DEP_2) | instskip(NEXT) | instid1(VALU_DEP_2)
	v_sub_nc_u32_e32 v19, v3, v19
	v_lshrrev_b32_e32 v6, s65, v6
	s_delay_alu instid0(VALU_DEP_2) | instskip(NEXT) | instid1(VALU_DEP_2)
	v_mul_lo_u32 v19, v19, s72
	v_mul_hi_u32 v7, s67, v6
	v_mul_lo_u32 v20, v6, s63
	s_delay_alu instid0(VALU_DEP_2) | instskip(NEXT) | instid1(VALU_DEP_2)
	v_add_nc_u32_e32 v7, v6, v7
	v_sub_nc_u32_e32 v5, v5, v20
	s_delay_alu instid0(VALU_DEP_2) | instskip(NEXT) | instid1(VALU_DEP_2)
	v_lshrrev_b32_e32 v7, s68, v7
	v_mul_lo_u32 v5, v5, s73
	s_delay_alu instid0(VALU_DEP_2) | instskip(NEXT) | instid1(VALU_DEP_2)
	v_mul_hi_u32 v18, s70, v7
	v_add3_u32 v2, v19, v2, v5
	s_delay_alu instid0(VALU_DEP_2) | instskip(NEXT) | instid1(VALU_DEP_1)
	v_add_nc_u32_e32 v18, v7, v18
	v_lshrrev_b32_e32 v3, s71, v18
	v_mul_lo_u32 v18, v7, s66
	s_delay_alu instid0(VALU_DEP_2) | instskip(NEXT) | instid1(VALU_DEP_2)
	v_mul_lo_u32 v21, v3, s69
	v_sub_nc_u32_e32 v6, v6, v18
	s_delay_alu instid0(VALU_DEP_2) | instskip(NEXT) | instid1(VALU_DEP_2)
	v_sub_nc_u32_e32 v7, v7, v21
	v_mul_lo_u32 v6, v6, s74
	s_delay_alu instid0(VALU_DEP_2) | instskip(NEXT) | instid1(VALU_DEP_1)
	v_mul_lo_u32 v7, v7, s75
	v_add3_u32 v2, v6, v2, v7
	s_cbranch_scc0 .LBB15_368
	s_branch .LBB15_371
.LBB15_369:
	s_mov_b32 s20, -1
                                        ; implicit-def: $vgpr2
	s_branch .LBB15_375
.LBB15_370:
	v_mov_b32_e32 v3, v10
.LBB15_371:
	s_and_b32 s58, s58, 3
	s_delay_alu instid0(SALU_CYCLE_1)
	s_cmp_eq_u32 s58, 0
	s_cbranch_scc1 .LBB15_374
; %bb.372:
	s_lshl_b32 s20, s57, 2
	s_mul_i32 s22, s57, 12
	s_add_u32 s20, s20, s0
	s_addc_u32 s21, s1, 0
	s_add_u32 s20, s20, 0xc4
	s_addc_u32 s21, s21, 0
	;; [unrolled: 2-line block ×3, first 2 shown]
	.p2align	6
.LBB15_373:                             ; =>This Inner Loop Header: Depth=1
	s_clause 0x1
	s_load_b64 s[60:61], s[22:23], 0x4
	s_load_b32 s57, s[22:23], 0xc
	s_load_b32 s59, s[20:21], 0x0
	s_add_u32 s22, s22, 12
	s_addc_u32 s23, s23, 0
	s_add_u32 s20, s20, 4
	s_addc_u32 s21, s21, 0
	s_add_i32 s58, s58, -1
	s_delay_alu instid0(SALU_CYCLE_1) | instskip(SKIP_2) | instid1(VALU_DEP_1)
	s_cmp_lg_u32 s58, 0
	s_waitcnt lgkmcnt(0)
	v_mul_hi_u32 v5, s61, v3
	v_add_nc_u32_e32 v5, v3, v5
	s_delay_alu instid0(VALU_DEP_1) | instskip(NEXT) | instid1(VALU_DEP_1)
	v_lshrrev_b32_e32 v7, s57, v5
	v_mul_lo_u32 v5, v7, s60
	s_delay_alu instid0(VALU_DEP_1) | instskip(NEXT) | instid1(VALU_DEP_1)
	v_sub_nc_u32_e32 v3, v3, v5
	v_mad_u64_u32 v[5:6], null, v3, s59, v[2:3]
	s_delay_alu instid0(VALU_DEP_1)
	v_dual_mov_b32 v3, v7 :: v_dual_mov_b32 v2, v5
	s_cbranch_scc1 .LBB15_373
.LBB15_374:
	s_mov_b32 s20, 0
.LBB15_375:
	s_delay_alu instid0(SALU_CYCLE_1)
	s_and_not1_b32 vcc_lo, exec_lo, s20
	s_cbranch_vccnz .LBB15_378
; %bb.376:
	v_mul_hi_u32 v2, s5, v10
	s_and_not1_b32 vcc_lo, exec_lo, s48
	s_delay_alu instid0(VALU_DEP_1) | instskip(NEXT) | instid1(VALU_DEP_1)
	v_add_nc_u32_e32 v2, v10, v2
	v_lshrrev_b32_e32 v3, s6, v2
	s_delay_alu instid0(VALU_DEP_1) | instskip(NEXT) | instid1(VALU_DEP_1)
	v_mul_lo_u32 v2, v3, s4
	v_sub_nc_u32_e32 v2, v10, v2
	s_delay_alu instid0(VALU_DEP_1)
	v_mul_lo_u32 v2, v2, s14
	s_cbranch_vccnz .LBB15_378
; %bb.377:
	v_mul_hi_u32 v5, s16, v3
	s_delay_alu instid0(VALU_DEP_1) | instskip(NEXT) | instid1(VALU_DEP_1)
	v_add_nc_u32_e32 v5, v3, v5
	v_lshrrev_b32_e32 v5, s17, v5
	s_delay_alu instid0(VALU_DEP_1) | instskip(NEXT) | instid1(VALU_DEP_1)
	v_mul_lo_u32 v5, v5, s7
	v_sub_nc_u32_e32 v3, v3, v5
	s_delay_alu instid0(VALU_DEP_1) | instskip(NEXT) | instid1(VALU_DEP_1)
	v_mad_u64_u32 v[5:6], null, v3, s15, v[2:3]
	v_mov_b32_e32 v2, v5
.LBB15_378:
	v_cmp_gt_i16_e32 vcc_lo, 11, v8
	s_delay_alu instid0(VALU_DEP_2) | instskip(NEXT) | instid1(VALU_DEP_1)
	v_add_co_u32 v6, s20, s12, v2
	v_add_co_ci_u32_e64 v7, null, s13, 0, s20
	s_mov_b32 s21, 0
	s_mov_b32 s22, -1
	s_mov_b32 s20, s54
	s_cbranch_vccnz .LBB15_385
; %bb.379:
	v_cmp_lt_i16_e32 vcc_lo, 25, v8
	s_cbranch_vccz .LBB15_425
; %bb.380:
	v_cmp_lt_i16_e32 vcc_lo, 28, v8
	s_cbranch_vccz .LBB15_426
	;; [unrolled: 3-line block ×4, first 2 shown]
; %bb.383:
	v_cmp_eq_u16_e32 vcc_lo, 46, v8
	s_mov_b32 s22, 0
	s_mov_b32 s20, -1
	s_cbranch_vccz .LBB15_559
; %bb.384:
	s_mov_b32 s21, -1
	s_mov_b32 s20, 0
	global_store_b32 v[6:7], v13, off
	s_branch .LBB15_559
.LBB15_385:
	s_and_b32 vcc_lo, exec_lo, s22
	s_cbranch_vccz .LBB15_604
; %bb.386:
	v_cmp_gt_i16_e32 vcc_lo, 5, v8
	s_mov_b32 s21, -1
	s_cbranch_vccnz .LBB15_407
; %bb.387:
	v_cmp_gt_i16_e32 vcc_lo, 8, v8
	s_cbranch_vccnz .LBB15_397
; %bb.388:
	v_cmp_gt_i16_e32 vcc_lo, 9, v8
	s_cbranch_vccnz .LBB15_394
; %bb.389:
	v_cmp_lt_i16_e32 vcc_lo, 9, v8
	s_cbranch_vccz .LBB15_391
; %bb.390:
	v_mov_b32_e32 v2, 0
	s_mov_b32 s21, 0
	s_delay_alu instid0(VALU_DEP_1)
	v_mov_b32_e32 v3, v2
	global_store_b128 v[6:7], v[0:3], off
.LBB15_391:
	s_and_not1_b32 vcc_lo, exec_lo, s21
	s_cbranch_vccnz .LBB15_393
; %bb.392:
	v_mov_b32_e32 v5, 0
	global_store_b64 v[6:7], v[4:5], off
.LBB15_393:
	s_mov_b32 s21, 0
.LBB15_394:
	s_delay_alu instid0(SALU_CYCLE_1)
	s_and_not1_b32 vcc_lo, exec_lo, s21
	s_cbranch_vccnz .LBB15_396
; %bb.395:
	global_store_b32 v[6:7], v11, off
.LBB15_396:
	s_mov_b32 s21, 0
.LBB15_397:
	s_delay_alu instid0(SALU_CYCLE_1)
	s_and_not1_b32 vcc_lo, exec_lo, s21
	s_cbranch_vccnz .LBB15_406
; %bb.398:
	v_cmp_gt_i16_e32 vcc_lo, 6, v8
	s_mov_b32 s21, -1
	s_cbranch_vccnz .LBB15_404
; %bb.399:
	v_cmp_lt_i16_e32 vcc_lo, 6, v8
	s_cbranch_vccz .LBB15_401
; %bb.400:
	s_mov_b32 s21, 0
	global_store_b64 v[6:7], v[0:1], off
.LBB15_401:
	s_and_not1_b32 vcc_lo, exec_lo, s21
	s_cbranch_vccnz .LBB15_403
; %bb.402:
	global_store_b32 v[6:7], v4, off
.LBB15_403:
	s_mov_b32 s21, 0
.LBB15_404:
	s_delay_alu instid0(SALU_CYCLE_1)
	s_and_not1_b32 vcc_lo, exec_lo, s21
	s_cbranch_vccnz .LBB15_406
; %bb.405:
	global_store_b16 v[6:7], v9, off
.LBB15_406:
	s_mov_b32 s21, 0
.LBB15_407:
	s_delay_alu instid0(SALU_CYCLE_1)
	s_and_not1_b32 vcc_lo, exec_lo, s21
	s_cbranch_vccnz .LBB15_423
; %bb.408:
	v_cmp_gt_i16_e32 vcc_lo, 2, v8
	s_mov_b32 s21, -1
	s_cbranch_vccnz .LBB15_418
; %bb.409:
	v_cmp_gt_i16_e32 vcc_lo, 3, v8
	s_cbranch_vccnz .LBB15_415
; %bb.410:
	v_cmp_lt_i16_e32 vcc_lo, 3, v8
	s_cbranch_vccz .LBB15_412
; %bb.411:
	v_dual_mov_b32 v2, s10 :: v_dual_mov_b32 v3, s11
	s_mov_b32 s21, 0
	global_store_b64 v[6:7], v[2:3], off
.LBB15_412:
	s_and_not1_b32 vcc_lo, exec_lo, s21
	s_cbranch_vccnz .LBB15_414
; %bb.413:
	v_mov_b32_e32 v2, s28
	global_store_b32 v[6:7], v2, off
.LBB15_414:
	s_mov_b32 s21, 0
.LBB15_415:
	s_delay_alu instid0(SALU_CYCLE_1)
	s_and_not1_b32 vcc_lo, exec_lo, s21
	s_cbranch_vccnz .LBB15_417
; %bb.416:
	v_mov_b32_e32 v2, s27
	global_store_b16 v[6:7], v2, off
.LBB15_417:
	s_mov_b32 s21, 0
.LBB15_418:
	s_delay_alu instid0(SALU_CYCLE_1)
	s_and_not1_b32 vcc_lo, exec_lo, s21
	s_cbranch_vccnz .LBB15_423
; %bb.419:
	v_cmp_lt_i16_e32 vcc_lo, 0, v8
	s_mov_b32 s21, -1
	s_cbranch_vccz .LBB15_421
; %bb.420:
	v_mov_b32_e32 v2, s8
	s_mov_b32 s21, 0
	global_store_b8 v[6:7], v2, off
.LBB15_421:
	s_and_not1_b32 vcc_lo, exec_lo, s21
	s_cbranch_vccnz .LBB15_423
; %bb.422:
	v_mov_b32_e32 v2, s8
	global_store_b8 v[6:7], v2, off
.LBB15_423:
	s_branch .LBB15_605
.LBB15_424:
	s_mov_b32 s21, 0
                                        ; implicit-def: $vgpr10
	s_branch .LBB15_606
.LBB15_425:
	s_mov_b32 s20, s54
	s_branch .LBB15_581
.LBB15_426:
	s_mov_b32 s20, s54
	s_branch .LBB15_567
.LBB15_427:
	s_mov_b32 s20, s54
	s_branch .LBB15_563
.LBB15_428:
	s_mov_b32 s8, -1
	s_mov_b32 s5, 0
                                        ; implicit-def: $sgpr9
.LBB15_429:
	v_mov_b32_e32 v6, s9
	s_and_not1_b32 vcc_lo, exec_lo, s8
                                        ; implicit-def: $sgpr8
	s_cbranch_vccnz .LBB15_431
; %bb.430:
	v_add_f32_e64 v6, 0x42800000, |s4|
	s_mov_b32 s8, 0
	s_delay_alu instid0(VALU_DEP_1) | instskip(NEXT) | instid1(VALU_DEP_1)
	v_and_b32_e32 v6, 0xff, v6
	v_cmp_ne_u32_e64 s5, 0, v6
.LBB15_431:
	v_mov_b32_e32 v7, s8
	s_delay_alu instid0(VALU_DEP_2)
	s_and_not1_b32 vcc_lo, exec_lo, s5
	s_cbranch_vccnz .LBB15_433
; %bb.432:
	s_lshr_b32 s4, s4, 24
	s_delay_alu instid0(SALU_CYCLE_1) | instskip(NEXT) | instid1(SALU_CYCLE_1)
	s_and_b32 s4, s4, 0x80
	v_or_b32_e32 v7, s4, v6
.LBB15_433:
	s_mov_b32 s4, 0
	global_store_b8 v[3:4], v7, off
.LBB15_434:
	s_and_b32 vcc_lo, exec_lo, s4
	s_cbranch_vccz .LBB15_446
; %bb.435:
	s_bfe_i32 s4, s2, 0x80000
	s_delay_alu instid0(SALU_CYCLE_1) | instskip(NEXT) | instid1(SALU_CYCLE_1)
	s_sext_i32_i16 s4, s4
	v_cvt_f32_i32_e32 v6, s4
	s_delay_alu instid0(VALU_DEP_1) | instskip(NEXT) | instid1(VALU_DEP_1)
	v_readfirstlane_b32 s4, v6
	s_and_b32 s5, s4, 0x7fffffff
	s_delay_alu instid0(SALU_CYCLE_1)
	s_cmp_lt_u32 s5, 0x43f00000
	s_cbranch_scc0 .LBB15_438
; %bb.436:
	s_cmp_gt_u32 s5, 0x3c7fffff
	s_cbranch_scc0 .LBB15_439
; %bb.437:
	s_bfe_u32 s8, s4, 0x10014
	s_delay_alu instid0(SALU_CYCLE_1) | instskip(NEXT) | instid1(SALU_CYCLE_1)
	s_add_i32 s8, s4, s8
	s_add_i32 s8, s8, 0x407ffff
	s_delay_alu instid0(SALU_CYCLE_1)
	s_and_b32 s9, s8, 0xff00000
	s_lshr_b32 s8, s8, 20
	s_cmp_lg_u32 s9, 0x7f00000
	s_cselect_b32 s9, s8, 0x7e
	s_mov_b32 s8, 0
	s_branch .LBB15_440
.LBB15_438:
	s_mov_b32 s8, -1
                                        ; implicit-def: $vgpr7
	s_branch .LBB15_443
.LBB15_439:
	s_mov_b32 s8, -1
                                        ; implicit-def: $sgpr9
.LBB15_440:
	v_mov_b32_e32 v7, s9
	s_and_not1_b32 vcc_lo, exec_lo, s8
	s_cbranch_vccnz .LBB15_442
; %bb.441:
	v_add_f32_e64 v7, 0x46800000, |v6|
.LBB15_442:
	s_mov_b32 s8, 0
.LBB15_443:
	s_delay_alu instid0(SALU_CYCLE_1)
	s_and_not1_b32 vcc_lo, exec_lo, s8
	s_cbranch_vccnz .LBB15_445
; %bb.444:
	s_cmp_gt_u32 s5, 0x7f800000
	s_movk_i32 s5, 0x7f
	s_delay_alu instid0(SALU_CYCLE_1) | instskip(NEXT) | instid1(SALU_CYCLE_1)
	s_cselect_b32 s5, s5, 0x7e
	v_mov_b32_e32 v7, s5
.LBB15_445:
	s_lshr_b32 s4, s4, 24
	s_delay_alu instid0(SALU_CYCLE_1)
	s_and_b32 s4, s4, 0x80
	s_delay_alu instid0(VALU_DEP_1) | instid1(SALU_CYCLE_1)
	v_or_b32_e32 v6, s4, v7
	global_store_b8 v[3:4], v6, off
.LBB15_446:
	s_mov_b32 s4, 0
.LBB15_447:
	s_delay_alu instid0(SALU_CYCLE_1)
	s_and_not1_b32 vcc_lo, exec_lo, s4
	s_cbranch_vccnz .LBB15_459
; %bb.448:
	s_bfe_i32 s4, s2, 0x80000
	s_delay_alu instid0(SALU_CYCLE_1) | instskip(NEXT) | instid1(SALU_CYCLE_1)
	s_sext_i32_i16 s4, s4
	v_cvt_f32_i32_e32 v6, s4
	s_delay_alu instid0(VALU_DEP_1) | instskip(NEXT) | instid1(VALU_DEP_1)
	v_readfirstlane_b32 s4, v6
	s_and_b32 s5, s4, 0x7fffffff
	s_delay_alu instid0(SALU_CYCLE_1)
	s_cmp_lt_u32 s5, 0x47800000
	s_cbranch_scc0 .LBB15_451
; %bb.449:
	s_cmp_gt_u32 s5, 0x387fffff
	s_cbranch_scc0 .LBB15_452
; %bb.450:
	s_bfe_u32 s8, s4, 0x10015
	s_delay_alu instid0(SALU_CYCLE_1) | instskip(NEXT) | instid1(SALU_CYCLE_1)
	s_add_i32 s8, s4, s8
	s_add_i32 s8, s8, 0x80fffff
	s_delay_alu instid0(SALU_CYCLE_1)
	s_lshr_b32 s9, s8, 21
	s_mov_b32 s8, 0
	s_branch .LBB15_453
.LBB15_451:
	s_mov_b32 s8, -1
                                        ; implicit-def: $vgpr7
	s_branch .LBB15_456
.LBB15_452:
	s_mov_b32 s8, -1
                                        ; implicit-def: $sgpr9
.LBB15_453:
	v_mov_b32_e32 v7, s9
	s_and_not1_b32 vcc_lo, exec_lo, s8
	s_cbranch_vccnz .LBB15_455
; %bb.454:
	v_add_f32_e64 v7, 0x43000000, |v6|
.LBB15_455:
	s_mov_b32 s8, 0
.LBB15_456:
	s_delay_alu instid0(SALU_CYCLE_1)
	s_and_not1_b32 vcc_lo, exec_lo, s8
	s_cbranch_vccnz .LBB15_458
; %bb.457:
	s_cmp_gt_u32 s5, 0x7f800000
	s_movk_i32 s5, 0x7f
	s_delay_alu instid0(SALU_CYCLE_1) | instskip(NEXT) | instid1(SALU_CYCLE_1)
	s_cselect_b32 s5, s5, 0x7c
	v_mov_b32_e32 v7, s5
.LBB15_458:
	s_lshr_b32 s4, s4, 24
	s_delay_alu instid0(SALU_CYCLE_1)
	s_and_b32 s4, s4, 0x80
	s_delay_alu instid0(VALU_DEP_1) | instid1(SALU_CYCLE_1)
	v_or_b32_e32 v6, s4, v7
	global_store_b8 v[3:4], v6, off
.LBB15_459:
	s_mov_b32 s4, 0
	s_mov_b32 s5, -1
.LBB15_460:
	s_and_not1_b32 vcc_lo, exec_lo, s4
	s_mov_b32 s4, 0
	s_cbranch_vccnz .LBB15_467
; %bb.461:
	v_cmp_lt_i16_e32 vcc_lo, 14, v5
	s_mov_b32 s4, -1
	s_cbranch_vccz .LBB15_465
; %bb.462:
	v_cmp_eq_u16_e32 vcc_lo, 15, v5
	s_mov_b32 s3, -1
	s_cbranch_vccz .LBB15_464
; %bb.463:
	s_bfe_i32 s3, s2, 0x80000
	s_mov_b32 s5, -1
	s_sext_i32_i16 s3, s3
	s_delay_alu instid0(SALU_CYCLE_1) | instskip(SKIP_1) | instid1(VALU_DEP_1)
	v_cvt_f32_i32_e32 v6, s3
	s_mov_b32 s3, 0
	v_bfe_u32 v7, v6, 16, 1
	s_delay_alu instid0(VALU_DEP_1) | instskip(NEXT) | instid1(VALU_DEP_1)
	v_add_nc_u32_e32 v6, v6, v7
	v_add_nc_u32_e32 v6, 0x7fff, v6
	global_store_d16_hi_b16 v[3:4], v6, off
.LBB15_464:
	s_mov_b32 s4, 0
.LBB15_465:
	s_delay_alu instid0(SALU_CYCLE_1)
	s_and_b32 vcc_lo, exec_lo, s4
	s_mov_b32 s4, 0
	s_cbranch_vccz .LBB15_467
; %bb.466:
	v_cmp_ne_u16_e64 s3, 11, v5
	s_mov_b32 s4, -1
.LBB15_467:
	s_delay_alu instid0(VALU_DEP_1)
	s_and_b32 vcc_lo, exec_lo, s3
	s_mov_b32 s3, s6
	s_cbranch_vccnz .LBB15_539
; %bb.468:
	s_and_not1_b32 vcc_lo, exec_lo, s4
	s_cbranch_vccnz .LBB15_470
.LBB15_469:
	v_and_b32_e64 v6, 0xff, s2
	s_mov_b32 s5, -1
	s_delay_alu instid0(VALU_DEP_1)
	v_cmp_ne_u16_e32 vcc_lo, 0, v6
	v_cndmask_b32_e64 v6, 0, 1, vcc_lo
	global_store_b8 v[3:4], v6, off
.LBB15_470:
	s_mov_b32 s4, 0
.LBB15_471:
	s_delay_alu instid0(SALU_CYCLE_1)
	s_and_b32 vcc_lo, exec_lo, s4
	s_cbranch_vccz .LBB15_510
; %bb.472:
	v_cmp_gt_i16_e32 vcc_lo, 5, v5
	s_mov_b32 s4, -1
	s_cbranch_vccnz .LBB15_493
; %bb.473:
	v_cmp_gt_i16_e32 vcc_lo, 8, v5
	s_cbranch_vccnz .LBB15_483
; %bb.474:
	v_cmp_gt_i16_e32 vcc_lo, 9, v5
	s_cbranch_vccnz .LBB15_480
; %bb.475:
	v_cmp_lt_i16_e32 vcc_lo, 9, v5
	s_cbranch_vccz .LBB15_477
; %bb.476:
	s_bfe_i32 s4, s2, 0x80000
	v_mov_b32_e32 v8, 0
	s_sext_i32_i16 s4, s4
	s_delay_alu instid0(SALU_CYCLE_1) | instskip(SKIP_1) | instid1(VALU_DEP_2)
	v_cvt_f64_i32_e32 v[6:7], s4
	s_mov_b32 s4, 0
	v_mov_b32_e32 v9, v8
	global_store_b128 v[3:4], v[6:9], off
.LBB15_477:
	s_and_not1_b32 vcc_lo, exec_lo, s4
	s_cbranch_vccnz .LBB15_479
; %bb.478:
	s_bfe_i32 s4, s2, 0x80000
	v_mov_b32_e32 v7, 0
	s_sext_i32_i16 s4, s4
	s_delay_alu instid0(SALU_CYCLE_1)
	v_cvt_f32_i32_e32 v6, s4
	global_store_b64 v[3:4], v[6:7], off
.LBB15_479:
	s_mov_b32 s4, 0
.LBB15_480:
	s_delay_alu instid0(SALU_CYCLE_1)
	s_and_not1_b32 vcc_lo, exec_lo, s4
	s_cbranch_vccnz .LBB15_482
; %bb.481:
	s_bfe_i32 s4, s2, 0x80000
	s_delay_alu instid0(SALU_CYCLE_1) | instskip(NEXT) | instid1(VALU_DEP_1)
	v_cvt_f16_i16_e32 v6, s4
	v_and_b32_e32 v6, 0xffff, v6
	global_store_b32 v[3:4], v6, off
.LBB15_482:
	s_mov_b32 s4, 0
.LBB15_483:
	s_delay_alu instid0(SALU_CYCLE_1)
	s_and_not1_b32 vcc_lo, exec_lo, s4
	s_cbranch_vccnz .LBB15_492
; %bb.484:
	v_cmp_gt_i16_e32 vcc_lo, 6, v5
	s_mov_b32 s4, -1
	s_cbranch_vccnz .LBB15_490
; %bb.485:
	v_cmp_lt_i16_e32 vcc_lo, 6, v5
	s_cbranch_vccz .LBB15_487
; %bb.486:
	s_bfe_i32 s4, s2, 0x80000
	s_delay_alu instid0(SALU_CYCLE_1) | instskip(NEXT) | instid1(SALU_CYCLE_1)
	s_sext_i32_i16 s4, s4
	v_cvt_f64_i32_e32 v[6:7], s4
	s_mov_b32 s4, 0
	global_store_b64 v[3:4], v[6:7], off
.LBB15_487:
	s_and_not1_b32 vcc_lo, exec_lo, s4
	s_cbranch_vccnz .LBB15_489
; %bb.488:
	s_bfe_i32 s4, s2, 0x80000
	s_delay_alu instid0(SALU_CYCLE_1) | instskip(NEXT) | instid1(SALU_CYCLE_1)
	s_sext_i32_i16 s4, s4
	v_cvt_f32_i32_e32 v6, s4
	global_store_b32 v[3:4], v6, off
.LBB15_489:
	s_mov_b32 s4, 0
.LBB15_490:
	s_delay_alu instid0(SALU_CYCLE_1)
	s_and_not1_b32 vcc_lo, exec_lo, s4
	s_cbranch_vccnz .LBB15_492
; %bb.491:
	s_bfe_i32 s4, s2, 0x80000
	s_delay_alu instid0(SALU_CYCLE_1)
	v_cvt_f16_i16_e32 v6, s4
	global_store_b16 v[3:4], v6, off
.LBB15_492:
	s_mov_b32 s4, 0
.LBB15_493:
	s_delay_alu instid0(SALU_CYCLE_1)
	s_and_not1_b32 vcc_lo, exec_lo, s4
	s_cbranch_vccnz .LBB15_509
; %bb.494:
	v_cmp_gt_i16_e32 vcc_lo, 2, v5
	s_mov_b32 s4, -1
	s_cbranch_vccnz .LBB15_504
; %bb.495:
	v_cmp_gt_i16_e32 vcc_lo, 3, v5
	s_cbranch_vccnz .LBB15_501
; %bb.496:
	v_cmp_lt_i16_e32 vcc_lo, 3, v5
	s_cbranch_vccz .LBB15_498
; %bb.497:
	v_mov_b32_e32 v6, s2
	s_mov_b32 s4, 0
	s_delay_alu instid0(VALU_DEP_1) | instskip(NEXT) | instid1(VALU_DEP_1)
	v_bfe_i32 v6, v6, 0, 8
	v_ashrrev_i32_e32 v7, 31, v6
	global_store_b64 v[3:4], v[6:7], off
.LBB15_498:
	s_and_not1_b32 vcc_lo, exec_lo, s4
	s_cbranch_vccnz .LBB15_500
; %bb.499:
	s_sext_i32_i8 s4, s2
	s_delay_alu instid0(SALU_CYCLE_1)
	v_mov_b32_e32 v6, s4
	global_store_b32 v[3:4], v6, off
.LBB15_500:
	s_mov_b32 s4, 0
.LBB15_501:
	s_delay_alu instid0(SALU_CYCLE_1)
	s_and_not1_b32 vcc_lo, exec_lo, s4
	s_cbranch_vccnz .LBB15_503
; %bb.502:
	s_bfe_i32 s4, s2, 0x80000
	s_delay_alu instid0(SALU_CYCLE_1)
	v_mov_b32_e32 v6, s4
	global_store_b16 v[3:4], v6, off
.LBB15_503:
	s_mov_b32 s4, 0
.LBB15_504:
	s_delay_alu instid0(SALU_CYCLE_1)
	s_and_not1_b32 vcc_lo, exec_lo, s4
	s_cbranch_vccnz .LBB15_509
; %bb.505:
	v_cmp_lt_i16_e32 vcc_lo, 0, v5
	s_mov_b32 s4, -1
	s_cbranch_vccz .LBB15_507
; %bb.506:
	v_mov_b32_e32 v6, s2
	s_mov_b32 s4, 0
	global_store_b8 v[3:4], v6, off
.LBB15_507:
	s_and_not1_b32 vcc_lo, exec_lo, s4
	s_cbranch_vccnz .LBB15_509
; %bb.508:
	v_mov_b32_e32 v6, s2
	global_store_b8 v[3:4], v6, off
.LBB15_509:
	s_mov_b32 s5, -1
.LBB15_510:
	s_delay_alu instid0(SALU_CYCLE_1)
	s_and_not1_b32 vcc_lo, exec_lo, s5
	s_cbranch_vccnz .LBB15_923
; %bb.511:
	v_cmp_gt_i16_e32 vcc_lo, 11, v5
	v_add_co_u32 v2, s4, s0, v2
	s_delay_alu instid0(VALU_DEP_1)
	v_add_co_ci_u32_e64 v3, null, s1, 0, s4
	s_mov_b32 s8, 0
	s_mov_b32 s4, -1
	s_cbranch_vccnz .LBB15_724
; %bb.512:
	v_cmp_lt_i16_e32 vcc_lo, 25, v5
	s_mov_b32 s9, -1
	s_mov_b32 s5, 0
	s_mov_b32 s4, 0
	s_cbranch_vccz .LBB15_551
; %bb.513:
	v_cmp_lt_i16_e32 vcc_lo, 28, v5
	s_cbranch_vccz .LBB15_528
; %bb.514:
	v_cmp_lt_i16_e32 vcc_lo, 43, v5
	;; [unrolled: 3-line block ×3, first 2 shown]
	s_cbranch_vccz .LBB15_518
; %bb.516:
	v_cmp_eq_u16_e32 vcc_lo, 46, v5
	s_mov_b32 s4, -1
	s_mov_b32 s9, 0
	s_cbranch_vccz .LBB15_518
; %bb.517:
	s_bfe_i32 s4, s2, 0x80000
	s_mov_b32 s8, -1
	s_sext_i32_i16 s4, s4
	s_delay_alu instid0(SALU_CYCLE_1) | instskip(SKIP_1) | instid1(VALU_DEP_1)
	v_cvt_f32_i32_e32 v4, s4
	s_mov_b32 s4, 0
	v_bfe_u32 v6, v4, 16, 1
	s_delay_alu instid0(VALU_DEP_1) | instskip(NEXT) | instid1(VALU_DEP_1)
	v_add_nc_u32_e32 v4, v4, v6
	v_add_nc_u32_e32 v4, 0x7fff, v4
	s_delay_alu instid0(VALU_DEP_1)
	v_lshrrev_b32_e32 v4, 16, v4
	global_store_b32 v[2:3], v4, off
.LBB15_518:
	s_and_b32 vcc_lo, exec_lo, s9
	s_cbranch_vccz .LBB15_523
; %bb.519:
	v_cmp_eq_u16_e32 vcc_lo, 44, v5
	s_mov_b32 s4, -1
	s_cbranch_vccz .LBB15_523
; %bb.520:
	s_bfe_i32 s4, s2, 0x80000
	v_mov_b32_e32 v6, 0xff
	s_sext_i32_i16 s4, s4
	s_delay_alu instid0(SALU_CYCLE_1) | instskip(NEXT) | instid1(VALU_DEP_1)
	v_cvt_f32_i32_e32 v4, s4
	v_readfirstlane_b32 s4, v4
	s_delay_alu instid0(VALU_DEP_1) | instskip(NEXT) | instid1(SALU_CYCLE_1)
	s_bfe_u32 s8, s4, 0x80017
	s_cmpk_eq_i32 s8, 0xff
	s_cbranch_scc1 .LBB15_522
; %bb.521:
	s_bitcmp1_b32 s4, 22
	v_lshrrev_b32_e32 v4, 23, v4
	s_cselect_b32 s9, -1, 0
	s_and_b32 s4, s4, 0x3fffff
	s_delay_alu instid0(SALU_CYCLE_1) | instskip(NEXT) | instid1(SALU_CYCLE_1)
	s_or_b32 s4, s8, s4
	s_cmp_lg_u32 s4, 0
	s_cselect_b32 s4, -1, 0
	s_delay_alu instid0(SALU_CYCLE_1) | instskip(NEXT) | instid1(SALU_CYCLE_1)
	s_and_b32 s4, s9, s4
	v_cndmask_b32_e64 v6, 0, 1, s4
	s_delay_alu instid0(VALU_DEP_1)
	v_add_nc_u32_e32 v6, v4, v6
.LBB15_522:
	s_mov_b32 s4, 0
	s_mov_b32 s8, -1
	global_store_b8 v[2:3], v6, off
.LBB15_523:
	s_mov_b32 s9, 0
.LBB15_524:
	s_delay_alu instid0(SALU_CYCLE_1)
	s_and_b32 vcc_lo, exec_lo, s9
	s_cbranch_vccz .LBB15_527
; %bb.525:
	v_cmp_eq_u16_e32 vcc_lo, 29, v5
	s_mov_b32 s4, -1
	s_cbranch_vccz .LBB15_527
; %bb.526:
	v_mov_b32_e32 v4, s2
	s_mov_b32 s4, 0
	s_mov_b32 s8, -1
	s_delay_alu instid0(VALU_DEP_1) | instskip(NEXT) | instid1(VALU_DEP_1)
	v_bfe_i32 v6, v4, 0, 8
	v_ashrrev_i32_e32 v7, 31, v6
	global_store_b64 v[2:3], v[6:7], off
.LBB15_527:
	s_mov_b32 s9, 0
.LBB15_528:
	s_delay_alu instid0(SALU_CYCLE_1)
	s_and_b32 vcc_lo, exec_lo, s9
	s_cbranch_vccz .LBB15_550
; %bb.529:
	v_cmp_gt_i16_e32 vcc_lo, 27, v5
	s_mov_b32 s8, -1
	s_cbranch_vccnz .LBB15_535
; %bb.530:
	v_cmp_lt_i16_e32 vcc_lo, 27, v5
	s_cbranch_vccz .LBB15_532
; %bb.531:
	s_sext_i32_i8 s8, s2
	s_delay_alu instid0(SALU_CYCLE_1)
	v_mov_b32_e32 v4, s8
	s_mov_b32 s8, 0
	global_store_b32 v[2:3], v4, off
.LBB15_532:
	s_and_not1_b32 vcc_lo, exec_lo, s8
	s_cbranch_vccnz .LBB15_534
; %bb.533:
	s_bfe_i32 s8, s2, 0x80000
	s_delay_alu instid0(SALU_CYCLE_1)
	v_mov_b32_e32 v4, s8
	global_store_b16 v[2:3], v4, off
.LBB15_534:
	s_mov_b32 s8, 0
.LBB15_535:
	s_delay_alu instid0(SALU_CYCLE_1)
	s_and_not1_b32 vcc_lo, exec_lo, s8
	s_cbranch_vccnz .LBB15_549
; %bb.536:
	s_bfe_i32 s8, s2, 0x80000
	v_mov_b32_e32 v6, 0x80
	s_sext_i32_i16 s8, s8
	s_delay_alu instid0(SALU_CYCLE_1) | instskip(NEXT) | instid1(VALU_DEP_1)
	v_cvt_f32_i32_e32 v4, s8
	v_readfirstlane_b32 s8, v4
	s_delay_alu instid0(VALU_DEP_1) | instskip(NEXT) | instid1(SALU_CYCLE_1)
	s_and_b32 s9, s8, 0x7fffffff
	s_cmp_gt_u32 s9, 0x437fffff
	s_cbranch_scc1 .LBB15_548
; %bb.537:
	s_cmp_gt_u32 s9, 0x3bffffff
	s_cbranch_scc0 .LBB15_543
; %bb.538:
	s_bfe_u32 s9, s8, 0x10014
	s_mov_b32 s10, 0
	s_add_i32 s9, s8, s9
	s_delay_alu instid0(SALU_CYCLE_1) | instskip(NEXT) | instid1(SALU_CYCLE_1)
	s_add_i32 s9, s9, 0x487ffff
	s_lshr_b32 s11, s9, 20
	s_mov_b32 s9, -1
	s_branch .LBB15_544
.LBB15_539:
	s_cbranch_execnz .LBB15_541
; %bb.540:
	s_or_b32 s3, s6, exec_lo
	s_cbranch_execz .LBB15_469
	s_branch .LBB15_470
.LBB15_541:
	s_trap 2
	s_sendmsg_rtn_b32 s0, sendmsg(MSG_RTN_GET_DOORBELL)
	s_mov_b32 ttmp2, m0
	s_waitcnt lgkmcnt(0)
	s_and_b32 s0, s0, 0x3ff
	s_delay_alu instid0(SALU_CYCLE_1) | instskip(NEXT) | instid1(SALU_CYCLE_1)
	s_bitset1_b32 s0, 10
	s_mov_b32 m0, s0
	s_sendmsg sendmsg(MSG_INTERRUPT)
	s_mov_b32 m0, ttmp2
.LBB15_542:                             ; =>This Inner Loop Header: Depth=1
	s_sethalt 5
	s_branch .LBB15_542
.LBB15_543:
	s_mov_b32 s10, -1
	s_mov_b32 s9, 0
                                        ; implicit-def: $sgpr11
.LBB15_544:
	v_mov_b32_e32 v4, s11
	s_and_not1_b32 vcc_lo, exec_lo, s10
                                        ; implicit-def: $sgpr10
	s_cbranch_vccnz .LBB15_546
; %bb.545:
	v_add_f32_e64 v4, 0x46000000, |s8|
	s_mov_b32 s10, 0
	s_delay_alu instid0(VALU_DEP_1) | instskip(NEXT) | instid1(VALU_DEP_1)
	v_and_b32_e32 v4, 0xff, v4
	v_cmp_ne_u32_e64 s9, 0, v4
.LBB15_546:
	v_mov_b32_e32 v6, s10
	s_delay_alu instid0(VALU_DEP_2)
	s_and_not1_b32 vcc_lo, exec_lo, s9
	s_cbranch_vccnz .LBB15_548
; %bb.547:
	s_lshr_b32 s8, s8, 24
	s_delay_alu instid0(SALU_CYCLE_1) | instskip(NEXT) | instid1(SALU_CYCLE_1)
	s_and_b32 s8, s8, 0x80
	v_or_b32_e32 v6, s8, v4
.LBB15_548:
	global_store_b8 v[2:3], v6, off
.LBB15_549:
	s_mov_b32 s8, -1
.LBB15_550:
	s_mov_b32 s9, 0
.LBB15_551:
	s_delay_alu instid0(SALU_CYCLE_1)
	s_and_b32 vcc_lo, exec_lo, s9
	s_cbranch_vccz .LBB15_720
; %bb.552:
	v_cmp_lt_i16_e32 vcc_lo, 22, v5
	s_mov_b32 s5, -1
	s_cbranch_vccz .LBB15_713
; %bb.553:
	v_cmp_gt_i16_e32 vcc_lo, 24, v5
	s_cbranch_vccnz .LBB15_700
; %bb.554:
	v_cmp_lt_i16_e32 vcc_lo, 24, v5
	s_cbranch_vccz .LBB15_687
; %bb.555:
	s_bfe_i32 s5, s2, 0x80000
	v_mov_b32_e32 v6, 0x80
	s_sext_i32_i16 s5, s5
	s_delay_alu instid0(SALU_CYCLE_1) | instskip(NEXT) | instid1(VALU_DEP_1)
	v_cvt_f32_i32_e32 v4, s5
	v_readfirstlane_b32 s5, v4
	s_delay_alu instid0(VALU_DEP_1) | instskip(NEXT) | instid1(SALU_CYCLE_1)
	s_and_b32 s8, s5, 0x7fffffff
	s_cmp_gt_u32 s8, 0x477fffff
	s_cbranch_scc1 .LBB15_686
; %bb.556:
	s_cmp_gt_u32 s8, 0x37ffffff
	s_cbranch_scc0 .LBB15_681
; %bb.557:
	s_bfe_u32 s8, s5, 0x10015
	s_mov_b32 s9, 0
	s_add_i32 s8, s5, s8
	s_delay_alu instid0(SALU_CYCLE_1) | instskip(NEXT) | instid1(SALU_CYCLE_1)
	s_add_i32 s8, s8, 0x88fffff
	s_lshr_b32 s10, s8, 21
	s_mov_b32 s8, -1
	s_branch .LBB15_682
.LBB15_558:
	s_mov_b32 s20, s54
.LBB15_559:
	s_and_b32 vcc_lo, exec_lo, s22
	s_cbranch_vccz .LBB15_562
; %bb.560:
	v_cmp_eq_u16_e32 vcc_lo, 44, v8
	s_mov_b32 s20, -1
	s_cbranch_vccz .LBB15_562
; %bb.561:
	v_cndmask_b32_e64 v2, v17, 0xff, s2
	s_mov_b32 s21, -1
	s_mov_b32 s20, 0
	global_store_b8 v[6:7], v2, off
.LBB15_562:
	s_mov_b32 s22, 0
.LBB15_563:
	s_delay_alu instid0(SALU_CYCLE_1)
	s_and_b32 vcc_lo, exec_lo, s22
	s_cbranch_vccz .LBB15_566
; %bb.564:
	v_cmp_eq_u16_e32 vcc_lo, 29, v8
	s_mov_b32 s20, -1
	s_cbranch_vccz .LBB15_566
; %bb.565:
	v_dual_mov_b32 v2, s10 :: v_dual_mov_b32 v3, s11
	s_mov_b32 s21, -1
	s_mov_b32 s20, 0
	s_mov_b32 s22, 0
	global_store_b64 v[6:7], v[2:3], off
	s_branch .LBB15_567
.LBB15_566:
	s_mov_b32 s22, 0
.LBB15_567:
	s_delay_alu instid0(SALU_CYCLE_1)
	s_and_b32 vcc_lo, exec_lo, s22
	s_cbranch_vccz .LBB15_580
; %bb.568:
	v_cmp_gt_i16_e32 vcc_lo, 27, v8
	s_mov_b32 s21, -1
	s_cbranch_vccnz .LBB15_574
; %bb.569:
	v_cmp_lt_i16_e32 vcc_lo, 27, v8
	s_cbranch_vccz .LBB15_571
; %bb.570:
	v_mov_b32_e32 v2, s28
	s_mov_b32 s21, 0
	global_store_b32 v[6:7], v2, off
.LBB15_571:
	s_and_not1_b32 vcc_lo, exec_lo, s21
	s_cbranch_vccnz .LBB15_573
; %bb.572:
	v_mov_b32_e32 v2, s27
	global_store_b16 v[6:7], v2, off
.LBB15_573:
	s_mov_b32 s21, 0
.LBB15_574:
	s_delay_alu instid0(SALU_CYCLE_1)
	s_and_not1_b32 vcc_lo, exec_lo, s21
	s_cbranch_vccnz .LBB15_579
; %bb.575:
	v_mov_b32_e32 v2, 0x80
	s_and_not1_b32 vcc_lo, exec_lo, s46
	s_cbranch_vccnz .LBB15_578
; %bb.576:
	v_mov_b32_e32 v2, 0
	s_or_b32 s21, s44, s47
	s_delay_alu instid0(SALU_CYCLE_1)
	s_and_not1_b32 vcc_lo, exec_lo, s21
	s_cbranch_vccnz .LBB15_578
; %bb.577:
	v_cndmask_b32_e64 v2, v16, s45, s44
	s_delay_alu instid0(VALU_DEP_1)
	v_or_b32_e32 v2, v2, v14
.LBB15_578:
	global_store_b8 v[6:7], v2, off
.LBB15_579:
	s_mov_b32 s21, -1
.LBB15_580:
	s_mov_b32 s22, 0
.LBB15_581:
	s_delay_alu instid0(SALU_CYCLE_1)
	s_and_b32 vcc_lo, exec_lo, s22
	s_cbranch_vccz .LBB15_603
; %bb.582:
	v_cmp_lt_i16_e32 vcc_lo, 22, v8
	s_mov_b32 s22, -1
	s_cbranch_vccz .LBB15_595
; %bb.583:
	v_cmp_gt_i16_e32 vcc_lo, 24, v8
	s_mov_b32 s21, -1
	s_cbranch_vccnz .LBB15_592
; %bb.584:
	v_cmp_lt_i16_e32 vcc_lo, 24, v8
	s_cbranch_vccz .LBB15_589
; %bb.585:
	v_mov_b32_e32 v2, 0x80
	s_and_not1_b32 vcc_lo, exec_lo, s42
	s_cbranch_vccnz .LBB15_588
; %bb.586:
	v_mov_b32_e32 v2, 0
	s_or_b32 s21, s38, s43
	s_delay_alu instid0(SALU_CYCLE_1)
	s_and_not1_b32 vcc_lo, exec_lo, s21
	s_cbranch_vccnz .LBB15_588
; %bb.587:
	v_cndmask_b32_e64 v2, v15, s40, s38
	s_delay_alu instid0(VALU_DEP_1)
	v_or_b32_e32 v2, v2, v14
.LBB15_588:
	s_mov_b32 s21, 0
	global_store_b8 v[6:7], v2, off
.LBB15_589:
	s_and_b32 vcc_lo, exec_lo, s21
	s_cbranch_vccz .LBB15_591
; %bb.590:
	s_and_b32 s21, s37, exec_lo
	s_cselect_b32 s21, s34, s39
	s_and_b32 s22, s35, exec_lo
	s_cselect_b32 s21, s41, s21
	s_delay_alu instid0(SALU_CYCLE_1)
	v_or_b32_e32 v2, s21, v14
	global_store_b8 v[6:7], v2, off
.LBB15_591:
	s_mov_b32 s21, 0
.LBB15_592:
	s_delay_alu instid0(SALU_CYCLE_1)
	s_and_not1_b32 vcc_lo, exec_lo, s21
	s_cbranch_vccnz .LBB15_594
; %bb.593:
	s_and_b32 s21, s31, exec_lo
	s_cselect_b32 s21, s30, s33
	s_and_b32 s22, s29, exec_lo
	s_cselect_b32 s21, s36, s21
	s_delay_alu instid0(SALU_CYCLE_1)
	v_or_b32_e32 v2, s21, v14
	global_store_b8 v[6:7], v2, off
.LBB15_594:
	s_mov_b32 s22, 0
	s_mov_b32 s21, -1
.LBB15_595:
	s_and_not1_b32 vcc_lo, exec_lo, s22
	s_cbranch_vccnz .LBB15_603
; %bb.596:
	v_cmp_lt_i16_e32 vcc_lo, 14, v8
	s_mov_b32 s22, -1
	s_cbranch_vccz .LBB15_600
; %bb.597:
	v_cmp_eq_u16_e32 vcc_lo, 15, v8
	s_mov_b32 s20, -1
	s_cbranch_vccz .LBB15_599
; %bb.598:
	s_mov_b32 s21, -1
	s_mov_b32 s20, 0
	global_store_b16 v[6:7], v13, off
.LBB15_599:
	s_mov_b32 s22, 0
.LBB15_600:
	s_delay_alu instid0(SALU_CYCLE_1)
	s_and_b32 vcc_lo, exec_lo, s22
	s_cbranch_vccz .LBB15_603
; %bb.601:
	v_cmp_eq_u16_e32 vcc_lo, 11, v8
	s_mov_b32 s20, -1
	s_cbranch_vccz .LBB15_603
; %bb.602:
	s_mov_b32 s21, -1
	s_mov_b32 s20, 0
	global_store_b8 v[6:7], v12, off
.LBB15_603:
.LBB15_604:
	s_and_not1_b32 vcc_lo, exec_lo, s21
	s_cbranch_vccnz .LBB15_424
.LBB15_605:
	v_add_nc_u32_e32 v10, 0x80, v10
	s_mov_b32 s21, -1
.LBB15_606:
	s_and_not1_b32 s22, s54, exec_lo
	s_and_b32 s20, s20, exec_lo
	s_or_not1_b32 s57, s21, exec_lo
	s_or_b32 s22, s22, s20
.LBB15_607:
	s_or_b32 exec_lo, exec_lo, s56
	s_mov_b32 s20, 0
	s_mov_b32 s21, 0
                                        ; implicit-def: $vgpr6_vgpr7
	s_and_saveexec_b32 s23, s57
	s_cbranch_execz .LBB15_675
; %bb.608:
	v_cmp_gt_i32_e32 vcc_lo, s49, v10
	s_mov_b32 s56, s22
                                        ; implicit-def: $vgpr6_vgpr7
	s_and_saveexec_b32 s49, vcc_lo
	s_cbranch_execz .LBB15_674
; %bb.609:
	s_and_not1_b32 vcc_lo, exec_lo, s25
	s_cbranch_vccnz .LBB15_614
; %bb.610:
	v_mov_b32_e32 v2, 0
	s_and_not1_b32 vcc_lo, exec_lo, s51
	s_cbranch_vccnz .LBB15_619
; %bb.611:
	s_add_i32 s51, s50, 1
	s_cmp_eq_u32 s24, 2
	s_mov_b32 s50, 0
	s_cbranch_scc1 .LBB15_615
; %bb.612:
	v_dual_mov_b32 v2, 0 :: v_dual_mov_b32 v3, v10
	s_and_b32 s50, s51, 28
	s_mov_b32 s56, 0
	s_mov_b64 s[20:21], s[0:1]
.LBB15_613:                             ; =>This Inner Loop Header: Depth=1
	s_clause 0x1
	s_load_b256 s[60:67], s[20:21], 0x4
	s_load_b128 s[68:71], s[20:21], 0x24
	s_load_b128 s[72:75], s[18:19], 0x0
	s_add_u32 s20, s20, 48
	s_addc_u32 s21, s21, 0
	s_add_i32 s56, s56, 4
	s_add_u32 s18, s18, 16
	s_addc_u32 s19, s19, 0
	s_cmp_eq_u32 s50, s56
	s_waitcnt lgkmcnt(0)
	v_mul_hi_u32 v5, s61, v3
	s_delay_alu instid0(VALU_DEP_1) | instskip(NEXT) | instid1(VALU_DEP_1)
	v_add_nc_u32_e32 v5, v3, v5
	v_lshrrev_b32_e32 v5, s62, v5
	s_delay_alu instid0(VALU_DEP_1) | instskip(SKIP_1) | instid1(VALU_DEP_2)
	v_mul_hi_u32 v6, s64, v5
	v_mul_lo_u32 v19, v5, s60
	v_add_nc_u32_e32 v6, v5, v6
	s_delay_alu instid0(VALU_DEP_2) | instskip(NEXT) | instid1(VALU_DEP_2)
	v_sub_nc_u32_e32 v19, v3, v19
	v_lshrrev_b32_e32 v6, s65, v6
	s_delay_alu instid0(VALU_DEP_2) | instskip(NEXT) | instid1(VALU_DEP_2)
	v_mul_lo_u32 v19, v19, s72
	v_mul_hi_u32 v7, s67, v6
	v_mul_lo_u32 v20, v6, s63
	s_delay_alu instid0(VALU_DEP_2) | instskip(NEXT) | instid1(VALU_DEP_2)
	v_add_nc_u32_e32 v7, v6, v7
	v_sub_nc_u32_e32 v5, v5, v20
	s_delay_alu instid0(VALU_DEP_2) | instskip(NEXT) | instid1(VALU_DEP_2)
	v_lshrrev_b32_e32 v7, s68, v7
	v_mul_lo_u32 v5, v5, s73
	s_delay_alu instid0(VALU_DEP_2) | instskip(NEXT) | instid1(VALU_DEP_2)
	v_mul_hi_u32 v18, s70, v7
	v_add3_u32 v2, v19, v2, v5
	s_delay_alu instid0(VALU_DEP_2) | instskip(NEXT) | instid1(VALU_DEP_1)
	v_add_nc_u32_e32 v18, v7, v18
	v_lshrrev_b32_e32 v3, s71, v18
	v_mul_lo_u32 v18, v7, s66
	s_delay_alu instid0(VALU_DEP_2) | instskip(NEXT) | instid1(VALU_DEP_2)
	v_mul_lo_u32 v21, v3, s69
	v_sub_nc_u32_e32 v6, v6, v18
	s_delay_alu instid0(VALU_DEP_2) | instskip(NEXT) | instid1(VALU_DEP_2)
	v_sub_nc_u32_e32 v7, v7, v21
	v_mul_lo_u32 v6, v6, s74
	s_delay_alu instid0(VALU_DEP_2) | instskip(NEXT) | instid1(VALU_DEP_1)
	v_mul_lo_u32 v7, v7, s75
	v_add3_u32 v2, v6, v2, v7
	s_cbranch_scc0 .LBB15_613
	s_branch .LBB15_616
.LBB15_614:
	s_mov_b32 s18, -1
                                        ; implicit-def: $vgpr2
	s_branch .LBB15_620
.LBB15_615:
	v_mov_b32_e32 v3, v10
.LBB15_616:
	s_and_b32 s51, s51, 3
	s_delay_alu instid0(SALU_CYCLE_1)
	s_cmp_eq_u32 s51, 0
	s_cbranch_scc1 .LBB15_619
; %bb.617:
	s_lshl_b32 s18, s50, 2
	s_mul_i32 s20, s50, 12
	s_add_u32 s18, s18, s0
	s_addc_u32 s19, s1, 0
	s_add_u32 s18, s18, 0xc4
	s_addc_u32 s19, s19, 0
	s_add_u32 s20, s0, s20
	s_addc_u32 s21, s1, 0
.LBB15_618:                             ; =>This Inner Loop Header: Depth=1
	s_clause 0x1
	s_load_b64 s[56:57], s[20:21], 0x4
	s_load_b32 s50, s[20:21], 0xc
	s_add_u32 s20, s20, 12
	s_addc_u32 s21, s21, 0
	s_waitcnt lgkmcnt(0)
	v_mul_hi_u32 v5, s57, v3
	s_load_b32 s57, s[18:19], 0x0
	s_add_u32 s18, s18, 4
	s_addc_u32 s19, s19, 0
	s_add_i32 s51, s51, -1
	s_delay_alu instid0(SALU_CYCLE_1) | instskip(NEXT) | instid1(VALU_DEP_1)
	s_cmp_lg_u32 s51, 0
	v_add_nc_u32_e32 v5, v3, v5
	s_delay_alu instid0(VALU_DEP_1) | instskip(NEXT) | instid1(VALU_DEP_1)
	v_lshrrev_b32_e32 v7, s50, v5
	v_mul_lo_u32 v5, v7, s56
	s_delay_alu instid0(VALU_DEP_1) | instskip(SKIP_1) | instid1(VALU_DEP_1)
	v_sub_nc_u32_e32 v3, v3, v5
	s_waitcnt lgkmcnt(0)
	v_mad_u64_u32 v[5:6], null, v3, s57, v[2:3]
	s_delay_alu instid0(VALU_DEP_1)
	v_dual_mov_b32 v3, v7 :: v_dual_mov_b32 v2, v5
	s_cbranch_scc1 .LBB15_618
.LBB15_619:
	s_mov_b32 s18, 0
.LBB15_620:
	s_delay_alu instid0(SALU_CYCLE_1)
	s_and_not1_b32 vcc_lo, exec_lo, s18
	s_cbranch_vccnz .LBB15_623
; %bb.621:
	v_mul_hi_u32 v2, s5, v10
	s_and_not1_b32 vcc_lo, exec_lo, s48
	s_delay_alu instid0(VALU_DEP_1) | instskip(NEXT) | instid1(VALU_DEP_1)
	v_add_nc_u32_e32 v2, v10, v2
	v_lshrrev_b32_e32 v3, s6, v2
	s_delay_alu instid0(VALU_DEP_1) | instskip(NEXT) | instid1(VALU_DEP_1)
	v_mul_lo_u32 v2, v3, s4
	v_sub_nc_u32_e32 v2, v10, v2
	s_delay_alu instid0(VALU_DEP_1)
	v_mul_lo_u32 v2, v2, s14
	s_cbranch_vccnz .LBB15_623
; %bb.622:
	v_mul_hi_u32 v5, s16, v3
	s_delay_alu instid0(VALU_DEP_1) | instskip(NEXT) | instid1(VALU_DEP_1)
	v_add_nc_u32_e32 v5, v3, v5
	v_lshrrev_b32_e32 v5, s17, v5
	s_delay_alu instid0(VALU_DEP_1) | instskip(NEXT) | instid1(VALU_DEP_1)
	v_mul_lo_u32 v5, v5, s7
	v_sub_nc_u32_e32 v3, v3, v5
	s_delay_alu instid0(VALU_DEP_1) | instskip(NEXT) | instid1(VALU_DEP_1)
	v_mad_u64_u32 v[5:6], null, v3, s15, v[2:3]
	v_mov_b32_e32 v2, v5
.LBB15_623:
	v_cmp_gt_i16_e32 vcc_lo, 11, v8
	s_delay_alu instid0(VALU_DEP_2) | instskip(NEXT) | instid1(VALU_DEP_1)
	v_add_co_u32 v6, s4, s12, v2
	v_add_co_ci_u32_e64 v7, null, s13, 0, s4
	s_mov_b32 s6, 0
	s_mov_b32 s5, -1
	s_mov_b32 s4, s22
	s_cbranch_vccnz .LBB15_673
; %bb.624:
	v_cmp_lt_i16_e32 vcc_lo, 25, v8
	s_mov_b32 s4, s22
	s_cbranch_vccz .LBB15_652
; %bb.625:
	v_cmp_lt_i16_e32 vcc_lo, 28, v8
	s_mov_b32 s4, s22
	s_cbranch_vccz .LBB15_639
	;; [unrolled: 4-line block ×4, first 2 shown]
; %bb.628:
	v_cmp_eq_u16_e32 vcc_lo, 46, v8
	s_mov_b32 s4, -1
	s_cbranch_vccz .LBB15_630
; %bb.629:
	s_mov_b32 s4, 0
	global_store_b32 v[6:7], v13, off
.LBB15_630:
	s_mov_b32 s5, 0
.LBB15_631:
	s_delay_alu instid0(SALU_CYCLE_1)
	s_and_b32 vcc_lo, exec_lo, s5
	s_cbranch_vccz .LBB15_634
; %bb.632:
	v_cmp_eq_u16_e32 vcc_lo, 44, v8
	s_mov_b32 s4, -1
	s_cbranch_vccz .LBB15_634
; %bb.633:
	v_cndmask_b32_e64 v2, v17, 0xff, s2
	s_mov_b32 s4, 0
	global_store_b8 v[6:7], v2, off
.LBB15_634:
	s_mov_b32 s5, 0
.LBB15_635:
	s_delay_alu instid0(SALU_CYCLE_1)
	s_and_b32 vcc_lo, exec_lo, s5
	s_cbranch_vccz .LBB15_638
; %bb.636:
	v_cmp_eq_u16_e32 vcc_lo, 29, v8
	s_mov_b32 s4, -1
	s_cbranch_vccz .LBB15_638
; %bb.637:
	v_dual_mov_b32 v2, s10 :: v_dual_mov_b32 v3, s11
	s_mov_b32 s4, 0
	global_store_b64 v[6:7], v[2:3], off
.LBB15_638:
	s_mov_b32 s5, 0
.LBB15_639:
	s_delay_alu instid0(SALU_CYCLE_1)
	s_and_b32 vcc_lo, exec_lo, s5
	s_cbranch_vccz .LBB15_651
; %bb.640:
	v_cmp_gt_i16_e32 vcc_lo, 27, v8
	s_mov_b32 s2, -1
	s_cbranch_vccnz .LBB15_646
; %bb.641:
	v_cmp_lt_i16_e32 vcc_lo, 27, v8
	s_cbranch_vccz .LBB15_643
; %bb.642:
	v_mov_b32_e32 v2, s28
	s_mov_b32 s2, 0
	global_store_b32 v[6:7], v2, off
.LBB15_643:
	s_and_not1_b32 vcc_lo, exec_lo, s2
	s_cbranch_vccnz .LBB15_645
; %bb.644:
	v_mov_b32_e32 v2, s27
	global_store_b16 v[6:7], v2, off
.LBB15_645:
	s_mov_b32 s2, 0
.LBB15_646:
	s_delay_alu instid0(SALU_CYCLE_1)
	s_and_not1_b32 vcc_lo, exec_lo, s2
	s_cbranch_vccnz .LBB15_651
; %bb.647:
	v_mov_b32_e32 v2, 0x80
	s_and_not1_b32 vcc_lo, exec_lo, s46
	s_cbranch_vccnz .LBB15_650
; %bb.648:
	v_mov_b32_e32 v2, 0
	s_or_b32 s2, s44, s47
	s_delay_alu instid0(SALU_CYCLE_1)
	s_and_not1_b32 vcc_lo, exec_lo, s2
	s_cbranch_vccnz .LBB15_650
; %bb.649:
	v_cndmask_b32_e64 v2, v16, s45, s44
	s_delay_alu instid0(VALU_DEP_1)
	v_or_b32_e32 v2, v2, v14
.LBB15_650:
	global_store_b8 v[6:7], v2, off
.LBB15_651:
	s_mov_b32 s5, 0
.LBB15_652:
	s_delay_alu instid0(SALU_CYCLE_1)
	s_and_b32 vcc_lo, exec_lo, s5
	s_mov_b32 s5, 0
	s_cbranch_vccz .LBB15_673
; %bb.653:
	v_cmp_lt_i16_e32 vcc_lo, 22, v8
	s_mov_b32 s2, -1
	s_cbranch_vccz .LBB15_666
; %bb.654:
	v_cmp_gt_i16_e32 vcc_lo, 24, v8
	s_cbranch_vccnz .LBB15_663
; %bb.655:
	v_cmp_lt_i16_e32 vcc_lo, 24, v8
	s_cbranch_vccz .LBB15_660
; %bb.656:
	v_mov_b32_e32 v2, 0x80
	s_and_not1_b32 vcc_lo, exec_lo, s42
	s_cbranch_vccnz .LBB15_659
; %bb.657:
	v_mov_b32_e32 v2, 0
	s_or_b32 s2, s38, s43
	s_delay_alu instid0(SALU_CYCLE_1)
	s_and_not1_b32 vcc_lo, exec_lo, s2
	s_cbranch_vccnz .LBB15_659
; %bb.658:
	v_cndmask_b32_e64 v2, v15, s40, s38
	s_delay_alu instid0(VALU_DEP_1)
	v_or_b32_e32 v2, v2, v14
.LBB15_659:
	s_mov_b32 s2, 0
	global_store_b8 v[6:7], v2, off
.LBB15_660:
	s_and_b32 vcc_lo, exec_lo, s2
	s_cbranch_vccz .LBB15_662
; %bb.661:
	s_and_b32 s2, s37, exec_lo
	s_cselect_b32 s2, s34, s39
	s_and_b32 s6, s35, exec_lo
	s_cselect_b32 s2, s41, s2
	s_delay_alu instid0(SALU_CYCLE_1)
	v_or_b32_e32 v2, s2, v14
	global_store_b8 v[6:7], v2, off
.LBB15_662:
	s_mov_b32 s2, 0
.LBB15_663:
	s_delay_alu instid0(SALU_CYCLE_1)
	s_and_not1_b32 vcc_lo, exec_lo, s2
	s_cbranch_vccnz .LBB15_665
; %bb.664:
	s_and_b32 s2, s31, exec_lo
	s_cselect_b32 s2, s30, s33
	s_and_b32 s6, s29, exec_lo
	s_cselect_b32 s2, s36, s2
	s_delay_alu instid0(SALU_CYCLE_1)
	v_or_b32_e32 v2, s2, v14
	global_store_b8 v[6:7], v2, off
.LBB15_665:
	s_mov_b32 s2, 0
.LBB15_666:
	s_delay_alu instid0(SALU_CYCLE_1)
	s_and_not1_b32 vcc_lo, exec_lo, s2
	s_mov_b32 s6, 0
	s_cbranch_vccnz .LBB15_673
; %bb.667:
	v_cmp_lt_i16_e32 vcc_lo, 14, v8
	s_mov_b32 s2, -1
	s_cbranch_vccz .LBB15_671
; %bb.668:
	v_cmp_eq_u16_e32 vcc_lo, 15, v8
	s_mov_b32 s4, -1
	s_cbranch_vccz .LBB15_670
; %bb.669:
	s_mov_b32 s4, 0
	global_store_b16 v[6:7], v13, off
.LBB15_670:
	s_mov_b32 s2, 0
.LBB15_671:
	s_delay_alu instid0(SALU_CYCLE_1)
	s_and_b32 vcc_lo, exec_lo, s2
	s_cbranch_vccz .LBB15_673
; %bb.672:
	v_cmp_ne_u16_e32 vcc_lo, 11, v8
	s_and_not1_b32 s2, s4, exec_lo
	s_mov_b32 s6, -1
	s_and_b32 s4, vcc_lo, exec_lo
	s_delay_alu instid0(SALU_CYCLE_1)
	s_or_b32 s4, s2, s4
.LBB15_673:
	s_and_not1_b32 s2, s22, exec_lo
	s_and_b32 s4, s4, exec_lo
	s_and_b32 s21, s5, exec_lo
	;; [unrolled: 1-line block ×3, first 2 shown]
	s_or_b32 s56, s2, s4
.LBB15_674:
	s_or_b32 exec_lo, exec_lo, s49
	s_delay_alu instid0(SALU_CYCLE_1)
	s_and_not1_b32 s2, s22, exec_lo
	s_and_b32 s4, s56, exec_lo
	s_and_b32 s21, s21, exec_lo
	;; [unrolled: 1-line block ×3, first 2 shown]
	s_or_b32 s22, s2, s4
.LBB15_675:
	s_or_b32 exec_lo, exec_lo, s23
	s_delay_alu instid0(SALU_CYCLE_1)
	s_and_not1_b32 s2, s54, exec_lo
	s_and_b32 s4, s22, exec_lo
	s_and_b32 s21, s21, exec_lo
	;; [unrolled: 1-line block ×3, first 2 shown]
	s_or_b32 s54, s2, s4
.LBB15_676:
	s_or_b32 exec_lo, exec_lo, s55
	s_delay_alu instid0(SALU_CYCLE_1)
	s_and_not1_b32 s2, s52, exec_lo
	s_and_b32 s4, s54, exec_lo
	s_and_b32 s21, s21, exec_lo
	;; [unrolled: 1-line block ×3, first 2 shown]
	s_or_b32 s52, s2, s4
	s_or_b32 exec_lo, exec_lo, s53
	s_mov_b32 s2, 0
	s_and_saveexec_b32 s4, s52
	s_cbranch_execz .LBB15_118
.LBB15_677:
	s_cbranch_execnz .LBB15_679
; %bb.678:
	s_mov_b32 s2, exec_lo
	s_and_not1_b32 s54, s54, exec_lo
	s_or_b32 exec_lo, exec_lo, s4
	s_and_saveexec_b32 s4, s54
	s_delay_alu instid0(SALU_CYCLE_1)
	s_xor_b32 s4, exec_lo, s4
	s_cbranch_execnz .LBB15_119
	s_branch .LBB15_120
.LBB15_679:
	s_trap 2
	s_sendmsg_rtn_b32 s0, sendmsg(MSG_RTN_GET_DOORBELL)
	s_mov_b32 ttmp2, m0
	s_waitcnt lgkmcnt(0)
	s_and_b32 s0, s0, 0x3ff
	s_delay_alu instid0(SALU_CYCLE_1) | instskip(NEXT) | instid1(SALU_CYCLE_1)
	s_bitset1_b32 s0, 10
	s_mov_b32 m0, s0
	s_sendmsg sendmsg(MSG_INTERRUPT)
	s_mov_b32 m0, ttmp2
.LBB15_680:                             ; =>This Inner Loop Header: Depth=1
	s_sethalt 5
	s_branch .LBB15_680
.LBB15_681:
	s_mov_b32 s9, -1
	s_mov_b32 s8, 0
                                        ; implicit-def: $sgpr10
.LBB15_682:
	v_mov_b32_e32 v4, s10
	s_and_not1_b32 vcc_lo, exec_lo, s9
                                        ; implicit-def: $sgpr9
	s_cbranch_vccnz .LBB15_684
; %bb.683:
	v_add_f32_e64 v4, 0x42800000, |s5|
	s_mov_b32 s9, 0
	s_delay_alu instid0(VALU_DEP_1) | instskip(NEXT) | instid1(VALU_DEP_1)
	v_and_b32_e32 v4, 0xff, v4
	v_cmp_ne_u32_e64 s8, 0, v4
.LBB15_684:
	v_mov_b32_e32 v6, s9
	s_delay_alu instid0(VALU_DEP_2)
	s_and_not1_b32 vcc_lo, exec_lo, s8
	s_cbranch_vccnz .LBB15_686
; %bb.685:
	s_lshr_b32 s5, s5, 24
	s_delay_alu instid0(SALU_CYCLE_1) | instskip(NEXT) | instid1(SALU_CYCLE_1)
	s_and_b32 s5, s5, 0x80
	v_or_b32_e32 v6, s5, v4
.LBB15_686:
	s_mov_b32 s5, 0
	global_store_b8 v[2:3], v6, off
.LBB15_687:
	s_and_b32 vcc_lo, exec_lo, s5
	s_cbranch_vccz .LBB15_699
; %bb.688:
	s_bfe_i32 s5, s2, 0x80000
	s_delay_alu instid0(SALU_CYCLE_1) | instskip(NEXT) | instid1(SALU_CYCLE_1)
	s_sext_i32_i16 s5, s5
	v_cvt_f32_i32_e32 v4, s5
	s_delay_alu instid0(VALU_DEP_1) | instskip(NEXT) | instid1(VALU_DEP_1)
	v_readfirstlane_b32 s5, v4
	s_and_b32 s8, s5, 0x7fffffff
	s_delay_alu instid0(SALU_CYCLE_1)
	s_cmp_lt_u32 s8, 0x43f00000
	s_cbranch_scc0 .LBB15_691
; %bb.689:
	s_cmp_gt_u32 s8, 0x3c7fffff
	s_cbranch_scc0 .LBB15_692
; %bb.690:
	s_bfe_u32 s9, s5, 0x10014
	s_delay_alu instid0(SALU_CYCLE_1) | instskip(NEXT) | instid1(SALU_CYCLE_1)
	s_add_i32 s9, s5, s9
	s_add_i32 s9, s9, 0x407ffff
	s_delay_alu instid0(SALU_CYCLE_1)
	s_and_b32 s10, s9, 0xff00000
	s_lshr_b32 s9, s9, 20
	s_cmp_lg_u32 s10, 0x7f00000
	s_cselect_b32 s10, s9, 0x7e
	s_mov_b32 s9, 0
	s_branch .LBB15_693
.LBB15_691:
	s_mov_b32 s9, -1
                                        ; implicit-def: $vgpr6
	s_branch .LBB15_696
.LBB15_692:
	s_mov_b32 s9, -1
                                        ; implicit-def: $sgpr10
.LBB15_693:
	v_mov_b32_e32 v6, s10
	s_and_not1_b32 vcc_lo, exec_lo, s9
	s_cbranch_vccnz .LBB15_695
; %bb.694:
	v_add_f32_e64 v6, 0x46800000, |v4|
.LBB15_695:
	s_mov_b32 s9, 0
.LBB15_696:
	s_delay_alu instid0(SALU_CYCLE_1)
	s_and_not1_b32 vcc_lo, exec_lo, s9
	s_cbranch_vccnz .LBB15_698
; %bb.697:
	s_cmp_gt_u32 s8, 0x7f800000
	s_movk_i32 s8, 0x7f
	s_delay_alu instid0(SALU_CYCLE_1) | instskip(NEXT) | instid1(SALU_CYCLE_1)
	s_cselect_b32 s8, s8, 0x7e
	v_mov_b32_e32 v6, s8
.LBB15_698:
	s_lshr_b32 s5, s5, 24
	s_delay_alu instid0(SALU_CYCLE_1)
	s_and_b32 s5, s5, 0x80
	s_delay_alu instid0(VALU_DEP_1) | instid1(SALU_CYCLE_1)
	v_or_b32_e32 v4, s5, v6
	global_store_b8 v[2:3], v4, off
.LBB15_699:
	s_mov_b32 s5, 0
.LBB15_700:
	s_delay_alu instid0(SALU_CYCLE_1)
	s_and_not1_b32 vcc_lo, exec_lo, s5
	s_cbranch_vccnz .LBB15_712
; %bb.701:
	s_bfe_i32 s5, s2, 0x80000
	s_delay_alu instid0(SALU_CYCLE_1) | instskip(NEXT) | instid1(SALU_CYCLE_1)
	s_sext_i32_i16 s5, s5
	v_cvt_f32_i32_e32 v4, s5
	s_delay_alu instid0(VALU_DEP_1) | instskip(NEXT) | instid1(VALU_DEP_1)
	v_readfirstlane_b32 s5, v4
	s_and_b32 s8, s5, 0x7fffffff
	s_delay_alu instid0(SALU_CYCLE_1)
	s_cmp_lt_u32 s8, 0x47800000
	s_cbranch_scc0 .LBB15_704
; %bb.702:
	s_cmp_gt_u32 s8, 0x387fffff
	s_cbranch_scc0 .LBB15_705
; %bb.703:
	s_bfe_u32 s9, s5, 0x10015
	s_delay_alu instid0(SALU_CYCLE_1) | instskip(NEXT) | instid1(SALU_CYCLE_1)
	s_add_i32 s9, s5, s9
	s_add_i32 s9, s9, 0x80fffff
	s_delay_alu instid0(SALU_CYCLE_1)
	s_lshr_b32 s10, s9, 21
	s_mov_b32 s9, 0
	s_branch .LBB15_706
.LBB15_704:
	s_mov_b32 s9, -1
                                        ; implicit-def: $vgpr6
	s_branch .LBB15_709
.LBB15_705:
	s_mov_b32 s9, -1
                                        ; implicit-def: $sgpr10
.LBB15_706:
	v_mov_b32_e32 v6, s10
	s_and_not1_b32 vcc_lo, exec_lo, s9
	s_cbranch_vccnz .LBB15_708
; %bb.707:
	v_add_f32_e64 v6, 0x43000000, |v4|
.LBB15_708:
	s_mov_b32 s9, 0
.LBB15_709:
	s_delay_alu instid0(SALU_CYCLE_1)
	s_and_not1_b32 vcc_lo, exec_lo, s9
	s_cbranch_vccnz .LBB15_711
; %bb.710:
	s_cmp_gt_u32 s8, 0x7f800000
	s_movk_i32 s8, 0x7f
	s_delay_alu instid0(SALU_CYCLE_1) | instskip(NEXT) | instid1(SALU_CYCLE_1)
	s_cselect_b32 s8, s8, 0x7c
	v_mov_b32_e32 v6, s8
.LBB15_711:
	s_lshr_b32 s5, s5, 24
	s_delay_alu instid0(SALU_CYCLE_1)
	s_and_b32 s5, s5, 0x80
	s_delay_alu instid0(VALU_DEP_1) | instid1(SALU_CYCLE_1)
	v_or_b32_e32 v4, s5, v6
	global_store_b8 v[2:3], v4, off
.LBB15_712:
	s_mov_b32 s5, 0
	s_mov_b32 s8, -1
.LBB15_713:
	s_and_not1_b32 vcc_lo, exec_lo, s5
	s_mov_b32 s5, 0
	s_cbranch_vccnz .LBB15_720
; %bb.714:
	v_cmp_lt_i16_e32 vcc_lo, 14, v5
	s_mov_b32 s5, -1
	s_cbranch_vccz .LBB15_718
; %bb.715:
	v_cmp_eq_u16_e32 vcc_lo, 15, v5
	s_mov_b32 s4, -1
	s_cbranch_vccz .LBB15_717
; %bb.716:
	s_bfe_i32 s4, s2, 0x80000
	s_mov_b32 s8, -1
	s_sext_i32_i16 s4, s4
	s_delay_alu instid0(SALU_CYCLE_1) | instskip(SKIP_1) | instid1(VALU_DEP_1)
	v_cvt_f32_i32_e32 v4, s4
	s_mov_b32 s4, 0
	v_bfe_u32 v6, v4, 16, 1
	s_delay_alu instid0(VALU_DEP_1) | instskip(NEXT) | instid1(VALU_DEP_1)
	v_add_nc_u32_e32 v4, v4, v6
	v_add_nc_u32_e32 v4, 0x7fff, v4
	global_store_d16_hi_b16 v[2:3], v4, off
.LBB15_717:
	s_mov_b32 s5, 0
.LBB15_718:
	s_delay_alu instid0(SALU_CYCLE_1)
	s_and_b32 vcc_lo, exec_lo, s5
	s_mov_b32 s5, 0
	s_cbranch_vccz .LBB15_720
; %bb.719:
	v_cmp_ne_u16_e64 s4, 11, v5
	s_mov_b32 s5, -1
.LBB15_720:
	s_delay_alu instid0(VALU_DEP_1)
	s_and_b32 vcc_lo, exec_lo, s4
	s_cbranch_vccnz .LBB15_792
; %bb.721:
	s_and_not1_b32 vcc_lo, exec_lo, s5
	s_cbranch_vccnz .LBB15_723
.LBB15_722:
	v_and_b32_e64 v4, 0xff, s2
	s_mov_b32 s8, -1
	s_delay_alu instid0(VALU_DEP_1)
	v_cmp_ne_u16_e32 vcc_lo, 0, v4
	v_cndmask_b32_e64 v4, 0, 1, vcc_lo
	global_store_b8 v[2:3], v4, off
.LBB15_723:
	s_mov_b32 s4, 0
.LBB15_724:
	s_delay_alu instid0(SALU_CYCLE_1)
	s_and_b32 vcc_lo, exec_lo, s4
	s_cbranch_vccz .LBB15_763
; %bb.725:
	v_cmp_gt_i16_e32 vcc_lo, 5, v5
	s_mov_b32 s4, -1
	s_cbranch_vccnz .LBB15_746
; %bb.726:
	v_cmp_gt_i16_e32 vcc_lo, 8, v5
	s_cbranch_vccnz .LBB15_736
; %bb.727:
	v_cmp_gt_i16_e32 vcc_lo, 9, v5
	s_cbranch_vccnz .LBB15_733
; %bb.728:
	v_cmp_lt_i16_e32 vcc_lo, 9, v5
	s_cbranch_vccz .LBB15_730
; %bb.729:
	s_bfe_i32 s4, s2, 0x80000
	v_mov_b32_e32 v8, 0
	s_sext_i32_i16 s4, s4
	s_delay_alu instid0(SALU_CYCLE_1) | instskip(SKIP_1) | instid1(VALU_DEP_2)
	v_cvt_f64_i32_e32 v[6:7], s4
	s_mov_b32 s4, 0
	v_mov_b32_e32 v9, v8
	global_store_b128 v[2:3], v[6:9], off
.LBB15_730:
	s_and_not1_b32 vcc_lo, exec_lo, s4
	s_cbranch_vccnz .LBB15_732
; %bb.731:
	s_bfe_i32 s4, s2, 0x80000
	v_mov_b32_e32 v7, 0
	s_sext_i32_i16 s4, s4
	s_delay_alu instid0(SALU_CYCLE_1)
	v_cvt_f32_i32_e32 v6, s4
	global_store_b64 v[2:3], v[6:7], off
.LBB15_732:
	s_mov_b32 s4, 0
.LBB15_733:
	s_delay_alu instid0(SALU_CYCLE_1)
	s_and_not1_b32 vcc_lo, exec_lo, s4
	s_cbranch_vccnz .LBB15_735
; %bb.734:
	s_bfe_i32 s4, s2, 0x80000
	s_delay_alu instid0(SALU_CYCLE_1) | instskip(NEXT) | instid1(VALU_DEP_1)
	v_cvt_f16_i16_e32 v4, s4
	v_and_b32_e32 v4, 0xffff, v4
	global_store_b32 v[2:3], v4, off
.LBB15_735:
	s_mov_b32 s4, 0
.LBB15_736:
	s_delay_alu instid0(SALU_CYCLE_1)
	s_and_not1_b32 vcc_lo, exec_lo, s4
	s_cbranch_vccnz .LBB15_745
; %bb.737:
	v_cmp_gt_i16_e32 vcc_lo, 6, v5
	s_mov_b32 s4, -1
	s_cbranch_vccnz .LBB15_743
; %bb.738:
	v_cmp_lt_i16_e32 vcc_lo, 6, v5
	s_cbranch_vccz .LBB15_740
; %bb.739:
	s_bfe_i32 s4, s2, 0x80000
	s_delay_alu instid0(SALU_CYCLE_1) | instskip(NEXT) | instid1(SALU_CYCLE_1)
	s_sext_i32_i16 s4, s4
	v_cvt_f64_i32_e32 v[6:7], s4
	s_mov_b32 s4, 0
	global_store_b64 v[2:3], v[6:7], off
.LBB15_740:
	s_and_not1_b32 vcc_lo, exec_lo, s4
	s_cbranch_vccnz .LBB15_742
; %bb.741:
	s_bfe_i32 s4, s2, 0x80000
	s_delay_alu instid0(SALU_CYCLE_1) | instskip(NEXT) | instid1(SALU_CYCLE_1)
	s_sext_i32_i16 s4, s4
	v_cvt_f32_i32_e32 v4, s4
	global_store_b32 v[2:3], v4, off
.LBB15_742:
	s_mov_b32 s4, 0
.LBB15_743:
	s_delay_alu instid0(SALU_CYCLE_1)
	s_and_not1_b32 vcc_lo, exec_lo, s4
	s_cbranch_vccnz .LBB15_745
; %bb.744:
	s_bfe_i32 s4, s2, 0x80000
	s_delay_alu instid0(SALU_CYCLE_1)
	v_cvt_f16_i16_e32 v4, s4
	global_store_b16 v[2:3], v4, off
.LBB15_745:
	s_mov_b32 s4, 0
.LBB15_746:
	s_delay_alu instid0(SALU_CYCLE_1)
	s_and_not1_b32 vcc_lo, exec_lo, s4
	s_cbranch_vccnz .LBB15_762
; %bb.747:
	v_cmp_gt_i16_e32 vcc_lo, 2, v5
	s_mov_b32 s4, -1
	s_cbranch_vccnz .LBB15_757
; %bb.748:
	v_cmp_gt_i16_e32 vcc_lo, 3, v5
	s_cbranch_vccnz .LBB15_754
; %bb.749:
	v_cmp_lt_i16_e32 vcc_lo, 3, v5
	s_cbranch_vccz .LBB15_751
; %bb.750:
	v_mov_b32_e32 v4, s2
	s_mov_b32 s4, 0
	s_delay_alu instid0(VALU_DEP_1) | instskip(NEXT) | instid1(VALU_DEP_1)
	v_bfe_i32 v6, v4, 0, 8
	v_ashrrev_i32_e32 v7, 31, v6
	global_store_b64 v[2:3], v[6:7], off
.LBB15_751:
	s_and_not1_b32 vcc_lo, exec_lo, s4
	s_cbranch_vccnz .LBB15_753
; %bb.752:
	s_sext_i32_i8 s4, s2
	s_delay_alu instid0(SALU_CYCLE_1)
	v_mov_b32_e32 v4, s4
	global_store_b32 v[2:3], v4, off
.LBB15_753:
	s_mov_b32 s4, 0
.LBB15_754:
	s_delay_alu instid0(SALU_CYCLE_1)
	s_and_not1_b32 vcc_lo, exec_lo, s4
	s_cbranch_vccnz .LBB15_756
; %bb.755:
	s_bfe_i32 s4, s2, 0x80000
	s_delay_alu instid0(SALU_CYCLE_1)
	v_mov_b32_e32 v4, s4
	global_store_b16 v[2:3], v4, off
.LBB15_756:
	s_mov_b32 s4, 0
.LBB15_757:
	s_delay_alu instid0(SALU_CYCLE_1)
	s_and_not1_b32 vcc_lo, exec_lo, s4
	s_cbranch_vccnz .LBB15_762
; %bb.758:
	v_cmp_lt_i16_e32 vcc_lo, 0, v5
	s_mov_b32 s4, -1
	s_cbranch_vccz .LBB15_760
; %bb.759:
	v_mov_b32_e32 v4, s2
	s_mov_b32 s4, 0
	global_store_b8 v[2:3], v4, off
.LBB15_760:
	s_and_not1_b32 vcc_lo, exec_lo, s4
	s_cbranch_vccnz .LBB15_762
; %bb.761:
	v_mov_b32_e32 v4, s2
	global_store_b8 v[2:3], v4, off
.LBB15_762:
	s_mov_b32 s8, -1
.LBB15_763:
	s_delay_alu instid0(SALU_CYCLE_1)
	s_and_not1_b32 vcc_lo, exec_lo, s8
	s_cbranch_vccnz .LBB15_923
; %bb.764:
	v_cmp_gt_i16_e32 vcc_lo, 11, v5
	v_add_co_u32 v1, s4, s0, v1
	s_delay_alu instid0(VALU_DEP_1)
	v_add_co_ci_u32_e64 v2, null, s1, 0, s4
	s_mov_b32 s8, 0
	s_mov_b32 s4, -1
	s_cbranch_vccnz .LBB15_854
; %bb.765:
	v_cmp_lt_i16_e32 vcc_lo, 25, v5
	s_mov_b32 s9, -1
	s_mov_b32 s5, 0
	s_mov_b32 s4, 0
	s_cbranch_vccz .LBB15_804
; %bb.766:
	v_cmp_lt_i16_e32 vcc_lo, 28, v5
	s_cbranch_vccz .LBB15_781
; %bb.767:
	v_cmp_lt_i16_e32 vcc_lo, 43, v5
	;; [unrolled: 3-line block ×3, first 2 shown]
	s_cbranch_vccz .LBB15_771
; %bb.769:
	v_cmp_eq_u16_e32 vcc_lo, 46, v5
	s_mov_b32 s4, -1
	s_mov_b32 s9, 0
	s_cbranch_vccz .LBB15_771
; %bb.770:
	s_bfe_i32 s4, s2, 0x80000
	s_mov_b32 s8, -1
	s_sext_i32_i16 s4, s4
	s_delay_alu instid0(SALU_CYCLE_1) | instskip(SKIP_1) | instid1(VALU_DEP_1)
	v_cvt_f32_i32_e32 v3, s4
	s_mov_b32 s4, 0
	v_bfe_u32 v4, v3, 16, 1
	s_delay_alu instid0(VALU_DEP_1) | instskip(NEXT) | instid1(VALU_DEP_1)
	v_add_nc_u32_e32 v3, v3, v4
	v_add_nc_u32_e32 v3, 0x7fff, v3
	s_delay_alu instid0(VALU_DEP_1)
	v_lshrrev_b32_e32 v3, 16, v3
	global_store_b32 v[1:2], v3, off
.LBB15_771:
	s_and_b32 vcc_lo, exec_lo, s9
	s_cbranch_vccz .LBB15_776
; %bb.772:
	v_cmp_eq_u16_e32 vcc_lo, 44, v5
	s_mov_b32 s4, -1
	s_cbranch_vccz .LBB15_776
; %bb.773:
	s_bfe_i32 s4, s2, 0x80000
	v_mov_b32_e32 v4, 0xff
	s_sext_i32_i16 s4, s4
	s_delay_alu instid0(SALU_CYCLE_1) | instskip(NEXT) | instid1(VALU_DEP_1)
	v_cvt_f32_i32_e32 v3, s4
	v_readfirstlane_b32 s4, v3
	s_delay_alu instid0(VALU_DEP_1) | instskip(NEXT) | instid1(SALU_CYCLE_1)
	s_bfe_u32 s8, s4, 0x80017
	s_cmpk_eq_i32 s8, 0xff
	s_cbranch_scc1 .LBB15_775
; %bb.774:
	s_bitcmp1_b32 s4, 22
	v_lshrrev_b32_e32 v3, 23, v3
	s_cselect_b32 s9, -1, 0
	s_and_b32 s4, s4, 0x3fffff
	s_delay_alu instid0(SALU_CYCLE_1) | instskip(NEXT) | instid1(SALU_CYCLE_1)
	s_or_b32 s4, s8, s4
	s_cmp_lg_u32 s4, 0
	s_cselect_b32 s4, -1, 0
	s_delay_alu instid0(SALU_CYCLE_1) | instskip(NEXT) | instid1(SALU_CYCLE_1)
	s_and_b32 s4, s9, s4
	v_cndmask_b32_e64 v4, 0, 1, s4
	s_delay_alu instid0(VALU_DEP_1)
	v_add_nc_u32_e32 v4, v3, v4
.LBB15_775:
	s_mov_b32 s4, 0
	s_mov_b32 s8, -1
	global_store_b8 v[1:2], v4, off
.LBB15_776:
	s_mov_b32 s9, 0
.LBB15_777:
	s_delay_alu instid0(SALU_CYCLE_1)
	s_and_b32 vcc_lo, exec_lo, s9
	s_cbranch_vccz .LBB15_780
; %bb.778:
	v_cmp_eq_u16_e32 vcc_lo, 29, v5
	s_mov_b32 s4, -1
	s_cbranch_vccz .LBB15_780
; %bb.779:
	v_mov_b32_e32 v3, s2
	s_mov_b32 s4, 0
	s_mov_b32 s8, -1
	s_delay_alu instid0(VALU_DEP_1) | instskip(NEXT) | instid1(VALU_DEP_1)
	v_bfe_i32 v3, v3, 0, 8
	v_ashrrev_i32_e32 v4, 31, v3
	global_store_b64 v[1:2], v[3:4], off
.LBB15_780:
	s_mov_b32 s9, 0
.LBB15_781:
	s_delay_alu instid0(SALU_CYCLE_1)
	s_and_b32 vcc_lo, exec_lo, s9
	s_cbranch_vccz .LBB15_803
; %bb.782:
	v_cmp_gt_i16_e32 vcc_lo, 27, v5
	s_mov_b32 s8, -1
	s_cbranch_vccnz .LBB15_788
; %bb.783:
	v_cmp_lt_i16_e32 vcc_lo, 27, v5
	s_cbranch_vccz .LBB15_785
; %bb.784:
	s_sext_i32_i8 s8, s2
	s_delay_alu instid0(SALU_CYCLE_1)
	v_mov_b32_e32 v3, s8
	s_mov_b32 s8, 0
	global_store_b32 v[1:2], v3, off
.LBB15_785:
	s_and_not1_b32 vcc_lo, exec_lo, s8
	s_cbranch_vccnz .LBB15_787
; %bb.786:
	s_bfe_i32 s8, s2, 0x80000
	s_delay_alu instid0(SALU_CYCLE_1)
	v_mov_b32_e32 v3, s8
	global_store_b16 v[1:2], v3, off
.LBB15_787:
	s_mov_b32 s8, 0
.LBB15_788:
	s_delay_alu instid0(SALU_CYCLE_1)
	s_and_not1_b32 vcc_lo, exec_lo, s8
	s_cbranch_vccnz .LBB15_802
; %bb.789:
	s_bfe_i32 s8, s2, 0x80000
	v_mov_b32_e32 v4, 0x80
	s_sext_i32_i16 s8, s8
	s_delay_alu instid0(SALU_CYCLE_1) | instskip(NEXT) | instid1(VALU_DEP_1)
	v_cvt_f32_i32_e32 v3, s8
	v_readfirstlane_b32 s8, v3
	s_delay_alu instid0(VALU_DEP_1) | instskip(NEXT) | instid1(SALU_CYCLE_1)
	s_and_b32 s9, s8, 0x7fffffff
	s_cmp_gt_u32 s9, 0x437fffff
	s_cbranch_scc1 .LBB15_801
; %bb.790:
	s_cmp_gt_u32 s9, 0x3bffffff
	s_cbranch_scc0 .LBB15_796
; %bb.791:
	s_bfe_u32 s9, s8, 0x10014
	s_mov_b32 s10, 0
	s_add_i32 s9, s8, s9
	s_delay_alu instid0(SALU_CYCLE_1) | instskip(NEXT) | instid1(SALU_CYCLE_1)
	s_add_i32 s9, s9, 0x487ffff
	s_lshr_b32 s11, s9, 20
	s_mov_b32 s9, -1
	s_branch .LBB15_797
.LBB15_792:
	s_cbranch_execnz .LBB15_794
; %bb.793:
	s_or_b32 s3, s3, exec_lo
	s_cbranch_execz .LBB15_722
	s_branch .LBB15_723
.LBB15_794:
	s_trap 2
	s_sendmsg_rtn_b32 s0, sendmsg(MSG_RTN_GET_DOORBELL)
	s_mov_b32 ttmp2, m0
	s_waitcnt lgkmcnt(0)
	s_and_b32 s0, s0, 0x3ff
	s_delay_alu instid0(SALU_CYCLE_1) | instskip(NEXT) | instid1(SALU_CYCLE_1)
	s_bitset1_b32 s0, 10
	s_mov_b32 m0, s0
	s_sendmsg sendmsg(MSG_INTERRUPT)
	s_mov_b32 m0, ttmp2
.LBB15_795:                             ; =>This Inner Loop Header: Depth=1
	s_sethalt 5
	s_branch .LBB15_795
.LBB15_796:
	s_mov_b32 s10, -1
	s_mov_b32 s9, 0
                                        ; implicit-def: $sgpr11
.LBB15_797:
	v_mov_b32_e32 v3, s11
	s_and_not1_b32 vcc_lo, exec_lo, s10
                                        ; implicit-def: $sgpr10
	s_cbranch_vccnz .LBB15_799
; %bb.798:
	v_add_f32_e64 v3, 0x46000000, |s8|
	s_mov_b32 s10, 0
	s_delay_alu instid0(VALU_DEP_1) | instskip(NEXT) | instid1(VALU_DEP_1)
	v_and_b32_e32 v3, 0xff, v3
	v_cmp_ne_u32_e64 s9, 0, v3
.LBB15_799:
	v_mov_b32_e32 v4, s10
	s_delay_alu instid0(VALU_DEP_2)
	s_and_not1_b32 vcc_lo, exec_lo, s9
	s_cbranch_vccnz .LBB15_801
; %bb.800:
	s_lshr_b32 s8, s8, 24
	s_delay_alu instid0(SALU_CYCLE_1) | instskip(NEXT) | instid1(SALU_CYCLE_1)
	s_and_b32 s8, s8, 0x80
	v_or_b32_e32 v4, s8, v3
.LBB15_801:
	global_store_b8 v[1:2], v4, off
.LBB15_802:
	s_mov_b32 s8, -1
.LBB15_803:
	s_mov_b32 s9, 0
.LBB15_804:
	s_delay_alu instid0(SALU_CYCLE_1)
	s_and_b32 vcc_lo, exec_lo, s9
	s_cbranch_vccz .LBB15_850
; %bb.805:
	v_cmp_lt_i16_e32 vcc_lo, 22, v5
	s_mov_b32 s5, -1
	s_cbranch_vccz .LBB15_843
; %bb.806:
	v_cmp_gt_i16_e32 vcc_lo, 24, v5
	s_cbranch_vccnz .LBB15_830
; %bb.807:
	v_cmp_lt_i16_e32 vcc_lo, 24, v5
	s_cbranch_vccz .LBB15_817
; %bb.808:
	s_bfe_i32 s5, s2, 0x80000
	v_mov_b32_e32 v4, 0x80
	s_sext_i32_i16 s5, s5
	s_delay_alu instid0(SALU_CYCLE_1) | instskip(NEXT) | instid1(VALU_DEP_1)
	v_cvt_f32_i32_e32 v3, s5
	v_readfirstlane_b32 s5, v3
	s_delay_alu instid0(VALU_DEP_1) | instskip(NEXT) | instid1(SALU_CYCLE_1)
	s_and_b32 s8, s5, 0x7fffffff
	s_cmp_gt_u32 s8, 0x477fffff
	s_cbranch_scc1 .LBB15_816
; %bb.809:
	s_cmp_gt_u32 s8, 0x37ffffff
	s_cbranch_scc0 .LBB15_811
; %bb.810:
	s_bfe_u32 s8, s5, 0x10015
	s_mov_b32 s9, 0
	s_add_i32 s8, s5, s8
	s_delay_alu instid0(SALU_CYCLE_1) | instskip(NEXT) | instid1(SALU_CYCLE_1)
	s_add_i32 s8, s8, 0x88fffff
	s_lshr_b32 s10, s8, 21
	s_mov_b32 s8, -1
	s_branch .LBB15_812
.LBB15_811:
	s_mov_b32 s9, -1
	s_mov_b32 s8, 0
                                        ; implicit-def: $sgpr10
.LBB15_812:
	v_mov_b32_e32 v3, s10
	s_and_not1_b32 vcc_lo, exec_lo, s9
                                        ; implicit-def: $sgpr9
	s_cbranch_vccnz .LBB15_814
; %bb.813:
	v_add_f32_e64 v3, 0x42800000, |s5|
	s_mov_b32 s9, 0
	s_delay_alu instid0(VALU_DEP_1) | instskip(NEXT) | instid1(VALU_DEP_1)
	v_and_b32_e32 v3, 0xff, v3
	v_cmp_ne_u32_e64 s8, 0, v3
.LBB15_814:
	v_mov_b32_e32 v4, s9
	s_delay_alu instid0(VALU_DEP_2)
	s_and_not1_b32 vcc_lo, exec_lo, s8
	s_cbranch_vccnz .LBB15_816
; %bb.815:
	s_lshr_b32 s5, s5, 24
	s_delay_alu instid0(SALU_CYCLE_1) | instskip(NEXT) | instid1(SALU_CYCLE_1)
	s_and_b32 s5, s5, 0x80
	v_or_b32_e32 v4, s5, v3
.LBB15_816:
	s_mov_b32 s5, 0
	global_store_b8 v[1:2], v4, off
.LBB15_817:
	s_and_b32 vcc_lo, exec_lo, s5
	s_cbranch_vccz .LBB15_829
; %bb.818:
	s_bfe_i32 s5, s2, 0x80000
	s_delay_alu instid0(SALU_CYCLE_1) | instskip(NEXT) | instid1(SALU_CYCLE_1)
	s_sext_i32_i16 s5, s5
	v_cvt_f32_i32_e32 v3, s5
	s_delay_alu instid0(VALU_DEP_1) | instskip(NEXT) | instid1(VALU_DEP_1)
	v_readfirstlane_b32 s5, v3
	s_and_b32 s8, s5, 0x7fffffff
	s_delay_alu instid0(SALU_CYCLE_1)
	s_cmp_lt_u32 s8, 0x43f00000
	s_cbranch_scc0 .LBB15_821
; %bb.819:
	s_cmp_gt_u32 s8, 0x3c7fffff
	s_cbranch_scc0 .LBB15_822
; %bb.820:
	s_bfe_u32 s9, s5, 0x10014
	s_delay_alu instid0(SALU_CYCLE_1) | instskip(NEXT) | instid1(SALU_CYCLE_1)
	s_add_i32 s9, s5, s9
	s_add_i32 s9, s9, 0x407ffff
	s_delay_alu instid0(SALU_CYCLE_1)
	s_and_b32 s10, s9, 0xff00000
	s_lshr_b32 s9, s9, 20
	s_cmp_lg_u32 s10, 0x7f00000
	s_cselect_b32 s10, s9, 0x7e
	s_mov_b32 s9, 0
	s_branch .LBB15_823
.LBB15_821:
	s_mov_b32 s9, -1
                                        ; implicit-def: $vgpr4
	s_branch .LBB15_826
.LBB15_822:
	s_mov_b32 s9, -1
                                        ; implicit-def: $sgpr10
.LBB15_823:
	v_mov_b32_e32 v4, s10
	s_and_not1_b32 vcc_lo, exec_lo, s9
	s_cbranch_vccnz .LBB15_825
; %bb.824:
	v_add_f32_e64 v4, 0x46800000, |v3|
.LBB15_825:
	s_mov_b32 s9, 0
.LBB15_826:
	s_delay_alu instid0(SALU_CYCLE_1)
	s_and_not1_b32 vcc_lo, exec_lo, s9
	s_cbranch_vccnz .LBB15_828
; %bb.827:
	s_cmp_gt_u32 s8, 0x7f800000
	s_movk_i32 s8, 0x7f
	s_delay_alu instid0(SALU_CYCLE_1) | instskip(NEXT) | instid1(SALU_CYCLE_1)
	s_cselect_b32 s8, s8, 0x7e
	v_mov_b32_e32 v4, s8
.LBB15_828:
	s_lshr_b32 s5, s5, 24
	s_delay_alu instid0(SALU_CYCLE_1)
	s_and_b32 s5, s5, 0x80
	s_delay_alu instid0(VALU_DEP_1) | instid1(SALU_CYCLE_1)
	v_or_b32_e32 v3, s5, v4
	global_store_b8 v[1:2], v3, off
.LBB15_829:
	s_mov_b32 s5, 0
.LBB15_830:
	s_delay_alu instid0(SALU_CYCLE_1)
	s_and_not1_b32 vcc_lo, exec_lo, s5
	s_cbranch_vccnz .LBB15_842
; %bb.831:
	s_bfe_i32 s5, s2, 0x80000
	s_delay_alu instid0(SALU_CYCLE_1) | instskip(NEXT) | instid1(SALU_CYCLE_1)
	s_sext_i32_i16 s5, s5
	v_cvt_f32_i32_e32 v3, s5
	s_delay_alu instid0(VALU_DEP_1) | instskip(NEXT) | instid1(VALU_DEP_1)
	v_readfirstlane_b32 s5, v3
	s_and_b32 s8, s5, 0x7fffffff
	s_delay_alu instid0(SALU_CYCLE_1)
	s_cmp_lt_u32 s8, 0x47800000
	s_cbranch_scc0 .LBB15_834
; %bb.832:
	s_cmp_gt_u32 s8, 0x387fffff
	s_cbranch_scc0 .LBB15_835
; %bb.833:
	s_bfe_u32 s9, s5, 0x10015
	s_delay_alu instid0(SALU_CYCLE_1) | instskip(NEXT) | instid1(SALU_CYCLE_1)
	s_add_i32 s9, s5, s9
	s_add_i32 s9, s9, 0x80fffff
	s_delay_alu instid0(SALU_CYCLE_1)
	s_lshr_b32 s10, s9, 21
	s_mov_b32 s9, 0
	s_branch .LBB15_836
.LBB15_834:
	s_mov_b32 s9, -1
                                        ; implicit-def: $vgpr4
	s_branch .LBB15_839
.LBB15_835:
	s_mov_b32 s9, -1
                                        ; implicit-def: $sgpr10
.LBB15_836:
	v_mov_b32_e32 v4, s10
	s_and_not1_b32 vcc_lo, exec_lo, s9
	s_cbranch_vccnz .LBB15_838
; %bb.837:
	v_add_f32_e64 v4, 0x43000000, |v3|
.LBB15_838:
	s_mov_b32 s9, 0
.LBB15_839:
	s_delay_alu instid0(SALU_CYCLE_1)
	s_and_not1_b32 vcc_lo, exec_lo, s9
	s_cbranch_vccnz .LBB15_841
; %bb.840:
	s_cmp_gt_u32 s8, 0x7f800000
	s_movk_i32 s8, 0x7f
	s_delay_alu instid0(SALU_CYCLE_1) | instskip(NEXT) | instid1(SALU_CYCLE_1)
	s_cselect_b32 s8, s8, 0x7c
	v_mov_b32_e32 v4, s8
.LBB15_841:
	s_lshr_b32 s5, s5, 24
	s_delay_alu instid0(SALU_CYCLE_1)
	s_and_b32 s5, s5, 0x80
	s_delay_alu instid0(VALU_DEP_1) | instid1(SALU_CYCLE_1)
	v_or_b32_e32 v3, s5, v4
	global_store_b8 v[1:2], v3, off
.LBB15_842:
	s_mov_b32 s5, 0
	s_mov_b32 s8, -1
.LBB15_843:
	s_and_not1_b32 vcc_lo, exec_lo, s5
	s_mov_b32 s5, 0
	s_cbranch_vccnz .LBB15_850
; %bb.844:
	v_cmp_lt_i16_e32 vcc_lo, 14, v5
	s_mov_b32 s5, -1
	s_cbranch_vccz .LBB15_848
; %bb.845:
	v_cmp_eq_u16_e32 vcc_lo, 15, v5
	s_mov_b32 s4, -1
	s_cbranch_vccz .LBB15_847
; %bb.846:
	s_bfe_i32 s4, s2, 0x80000
	s_mov_b32 s8, -1
	s_sext_i32_i16 s4, s4
	s_delay_alu instid0(SALU_CYCLE_1) | instskip(SKIP_1) | instid1(VALU_DEP_1)
	v_cvt_f32_i32_e32 v3, s4
	s_mov_b32 s4, 0
	v_bfe_u32 v4, v3, 16, 1
	s_delay_alu instid0(VALU_DEP_1) | instskip(NEXT) | instid1(VALU_DEP_1)
	v_add_nc_u32_e32 v3, v3, v4
	v_add_nc_u32_e32 v3, 0x7fff, v3
	global_store_d16_hi_b16 v[1:2], v3, off
.LBB15_847:
	s_mov_b32 s5, 0
.LBB15_848:
	s_delay_alu instid0(SALU_CYCLE_1)
	s_and_b32 vcc_lo, exec_lo, s5
	s_mov_b32 s5, 0
	s_cbranch_vccz .LBB15_850
; %bb.849:
	v_cmp_ne_u16_e64 s4, 11, v5
	s_mov_b32 s5, -1
.LBB15_850:
	s_delay_alu instid0(VALU_DEP_1)
	s_and_b32 vcc_lo, exec_lo, s4
	s_cbranch_vccnz .LBB15_968
; %bb.851:
	s_and_not1_b32 vcc_lo, exec_lo, s5
	s_cbranch_vccnz .LBB15_853
.LBB15_852:
	v_and_b32_e64 v3, 0xff, s2
	s_mov_b32 s8, -1
	s_delay_alu instid0(VALU_DEP_1)
	v_cmp_ne_u16_e32 vcc_lo, 0, v3
	v_cndmask_b32_e64 v3, 0, 1, vcc_lo
	global_store_b8 v[1:2], v3, off
.LBB15_853:
	s_mov_b32 s4, 0
.LBB15_854:
	s_delay_alu instid0(SALU_CYCLE_1)
	s_and_b32 vcc_lo, exec_lo, s4
	s_cbranch_vccz .LBB15_893
; %bb.855:
	v_cmp_gt_i16_e32 vcc_lo, 5, v5
	s_mov_b32 s4, -1
	s_cbranch_vccnz .LBB15_876
; %bb.856:
	v_cmp_gt_i16_e32 vcc_lo, 8, v5
	s_cbranch_vccnz .LBB15_866
; %bb.857:
	v_cmp_gt_i16_e32 vcc_lo, 9, v5
	s_cbranch_vccnz .LBB15_863
; %bb.858:
	v_cmp_lt_i16_e32 vcc_lo, 9, v5
	s_cbranch_vccz .LBB15_860
; %bb.859:
	s_bfe_i32 s4, s2, 0x80000
	v_mov_b32_e32 v8, 0
	s_sext_i32_i16 s4, s4
	s_delay_alu instid0(SALU_CYCLE_1) | instskip(SKIP_1) | instid1(VALU_DEP_2)
	v_cvt_f64_i32_e32 v[6:7], s4
	s_mov_b32 s4, 0
	v_mov_b32_e32 v9, v8
	global_store_b128 v[1:2], v[6:9], off
.LBB15_860:
	s_and_not1_b32 vcc_lo, exec_lo, s4
	s_cbranch_vccnz .LBB15_862
; %bb.861:
	s_bfe_i32 s4, s2, 0x80000
	v_mov_b32_e32 v4, 0
	s_sext_i32_i16 s4, s4
	s_delay_alu instid0(SALU_CYCLE_1)
	v_cvt_f32_i32_e32 v3, s4
	global_store_b64 v[1:2], v[3:4], off
.LBB15_862:
	s_mov_b32 s4, 0
.LBB15_863:
	s_delay_alu instid0(SALU_CYCLE_1)
	s_and_not1_b32 vcc_lo, exec_lo, s4
	s_cbranch_vccnz .LBB15_865
; %bb.864:
	s_bfe_i32 s4, s2, 0x80000
	s_delay_alu instid0(SALU_CYCLE_1) | instskip(NEXT) | instid1(VALU_DEP_1)
	v_cvt_f16_i16_e32 v3, s4
	v_and_b32_e32 v3, 0xffff, v3
	global_store_b32 v[1:2], v3, off
.LBB15_865:
	s_mov_b32 s4, 0
.LBB15_866:
	s_delay_alu instid0(SALU_CYCLE_1)
	s_and_not1_b32 vcc_lo, exec_lo, s4
	s_cbranch_vccnz .LBB15_875
; %bb.867:
	v_cmp_gt_i16_e32 vcc_lo, 6, v5
	s_mov_b32 s4, -1
	s_cbranch_vccnz .LBB15_873
; %bb.868:
	v_cmp_lt_i16_e32 vcc_lo, 6, v5
	s_cbranch_vccz .LBB15_870
; %bb.869:
	s_bfe_i32 s4, s2, 0x80000
	s_delay_alu instid0(SALU_CYCLE_1) | instskip(NEXT) | instid1(SALU_CYCLE_1)
	s_sext_i32_i16 s4, s4
	v_cvt_f64_i32_e32 v[3:4], s4
	s_mov_b32 s4, 0
	global_store_b64 v[1:2], v[3:4], off
.LBB15_870:
	s_and_not1_b32 vcc_lo, exec_lo, s4
	s_cbranch_vccnz .LBB15_872
; %bb.871:
	s_bfe_i32 s4, s2, 0x80000
	s_delay_alu instid0(SALU_CYCLE_1) | instskip(NEXT) | instid1(SALU_CYCLE_1)
	s_sext_i32_i16 s4, s4
	v_cvt_f32_i32_e32 v3, s4
	global_store_b32 v[1:2], v3, off
.LBB15_872:
	s_mov_b32 s4, 0
.LBB15_873:
	s_delay_alu instid0(SALU_CYCLE_1)
	s_and_not1_b32 vcc_lo, exec_lo, s4
	s_cbranch_vccnz .LBB15_875
; %bb.874:
	s_bfe_i32 s4, s2, 0x80000
	s_delay_alu instid0(SALU_CYCLE_1)
	v_cvt_f16_i16_e32 v3, s4
	global_store_b16 v[1:2], v3, off
.LBB15_875:
	s_mov_b32 s4, 0
.LBB15_876:
	s_delay_alu instid0(SALU_CYCLE_1)
	s_and_not1_b32 vcc_lo, exec_lo, s4
	s_cbranch_vccnz .LBB15_892
; %bb.877:
	v_cmp_gt_i16_e32 vcc_lo, 2, v5
	s_mov_b32 s4, -1
	s_cbranch_vccnz .LBB15_887
; %bb.878:
	v_cmp_gt_i16_e32 vcc_lo, 3, v5
	s_cbranch_vccnz .LBB15_884
; %bb.879:
	v_cmp_lt_i16_e32 vcc_lo, 3, v5
	s_cbranch_vccz .LBB15_881
; %bb.880:
	v_mov_b32_e32 v3, s2
	s_mov_b32 s4, 0
	s_delay_alu instid0(VALU_DEP_1) | instskip(NEXT) | instid1(VALU_DEP_1)
	v_bfe_i32 v3, v3, 0, 8
	v_ashrrev_i32_e32 v4, 31, v3
	global_store_b64 v[1:2], v[3:4], off
.LBB15_881:
	s_and_not1_b32 vcc_lo, exec_lo, s4
	s_cbranch_vccnz .LBB15_883
; %bb.882:
	s_sext_i32_i8 s4, s2
	s_delay_alu instid0(SALU_CYCLE_1)
	v_mov_b32_e32 v3, s4
	global_store_b32 v[1:2], v3, off
.LBB15_883:
	s_mov_b32 s4, 0
.LBB15_884:
	s_delay_alu instid0(SALU_CYCLE_1)
	s_and_not1_b32 vcc_lo, exec_lo, s4
	s_cbranch_vccnz .LBB15_886
; %bb.885:
	s_bfe_i32 s4, s2, 0x80000
	s_delay_alu instid0(SALU_CYCLE_1)
	v_mov_b32_e32 v3, s4
	global_store_b16 v[1:2], v3, off
.LBB15_886:
	s_mov_b32 s4, 0
.LBB15_887:
	s_delay_alu instid0(SALU_CYCLE_1)
	s_and_not1_b32 vcc_lo, exec_lo, s4
	s_cbranch_vccnz .LBB15_892
; %bb.888:
	v_cmp_lt_i16_e32 vcc_lo, 0, v5
	s_mov_b32 s4, -1
	s_cbranch_vccz .LBB15_890
; %bb.889:
	v_mov_b32_e32 v3, s2
	s_mov_b32 s4, 0
	global_store_b8 v[1:2], v3, off
.LBB15_890:
	s_and_not1_b32 vcc_lo, exec_lo, s4
	s_cbranch_vccnz .LBB15_892
; %bb.891:
	v_mov_b32_e32 v3, s2
	global_store_b8 v[1:2], v3, off
.LBB15_892:
	s_mov_b32 s8, -1
.LBB15_893:
	s_delay_alu instid0(SALU_CYCLE_1)
	s_and_not1_b32 vcc_lo, exec_lo, s8
	s_cbranch_vccnz .LBB15_923
; %bb.894:
	v_cmp_gt_i16_e32 vcc_lo, 11, v5
	v_add_co_u32 v0, s0, s0, v0
	s_delay_alu instid0(VALU_DEP_1)
	v_add_co_ci_u32_e64 v1, null, s1, 0, s0
	s_mov_b32 s4, 0
	s_mov_b32 s0, -1
	s_cbranch_vccnz .LBB15_924
; %bb.895:
	v_cmp_lt_i16_e32 vcc_lo, 25, v5
	s_mov_b32 s1, -1
	s_mov_b32 s0, 0
	s_cbranch_vccz .LBB15_979
; %bb.896:
	v_cmp_lt_i16_e32 vcc_lo, 28, v5
	s_cbranch_vccz .LBB15_912
; %bb.897:
	v_cmp_lt_i16_e32 vcc_lo, 43, v5
	;; [unrolled: 3-line block ×3, first 2 shown]
	s_cbranch_vccz .LBB15_902
; %bb.899:
	v_cmp_eq_u16_e32 vcc_lo, 46, v5
	s_mov_b32 s0, -1
	s_cbranch_vccz .LBB15_901
; %bb.900:
	s_bfe_i32 s0, s2, 0x80000
	s_delay_alu instid0(SALU_CYCLE_1) | instskip(NEXT) | instid1(SALU_CYCLE_1)
	s_sext_i32_i16 s0, s0
	v_cvt_f32_i32_e32 v2, s0
	s_mov_b32 s0, 0
	s_delay_alu instid0(VALU_DEP_1) | instskip(NEXT) | instid1(VALU_DEP_1)
	v_bfe_u32 v3, v2, 16, 1
	v_add_nc_u32_e32 v2, v2, v3
	s_delay_alu instid0(VALU_DEP_1) | instskip(NEXT) | instid1(VALU_DEP_1)
	v_add_nc_u32_e32 v2, 0x7fff, v2
	v_lshrrev_b32_e32 v2, 16, v2
	global_store_b32 v[0:1], v2, off
.LBB15_901:
	s_mov_b32 s1, 0
.LBB15_902:
	s_delay_alu instid0(SALU_CYCLE_1)
	s_and_b32 vcc_lo, exec_lo, s1
	s_cbranch_vccz .LBB15_907
; %bb.903:
	v_cmp_eq_u16_e32 vcc_lo, 44, v5
	s_mov_b32 s0, -1
	s_cbranch_vccz .LBB15_907
; %bb.904:
	s_bfe_i32 s0, s2, 0x80000
	v_mov_b32_e32 v3, 0xff
	s_sext_i32_i16 s0, s0
	s_delay_alu instid0(SALU_CYCLE_1) | instskip(NEXT) | instid1(VALU_DEP_1)
	v_cvt_f32_i32_e32 v2, s0
	v_readfirstlane_b32 s0, v2
	s_delay_alu instid0(VALU_DEP_1) | instskip(NEXT) | instid1(SALU_CYCLE_1)
	s_bfe_u32 s1, s0, 0x80017
	s_cmpk_eq_i32 s1, 0xff
	s_cbranch_scc1 .LBB15_906
; %bb.905:
	s_bitcmp1_b32 s0, 22
	v_lshrrev_b32_e32 v2, 23, v2
	s_cselect_b32 s5, -1, 0
	s_and_b32 s0, s0, 0x3fffff
	s_delay_alu instid0(SALU_CYCLE_1) | instskip(NEXT) | instid1(SALU_CYCLE_1)
	s_or_b32 s0, s1, s0
	s_cmp_lg_u32 s0, 0
	s_cselect_b32 s0, -1, 0
	s_delay_alu instid0(SALU_CYCLE_1) | instskip(NEXT) | instid1(SALU_CYCLE_1)
	s_and_b32 s0, s5, s0
	v_cndmask_b32_e64 v3, 0, 1, s0
	s_delay_alu instid0(VALU_DEP_1)
	v_add_nc_u32_e32 v3, v2, v3
.LBB15_906:
	s_mov_b32 s0, 0
	global_store_b8 v[0:1], v3, off
.LBB15_907:
	s_mov_b32 s1, 0
.LBB15_908:
	s_delay_alu instid0(SALU_CYCLE_1)
	s_and_b32 vcc_lo, exec_lo, s1
	s_cbranch_vccz .LBB15_911
; %bb.909:
	v_cmp_eq_u16_e32 vcc_lo, 29, v5
	s_mov_b32 s0, -1
	s_cbranch_vccz .LBB15_911
; %bb.910:
	v_mov_b32_e32 v2, s2
	s_mov_b32 s0, 0
	s_delay_alu instid0(VALU_DEP_1) | instskip(NEXT) | instid1(VALU_DEP_1)
	v_bfe_i32 v2, v2, 0, 8
	v_ashrrev_i32_e32 v3, 31, v2
	global_store_b64 v[0:1], v[2:3], off
.LBB15_911:
	s_mov_b32 s1, 0
.LBB15_912:
	s_delay_alu instid0(SALU_CYCLE_1)
	s_and_b32 vcc_lo, exec_lo, s1
	s_cbranch_vccz .LBB15_978
; %bb.913:
	v_cmp_gt_i16_e32 vcc_lo, 27, v5
	s_mov_b32 s1, -1
	s_cbranch_vccnz .LBB15_919
; %bb.914:
	v_cmp_lt_i16_e32 vcc_lo, 27, v5
	s_cbranch_vccz .LBB15_916
; %bb.915:
	s_sext_i32_i8 s1, s2
	s_delay_alu instid0(SALU_CYCLE_1)
	v_mov_b32_e32 v2, s1
	s_mov_b32 s1, 0
	global_store_b32 v[0:1], v2, off
.LBB15_916:
	s_and_not1_b32 vcc_lo, exec_lo, s1
	s_cbranch_vccnz .LBB15_918
; %bb.917:
	s_bfe_i32 s1, s2, 0x80000
	s_delay_alu instid0(SALU_CYCLE_1)
	v_mov_b32_e32 v2, s1
	global_store_b16 v[0:1], v2, off
.LBB15_918:
	s_mov_b32 s1, 0
.LBB15_919:
	s_delay_alu instid0(SALU_CYCLE_1)
	s_and_not1_b32 vcc_lo, exec_lo, s1
	s_cbranch_vccnz .LBB15_978
; %bb.920:
	s_bfe_i32 s1, s2, 0x80000
	v_mov_b32_e32 v3, 0x80
	s_sext_i32_i16 s1, s1
	s_delay_alu instid0(SALU_CYCLE_1) | instskip(NEXT) | instid1(VALU_DEP_1)
	v_cvt_f32_i32_e32 v2, s1
	v_readfirstlane_b32 s1, v2
	s_delay_alu instid0(VALU_DEP_1) | instskip(NEXT) | instid1(SALU_CYCLE_1)
	s_and_b32 s5, s1, 0x7fffffff
	s_cmp_gt_u32 s5, 0x437fffff
	s_cbranch_scc1 .LBB15_977
; %bb.921:
	s_cmp_gt_u32 s5, 0x3bffffff
	s_cbranch_scc0 .LBB15_972
; %bb.922:
	s_bfe_u32 s5, s1, 0x10014
	s_mov_b32 s8, 0
	s_add_i32 s5, s1, s5
	s_delay_alu instid0(SALU_CYCLE_1) | instskip(NEXT) | instid1(SALU_CYCLE_1)
	s_add_i32 s5, s5, 0x487ffff
	s_lshr_b32 s9, s5, 20
	s_mov_b32 s5, -1
	s_branch .LBB15_973
.LBB15_923:
	s_mov_b32 s0, 0
	s_mov_b32 s4, 0
                                        ; implicit-def: $vgpr5
                                        ; implicit-def: $vgpr0_vgpr1
.LBB15_924:
	s_and_b32 s5, s0, exec_lo
	s_and_not1_b32 s0, s6, exec_lo
	s_and_b32 s1, s3, exec_lo
	s_and_b32 s3, s4, exec_lo
	s_or_b32 s6, s0, s1
.LBB15_925:
	s_or_b32 exec_lo, exec_lo, s7
	s_and_saveexec_b32 s0, s6
	s_cbranch_execz .LBB15_928
; %bb.926:
	; divergent unreachable
	s_or_b32 exec_lo, exec_lo, s0
	s_and_saveexec_b32 s0, s3
	s_delay_alu instid0(SALU_CYCLE_1)
	s_xor_b32 s0, exec_lo, s0
	s_cbranch_execnz .LBB15_929
.LBB15_927:
	s_or_b32 exec_lo, exec_lo, s0
	s_and_saveexec_b32 s0, s5
	s_cbranch_execnz .LBB15_930
	s_branch .LBB15_967
.LBB15_928:
	s_or_b32 exec_lo, exec_lo, s0
	s_and_saveexec_b32 s0, s3
	s_delay_alu instid0(SALU_CYCLE_1)
	s_xor_b32 s0, exec_lo, s0
	s_cbranch_execz .LBB15_927
.LBB15_929:
	v_and_b32_e64 v2, 0xff, s2
	s_delay_alu instid0(VALU_DEP_1)
	v_cmp_ne_u16_e32 vcc_lo, 0, v2
	v_cndmask_b32_e64 v2, 0, 1, vcc_lo
	global_store_b8 v[0:1], v2, off
	s_or_b32 exec_lo, exec_lo, s0
	s_and_saveexec_b32 s0, s5
	s_cbranch_execz .LBB15_967
.LBB15_930:
	v_cmp_gt_i16_e32 vcc_lo, 5, v5
	s_mov_b32 s0, -1
	s_cbranch_vccnz .LBB15_951
; %bb.931:
	v_cmp_gt_i16_e32 vcc_lo, 8, v5
	s_cbranch_vccnz .LBB15_941
; %bb.932:
	v_cmp_gt_i16_e32 vcc_lo, 9, v5
	s_cbranch_vccnz .LBB15_938
; %bb.933:
	v_cmp_lt_i16_e32 vcc_lo, 9, v5
	s_cbranch_vccz .LBB15_935
; %bb.934:
	s_bfe_i32 s0, s2, 0x80000
	v_mov_b32_e32 v8, 0
	s_sext_i32_i16 s0, s0
	s_delay_alu instid0(SALU_CYCLE_1) | instskip(SKIP_1) | instid1(VALU_DEP_2)
	v_cvt_f64_i32_e32 v[6:7], s0
	s_mov_b32 s0, 0
	v_mov_b32_e32 v9, v8
	global_store_b128 v[0:1], v[6:9], off
.LBB15_935:
	s_and_not1_b32 vcc_lo, exec_lo, s0
	s_cbranch_vccnz .LBB15_937
; %bb.936:
	s_bfe_i32 s0, s2, 0x80000
	v_mov_b32_e32 v3, 0
	s_sext_i32_i16 s0, s0
	s_delay_alu instid0(SALU_CYCLE_1)
	v_cvt_f32_i32_e32 v2, s0
	global_store_b64 v[0:1], v[2:3], off
.LBB15_937:
	s_mov_b32 s0, 0
.LBB15_938:
	s_delay_alu instid0(SALU_CYCLE_1)
	s_and_not1_b32 vcc_lo, exec_lo, s0
	s_cbranch_vccnz .LBB15_940
; %bb.939:
	s_bfe_i32 s0, s2, 0x80000
	s_delay_alu instid0(SALU_CYCLE_1) | instskip(NEXT) | instid1(VALU_DEP_1)
	v_cvt_f16_i16_e32 v2, s0
	v_and_b32_e32 v2, 0xffff, v2
	global_store_b32 v[0:1], v2, off
.LBB15_940:
	s_mov_b32 s0, 0
.LBB15_941:
	s_delay_alu instid0(SALU_CYCLE_1)
	s_and_not1_b32 vcc_lo, exec_lo, s0
	s_cbranch_vccnz .LBB15_950
; %bb.942:
	v_cmp_gt_i16_e32 vcc_lo, 6, v5
	s_mov_b32 s0, -1
	s_cbranch_vccnz .LBB15_948
; %bb.943:
	v_cmp_lt_i16_e32 vcc_lo, 6, v5
	s_cbranch_vccz .LBB15_945
; %bb.944:
	s_bfe_i32 s0, s2, 0x80000
	s_delay_alu instid0(SALU_CYCLE_1) | instskip(NEXT) | instid1(SALU_CYCLE_1)
	s_sext_i32_i16 s0, s0
	v_cvt_f64_i32_e32 v[2:3], s0
	s_mov_b32 s0, 0
	global_store_b64 v[0:1], v[2:3], off
.LBB15_945:
	s_and_not1_b32 vcc_lo, exec_lo, s0
	s_cbranch_vccnz .LBB15_947
; %bb.946:
	s_bfe_i32 s0, s2, 0x80000
	s_delay_alu instid0(SALU_CYCLE_1) | instskip(NEXT) | instid1(SALU_CYCLE_1)
	s_sext_i32_i16 s0, s0
	v_cvt_f32_i32_e32 v2, s0
	global_store_b32 v[0:1], v2, off
.LBB15_947:
	s_mov_b32 s0, 0
.LBB15_948:
	s_delay_alu instid0(SALU_CYCLE_1)
	s_and_not1_b32 vcc_lo, exec_lo, s0
	s_cbranch_vccnz .LBB15_950
; %bb.949:
	s_bfe_i32 s0, s2, 0x80000
	s_delay_alu instid0(SALU_CYCLE_1)
	v_cvt_f16_i16_e32 v2, s0
	global_store_b16 v[0:1], v2, off
.LBB15_950:
	s_mov_b32 s0, 0
.LBB15_951:
	s_delay_alu instid0(SALU_CYCLE_1)
	s_and_not1_b32 vcc_lo, exec_lo, s0
	s_cbranch_vccnz .LBB15_967
; %bb.952:
	v_cmp_gt_i16_e32 vcc_lo, 2, v5
	s_mov_b32 s0, -1
	s_cbranch_vccnz .LBB15_962
; %bb.953:
	v_cmp_gt_i16_e32 vcc_lo, 3, v5
	s_cbranch_vccnz .LBB15_959
; %bb.954:
	v_cmp_lt_i16_e32 vcc_lo, 3, v5
	s_cbranch_vccz .LBB15_956
; %bb.955:
	v_mov_b32_e32 v2, s2
	s_mov_b32 s0, 0
	s_delay_alu instid0(VALU_DEP_1) | instskip(NEXT) | instid1(VALU_DEP_1)
	v_bfe_i32 v2, v2, 0, 8
	v_ashrrev_i32_e32 v3, 31, v2
	global_store_b64 v[0:1], v[2:3], off
.LBB15_956:
	s_and_not1_b32 vcc_lo, exec_lo, s0
	s_cbranch_vccnz .LBB15_958
; %bb.957:
	s_sext_i32_i8 s0, s2
	s_delay_alu instid0(SALU_CYCLE_1)
	v_mov_b32_e32 v2, s0
	global_store_b32 v[0:1], v2, off
.LBB15_958:
	s_mov_b32 s0, 0
.LBB15_959:
	s_delay_alu instid0(SALU_CYCLE_1)
	s_and_not1_b32 vcc_lo, exec_lo, s0
	s_cbranch_vccnz .LBB15_961
; %bb.960:
	s_bfe_i32 s0, s2, 0x80000
	s_delay_alu instid0(SALU_CYCLE_1)
	v_mov_b32_e32 v2, s0
	global_store_b16 v[0:1], v2, off
.LBB15_961:
	s_mov_b32 s0, 0
.LBB15_962:
	s_delay_alu instid0(SALU_CYCLE_1)
	s_and_not1_b32 vcc_lo, exec_lo, s0
	s_cbranch_vccnz .LBB15_967
; %bb.963:
	v_cmp_lt_i16_e32 vcc_lo, 0, v5
	s_mov_b32 s0, -1
	s_cbranch_vccz .LBB15_965
; %bb.964:
	v_mov_b32_e32 v2, s2
	s_mov_b32 s0, 0
	global_store_b8 v[0:1], v2, off
.LBB15_965:
	s_and_not1_b32 vcc_lo, exec_lo, s0
	s_cbranch_vccnz .LBB15_967
; %bb.966:
	v_mov_b32_e32 v2, s2
	global_store_b8 v[0:1], v2, off
	s_nop 0
	s_sendmsg sendmsg(MSG_DEALLOC_VGPRS)
	s_endpgm
.LBB15_967:
	s_nop 0
	s_sendmsg sendmsg(MSG_DEALLOC_VGPRS)
	s_endpgm
.LBB15_968:
	s_cbranch_execnz .LBB15_970
; %bb.969:
	s_or_b32 s3, s3, exec_lo
	s_cbranch_execz .LBB15_852
	s_branch .LBB15_853
.LBB15_970:
	s_trap 2
	s_sendmsg_rtn_b32 s0, sendmsg(MSG_RTN_GET_DOORBELL)
	s_mov_b32 ttmp2, m0
	s_waitcnt lgkmcnt(0)
	s_and_b32 s0, s0, 0x3ff
	s_delay_alu instid0(SALU_CYCLE_1) | instskip(NEXT) | instid1(SALU_CYCLE_1)
	s_bitset1_b32 s0, 10
	s_mov_b32 m0, s0
	s_sendmsg sendmsg(MSG_INTERRUPT)
	s_mov_b32 m0, ttmp2
.LBB15_971:                             ; =>This Inner Loop Header: Depth=1
	s_sethalt 5
	s_branch .LBB15_971
.LBB15_972:
	s_mov_b32 s8, -1
	s_mov_b32 s5, 0
                                        ; implicit-def: $sgpr9
.LBB15_973:
	v_mov_b32_e32 v2, s9
	s_and_not1_b32 vcc_lo, exec_lo, s8
                                        ; implicit-def: $sgpr8
	s_cbranch_vccnz .LBB15_975
; %bb.974:
	v_add_f32_e64 v2, 0x46000000, |s1|
	s_mov_b32 s8, 0
	s_delay_alu instid0(VALU_DEP_1) | instskip(NEXT) | instid1(VALU_DEP_1)
	v_and_b32_e32 v2, 0xff, v2
	v_cmp_ne_u32_e64 s5, 0, v2
.LBB15_975:
	v_mov_b32_e32 v3, s8
	s_delay_alu instid0(VALU_DEP_2)
	s_and_not1_b32 vcc_lo, exec_lo, s5
	s_cbranch_vccnz .LBB15_977
; %bb.976:
	s_lshr_b32 s1, s1, 24
	s_delay_alu instid0(SALU_CYCLE_1) | instskip(NEXT) | instid1(SALU_CYCLE_1)
	s_and_b32 s1, s1, 0x80
	v_or_b32_e32 v3, s1, v2
.LBB15_977:
	global_store_b8 v[0:1], v3, off
.LBB15_978:
	s_mov_b32 s1, 0
.LBB15_979:
	s_delay_alu instid0(SALU_CYCLE_1)
	s_and_b32 vcc_lo, exec_lo, s1
	s_cbranch_vccz .LBB15_1025
; %bb.980:
	v_cmp_lt_i16_e32 vcc_lo, 22, v5
	s_mov_b32 s1, -1
	s_cbranch_vccz .LBB15_1018
; %bb.981:
	v_cmp_gt_i16_e32 vcc_lo, 24, v5
	s_cbranch_vccnz .LBB15_1005
; %bb.982:
	v_cmp_lt_i16_e32 vcc_lo, 24, v5
	s_cbranch_vccz .LBB15_992
; %bb.983:
	s_bfe_i32 s1, s2, 0x80000
	v_mov_b32_e32 v3, 0x80
	s_sext_i32_i16 s1, s1
	s_delay_alu instid0(SALU_CYCLE_1) | instskip(NEXT) | instid1(VALU_DEP_1)
	v_cvt_f32_i32_e32 v2, s1
	v_readfirstlane_b32 s1, v2
	s_delay_alu instid0(VALU_DEP_1) | instskip(NEXT) | instid1(SALU_CYCLE_1)
	s_and_b32 s4, s1, 0x7fffffff
	s_cmp_gt_u32 s4, 0x477fffff
	s_cbranch_scc1 .LBB15_991
; %bb.984:
	s_cmp_gt_u32 s4, 0x37ffffff
	s_cbranch_scc0 .LBB15_986
; %bb.985:
	s_bfe_u32 s4, s1, 0x10015
	s_mov_b32 s5, 0
	s_add_i32 s4, s1, s4
	s_delay_alu instid0(SALU_CYCLE_1) | instskip(NEXT) | instid1(SALU_CYCLE_1)
	s_add_i32 s4, s4, 0x88fffff
	s_lshr_b32 s8, s4, 21
	s_mov_b32 s4, -1
	s_branch .LBB15_987
.LBB15_986:
	s_mov_b32 s5, -1
	s_mov_b32 s4, 0
                                        ; implicit-def: $sgpr8
.LBB15_987:
	v_mov_b32_e32 v2, s8
	s_and_not1_b32 vcc_lo, exec_lo, s5
                                        ; implicit-def: $sgpr5
	s_cbranch_vccnz .LBB15_989
; %bb.988:
	v_add_f32_e64 v2, 0x42800000, |s1|
	s_mov_b32 s5, 0
	s_delay_alu instid0(VALU_DEP_1) | instskip(NEXT) | instid1(VALU_DEP_1)
	v_and_b32_e32 v2, 0xff, v2
	v_cmp_ne_u32_e64 s4, 0, v2
.LBB15_989:
	v_mov_b32_e32 v3, s5
	s_delay_alu instid0(VALU_DEP_2)
	s_and_not1_b32 vcc_lo, exec_lo, s4
	s_cbranch_vccnz .LBB15_991
; %bb.990:
	s_lshr_b32 s1, s1, 24
	s_delay_alu instid0(SALU_CYCLE_1) | instskip(NEXT) | instid1(SALU_CYCLE_1)
	s_and_b32 s1, s1, 0x80
	v_or_b32_e32 v3, s1, v2
.LBB15_991:
	s_mov_b32 s1, 0
	global_store_b8 v[0:1], v3, off
.LBB15_992:
	s_and_b32 vcc_lo, exec_lo, s1
	s_cbranch_vccz .LBB15_1004
; %bb.993:
	s_bfe_i32 s1, s2, 0x80000
	s_delay_alu instid0(SALU_CYCLE_1) | instskip(NEXT) | instid1(SALU_CYCLE_1)
	s_sext_i32_i16 s1, s1
	v_cvt_f32_i32_e32 v2, s1
	s_delay_alu instid0(VALU_DEP_1) | instskip(NEXT) | instid1(VALU_DEP_1)
	v_readfirstlane_b32 s1, v2
	s_and_b32 s4, s1, 0x7fffffff
	s_delay_alu instid0(SALU_CYCLE_1)
	s_cmp_lt_u32 s4, 0x43f00000
	s_cbranch_scc0 .LBB15_996
; %bb.994:
	s_cmp_gt_u32 s4, 0x3c7fffff
	s_cbranch_scc0 .LBB15_997
; %bb.995:
	s_bfe_u32 s5, s1, 0x10014
	s_delay_alu instid0(SALU_CYCLE_1) | instskip(NEXT) | instid1(SALU_CYCLE_1)
	s_add_i32 s5, s1, s5
	s_add_i32 s5, s5, 0x407ffff
	s_delay_alu instid0(SALU_CYCLE_1)
	s_and_b32 s8, s5, 0xff00000
	s_lshr_b32 s5, s5, 20
	s_cmp_lg_u32 s8, 0x7f00000
	s_cselect_b32 s8, s5, 0x7e
	s_mov_b32 s5, 0
	s_branch .LBB15_998
.LBB15_996:
	s_mov_b32 s5, -1
                                        ; implicit-def: $vgpr3
	s_branch .LBB15_1001
.LBB15_997:
	s_mov_b32 s5, -1
                                        ; implicit-def: $sgpr8
.LBB15_998:
	v_mov_b32_e32 v3, s8
	s_and_not1_b32 vcc_lo, exec_lo, s5
	s_cbranch_vccnz .LBB15_1000
; %bb.999:
	v_add_f32_e64 v3, 0x46800000, |v2|
.LBB15_1000:
	s_mov_b32 s5, 0
.LBB15_1001:
	s_delay_alu instid0(SALU_CYCLE_1)
	s_and_not1_b32 vcc_lo, exec_lo, s5
	s_cbranch_vccnz .LBB15_1003
; %bb.1002:
	s_cmp_gt_u32 s4, 0x7f800000
	s_movk_i32 s4, 0x7f
	s_delay_alu instid0(SALU_CYCLE_1) | instskip(NEXT) | instid1(SALU_CYCLE_1)
	s_cselect_b32 s4, s4, 0x7e
	v_mov_b32_e32 v3, s4
.LBB15_1003:
	s_lshr_b32 s1, s1, 24
	s_delay_alu instid0(SALU_CYCLE_1)
	s_and_b32 s1, s1, 0x80
	s_delay_alu instid0(VALU_DEP_1) | instid1(SALU_CYCLE_1)
	v_or_b32_e32 v2, s1, v3
	global_store_b8 v[0:1], v2, off
.LBB15_1004:
	s_mov_b32 s1, 0
.LBB15_1005:
	s_delay_alu instid0(SALU_CYCLE_1)
	s_and_not1_b32 vcc_lo, exec_lo, s1
	s_cbranch_vccnz .LBB15_1017
; %bb.1006:
	s_bfe_i32 s1, s2, 0x80000
	s_delay_alu instid0(SALU_CYCLE_1) | instskip(NEXT) | instid1(SALU_CYCLE_1)
	s_sext_i32_i16 s1, s1
	v_cvt_f32_i32_e32 v2, s1
	s_delay_alu instid0(VALU_DEP_1) | instskip(NEXT) | instid1(VALU_DEP_1)
	v_readfirstlane_b32 s1, v2
	s_and_b32 s4, s1, 0x7fffffff
	s_delay_alu instid0(SALU_CYCLE_1)
	s_cmp_lt_u32 s4, 0x47800000
	s_cbranch_scc0 .LBB15_1009
; %bb.1007:
	s_cmp_gt_u32 s4, 0x387fffff
	s_cbranch_scc0 .LBB15_1010
; %bb.1008:
	s_bfe_u32 s5, s1, 0x10015
	s_delay_alu instid0(SALU_CYCLE_1) | instskip(NEXT) | instid1(SALU_CYCLE_1)
	s_add_i32 s5, s1, s5
	s_add_i32 s5, s5, 0x80fffff
	s_delay_alu instid0(SALU_CYCLE_1)
	s_lshr_b32 s8, s5, 21
	s_mov_b32 s5, 0
	s_branch .LBB15_1011
.LBB15_1009:
	s_mov_b32 s5, -1
                                        ; implicit-def: $vgpr3
	s_branch .LBB15_1014
.LBB15_1010:
	s_mov_b32 s5, -1
                                        ; implicit-def: $sgpr8
.LBB15_1011:
	v_mov_b32_e32 v3, s8
	s_and_not1_b32 vcc_lo, exec_lo, s5
	s_cbranch_vccnz .LBB15_1013
; %bb.1012:
	v_add_f32_e64 v3, 0x43000000, |v2|
.LBB15_1013:
	s_mov_b32 s5, 0
.LBB15_1014:
	s_delay_alu instid0(SALU_CYCLE_1)
	s_and_not1_b32 vcc_lo, exec_lo, s5
	s_cbranch_vccnz .LBB15_1016
; %bb.1015:
	s_cmp_gt_u32 s4, 0x7f800000
	s_movk_i32 s4, 0x7f
	s_delay_alu instid0(SALU_CYCLE_1) | instskip(NEXT) | instid1(SALU_CYCLE_1)
	s_cselect_b32 s4, s4, 0x7c
	v_mov_b32_e32 v3, s4
.LBB15_1016:
	s_lshr_b32 s1, s1, 24
	s_delay_alu instid0(SALU_CYCLE_1)
	s_and_b32 s1, s1, 0x80
	s_delay_alu instid0(VALU_DEP_1) | instid1(SALU_CYCLE_1)
	v_or_b32_e32 v2, s1, v3
	global_store_b8 v[0:1], v2, off
.LBB15_1017:
	s_mov_b32 s1, 0
.LBB15_1018:
	s_delay_alu instid0(SALU_CYCLE_1)
	s_and_not1_b32 vcc_lo, exec_lo, s1
	s_mov_b32 s4, 0
	s_cbranch_vccnz .LBB15_1025
; %bb.1019:
	v_cmp_lt_i16_e32 vcc_lo, 14, v5
	s_mov_b32 s1, -1
	s_cbranch_vccz .LBB15_1023
; %bb.1020:
	v_cmp_eq_u16_e32 vcc_lo, 15, v5
	s_mov_b32 s0, -1
	s_cbranch_vccz .LBB15_1022
; %bb.1021:
	s_bfe_i32 s0, s2, 0x80000
	s_delay_alu instid0(SALU_CYCLE_1) | instskip(NEXT) | instid1(SALU_CYCLE_1)
	s_sext_i32_i16 s0, s0
	v_cvt_f32_i32_e32 v2, s0
	s_mov_b32 s0, 0
	s_delay_alu instid0(VALU_DEP_1) | instskip(NEXT) | instid1(VALU_DEP_1)
	v_bfe_u32 v3, v2, 16, 1
	v_add_nc_u32_e32 v2, v2, v3
	s_delay_alu instid0(VALU_DEP_1)
	v_add_nc_u32_e32 v2, 0x7fff, v2
	global_store_d16_hi_b16 v[0:1], v2, off
.LBB15_1022:
	s_mov_b32 s1, 0
.LBB15_1023:
	s_delay_alu instid0(SALU_CYCLE_1)
	s_and_b32 vcc_lo, exec_lo, s1
	s_cbranch_vccz .LBB15_1025
; %bb.1024:
	v_cmp_ne_u16_e64 s0, 11, v5
	s_mov_b32 s4, -1
.LBB15_1025:
	s_delay_alu instid0(VALU_DEP_1)
	s_and_b32 vcc_lo, exec_lo, s0
	s_cbranch_vccnz .LBB15_1027
.LBB15_1026:
	s_mov_b32 s0, 0
	s_branch .LBB15_924
.LBB15_1027:
	s_cbranch_execnz .LBB15_1029
; %bb.1028:
	s_mov_b32 s4, 0
	s_or_b32 s3, s3, exec_lo
	s_branch .LBB15_1026
.LBB15_1029:
	s_trap 2
	s_sendmsg_rtn_b32 s0, sendmsg(MSG_RTN_GET_DOORBELL)
	s_mov_b32 ttmp2, m0
	s_waitcnt lgkmcnt(0)
	s_and_b32 s0, s0, 0x3ff
	s_delay_alu instid0(SALU_CYCLE_1) | instskip(NEXT) | instid1(SALU_CYCLE_1)
	s_bitset1_b32 s0, 10
	s_mov_b32 m0, s0
	s_sendmsg sendmsg(MSG_INTERRUPT)
	s_mov_b32 m0, ttmp2
.LBB15_1030:                            ; =>This Inner Loop Header: Depth=1
	s_sethalt 5
	s_branch .LBB15_1030
	.section	.rodata,"a",@progbits
	.p2align	6, 0x0
	.amdhsa_kernel _ZN2at6native32elementwise_kernel_manual_unrollILi128ELi4EZNS0_15gpu_kernel_implINS0_11FillFunctorIaEEEEvRNS_18TensorIteratorBaseERKT_EUlibE0_EEviT1_
		.amdhsa_group_segment_fixed_size 0
		.amdhsa_private_segment_fixed_size 0
		.amdhsa_kernarg_size 288
		.amdhsa_user_sgpr_count 15
		.amdhsa_user_sgpr_dispatch_ptr 0
		.amdhsa_user_sgpr_queue_ptr 0
		.amdhsa_user_sgpr_kernarg_segment_ptr 1
		.amdhsa_user_sgpr_dispatch_id 0
		.amdhsa_user_sgpr_private_segment_size 0
		.amdhsa_wavefront_size32 1
		.amdhsa_uses_dynamic_stack 0
		.amdhsa_enable_private_segment 0
		.amdhsa_system_sgpr_workgroup_id_x 1
		.amdhsa_system_sgpr_workgroup_id_y 0
		.amdhsa_system_sgpr_workgroup_id_z 0
		.amdhsa_system_sgpr_workgroup_info 0
		.amdhsa_system_vgpr_workitem_id 0
		.amdhsa_next_free_vgpr 22
		.amdhsa_next_free_sgpr 76
		.amdhsa_reserve_vcc 1
		.amdhsa_float_round_mode_32 0
		.amdhsa_float_round_mode_16_64 0
		.amdhsa_float_denorm_mode_32 3
		.amdhsa_float_denorm_mode_16_64 3
		.amdhsa_dx10_clamp 1
		.amdhsa_ieee_mode 1
		.amdhsa_fp16_overflow 0
		.amdhsa_workgroup_processor_mode 1
		.amdhsa_memory_ordered 1
		.amdhsa_forward_progress 0
		.amdhsa_shared_vgpr_count 0
		.amdhsa_exception_fp_ieee_invalid_op 0
		.amdhsa_exception_fp_denorm_src 0
		.amdhsa_exception_fp_ieee_div_zero 0
		.amdhsa_exception_fp_ieee_overflow 0
		.amdhsa_exception_fp_ieee_underflow 0
		.amdhsa_exception_fp_ieee_inexact 0
		.amdhsa_exception_int_div_zero 0
	.end_amdhsa_kernel
	.section	.text._ZN2at6native32elementwise_kernel_manual_unrollILi128ELi4EZNS0_15gpu_kernel_implINS0_11FillFunctorIaEEEEvRNS_18TensorIteratorBaseERKT_EUlibE0_EEviT1_,"axG",@progbits,_ZN2at6native32elementwise_kernel_manual_unrollILi128ELi4EZNS0_15gpu_kernel_implINS0_11FillFunctorIaEEEEvRNS_18TensorIteratorBaseERKT_EUlibE0_EEviT1_,comdat
.Lfunc_end15:
	.size	_ZN2at6native32elementwise_kernel_manual_unrollILi128ELi4EZNS0_15gpu_kernel_implINS0_11FillFunctorIaEEEEvRNS_18TensorIteratorBaseERKT_EUlibE0_EEviT1_, .Lfunc_end15-_ZN2at6native32elementwise_kernel_manual_unrollILi128ELi4EZNS0_15gpu_kernel_implINS0_11FillFunctorIaEEEEvRNS_18TensorIteratorBaseERKT_EUlibE0_EEviT1_
                                        ; -- End function
	.section	.AMDGPU.csdata,"",@progbits
; Kernel info:
; codeLenInByte = 19988
; NumSgprs: 78
; NumVgprs: 22
; ScratchSize: 0
; MemoryBound: 0
; FloatMode: 240
; IeeeMode: 1
; LDSByteSize: 0 bytes/workgroup (compile time only)
; SGPRBlocks: 9
; VGPRBlocks: 2
; NumSGPRsForWavesPerEU: 78
; NumVGPRsForWavesPerEU: 22
; Occupancy: 16
; WaveLimiterHint : 1
; COMPUTE_PGM_RSRC2:SCRATCH_EN: 0
; COMPUTE_PGM_RSRC2:USER_SGPR: 15
; COMPUTE_PGM_RSRC2:TRAP_HANDLER: 0
; COMPUTE_PGM_RSRC2:TGID_X_EN: 1
; COMPUTE_PGM_RSRC2:TGID_Y_EN: 0
; COMPUTE_PGM_RSRC2:TGID_Z_EN: 0
; COMPUTE_PGM_RSRC2:TIDIG_COMP_CNT: 0
	.section	.text._ZN2at6native29vectorized_elementwise_kernelILi16ENS0_11FillFunctorIiEESt5arrayIPcLm1EEEEviT0_T1_,"axG",@progbits,_ZN2at6native29vectorized_elementwise_kernelILi16ENS0_11FillFunctorIiEESt5arrayIPcLm1EEEEviT0_T1_,comdat
	.protected	_ZN2at6native29vectorized_elementwise_kernelILi16ENS0_11FillFunctorIiEESt5arrayIPcLm1EEEEviT0_T1_ ; -- Begin function _ZN2at6native29vectorized_elementwise_kernelILi16ENS0_11FillFunctorIiEESt5arrayIPcLm1EEEEviT0_T1_
	.globl	_ZN2at6native29vectorized_elementwise_kernelILi16ENS0_11FillFunctorIiEESt5arrayIPcLm1EEEEviT0_T1_
	.p2align	8
	.type	_ZN2at6native29vectorized_elementwise_kernelILi16ENS0_11FillFunctorIiEESt5arrayIPcLm1EEEEviT0_T1_,@function
_ZN2at6native29vectorized_elementwise_kernelILi16ENS0_11FillFunctorIiEESt5arrayIPcLm1EEEEviT0_T1_: ; @_ZN2at6native29vectorized_elementwise_kernelILi16ENS0_11FillFunctorIiEESt5arrayIPcLm1EEEEviT0_T1_
; %bb.0:
	s_load_b128 s[0:3], s[0:1], 0x0
	s_lshl_b32 s4, s15, 10
	s_mov_b32 s5, -1
	s_waitcnt lgkmcnt(0)
	s_sub_i32 s0, s0, s4
	s_delay_alu instid0(SALU_CYCLE_1)
	s_cmpk_gt_i32 s0, 0x3ff
	s_cbranch_scc0 .LBB16_2
; %bb.1:
	s_ashr_i32 s5, s4, 31
	v_dual_mov_b32 v1, s1 :: v_dual_mov_b32 v2, s1
	v_dual_mov_b32 v4, s1 :: v_dual_lshlrev_b32 v5, 4, v0
	s_lshl_b64 s[6:7], s[4:5], 2
	v_mov_b32_e32 v3, s1
	s_add_u32 s6, s2, s6
	s_addc_u32 s7, s3, s7
	s_mov_b32 s5, 0
	global_store_b128 v5, v[1:4], s[6:7]
.LBB16_2:
	s_and_not1_b32 vcc_lo, exec_lo, s5
	s_cbranch_vccnz .LBB16_8
; %bb.3:
	s_mov_b32 s5, exec_lo
	v_cmpx_gt_i32_e64 s0, v0
	s_cbranch_execnz .LBB16_9
; %bb.4:
	s_or_b32 exec_lo, exec_lo, s5
	s_delay_alu instid0(SALU_CYCLE_1)
	s_mov_b32 s5, exec_lo
	v_cmpx_gt_i32_e64 s0, v0
	s_cbranch_execnz .LBB16_10
.LBB16_5:
	s_or_b32 exec_lo, exec_lo, s5
	s_delay_alu instid0(SALU_CYCLE_1)
	s_mov_b32 s5, exec_lo
	v_cmpx_gt_i32_e64 s0, v0
	s_cbranch_execnz .LBB16_11
.LBB16_6:
	s_or_b32 exec_lo, exec_lo, s5
	v_cmp_gt_i32_e32 vcc_lo, s0, v0
	s_and_saveexec_b32 s0, vcc_lo
	s_cbranch_execz .LBB16_8
.LBB16_7:
	v_dual_mov_b32 v1, 0 :: v_dual_add_nc_u32 v0, s4, v0
	v_mov_b32_e32 v2, s1
	s_delay_alu instid0(VALU_DEP_2) | instskip(NEXT) | instid1(VALU_DEP_1)
	v_lshlrev_b64 v[0:1], 2, v[0:1]
	v_add_co_u32 v0, vcc_lo, s2, v0
	s_delay_alu instid0(VALU_DEP_2)
	v_add_co_ci_u32_e32 v1, vcc_lo, s3, v1, vcc_lo
	global_store_b32 v[0:1], v2, off
.LBB16_8:
	s_nop 0
	s_sendmsg sendmsg(MSG_DEALLOC_VGPRS)
	s_endpgm
.LBB16_9:
	v_or_b32_e32 v1, s4, v0
	v_dual_mov_b32 v2, 0 :: v_dual_mov_b32 v3, s1
	v_or_b32_e32 v0, 0x100, v0
	s_delay_alu instid0(VALU_DEP_2) | instskip(NEXT) | instid1(VALU_DEP_1)
	v_lshlrev_b64 v[1:2], 2, v[1:2]
	v_add_co_u32 v1, vcc_lo, s2, v1
	s_delay_alu instid0(VALU_DEP_2) | instskip(SKIP_2) | instid1(SALU_CYCLE_1)
	v_add_co_ci_u32_e32 v2, vcc_lo, s3, v2, vcc_lo
	global_store_b32 v[1:2], v3, off
	s_or_b32 exec_lo, exec_lo, s5
	s_mov_b32 s5, exec_lo
	v_cmpx_gt_i32_e64 s0, v0
	s_cbranch_execz .LBB16_5
.LBB16_10:
	v_dual_mov_b32 v2, 0 :: v_dual_add_nc_u32 v1, s4, v0
	v_dual_mov_b32 v3, s1 :: v_dual_add_nc_u32 v0, 0x100, v0
	s_delay_alu instid0(VALU_DEP_2) | instskip(NEXT) | instid1(VALU_DEP_1)
	v_lshlrev_b64 v[1:2], 2, v[1:2]
	v_add_co_u32 v1, vcc_lo, s2, v1
	s_delay_alu instid0(VALU_DEP_2) | instskip(SKIP_2) | instid1(SALU_CYCLE_1)
	v_add_co_ci_u32_e32 v2, vcc_lo, s3, v2, vcc_lo
	global_store_b32 v[1:2], v3, off
	s_or_b32 exec_lo, exec_lo, s5
	s_mov_b32 s5, exec_lo
	v_cmpx_gt_i32_e64 s0, v0
	s_cbranch_execz .LBB16_6
.LBB16_11:
	v_dual_mov_b32 v2, 0 :: v_dual_add_nc_u32 v1, s4, v0
	v_dual_mov_b32 v3, s1 :: v_dual_add_nc_u32 v0, 0x100, v0
	s_delay_alu instid0(VALU_DEP_2) | instskip(NEXT) | instid1(VALU_DEP_1)
	v_lshlrev_b64 v[1:2], 2, v[1:2]
	v_add_co_u32 v1, vcc_lo, s2, v1
	s_delay_alu instid0(VALU_DEP_2)
	v_add_co_ci_u32_e32 v2, vcc_lo, s3, v2, vcc_lo
	global_store_b32 v[1:2], v3, off
	s_or_b32 exec_lo, exec_lo, s5
	v_cmp_gt_i32_e32 vcc_lo, s0, v0
	s_and_saveexec_b32 s0, vcc_lo
	s_cbranch_execnz .LBB16_7
	s_branch .LBB16_8
	.section	.rodata,"a",@progbits
	.p2align	6, 0x0
	.amdhsa_kernel _ZN2at6native29vectorized_elementwise_kernelILi16ENS0_11FillFunctorIiEESt5arrayIPcLm1EEEEviT0_T1_
		.amdhsa_group_segment_fixed_size 0
		.amdhsa_private_segment_fixed_size 0
		.amdhsa_kernarg_size 16
		.amdhsa_user_sgpr_count 15
		.amdhsa_user_sgpr_dispatch_ptr 0
		.amdhsa_user_sgpr_queue_ptr 0
		.amdhsa_user_sgpr_kernarg_segment_ptr 1
		.amdhsa_user_sgpr_dispatch_id 0
		.amdhsa_user_sgpr_private_segment_size 0
		.amdhsa_wavefront_size32 1
		.amdhsa_uses_dynamic_stack 0
		.amdhsa_enable_private_segment 0
		.amdhsa_system_sgpr_workgroup_id_x 1
		.amdhsa_system_sgpr_workgroup_id_y 0
		.amdhsa_system_sgpr_workgroup_id_z 0
		.amdhsa_system_sgpr_workgroup_info 0
		.amdhsa_system_vgpr_workitem_id 0
		.amdhsa_next_free_vgpr 6
		.amdhsa_next_free_sgpr 16
		.amdhsa_reserve_vcc 1
		.amdhsa_float_round_mode_32 0
		.amdhsa_float_round_mode_16_64 0
		.amdhsa_float_denorm_mode_32 3
		.amdhsa_float_denorm_mode_16_64 3
		.amdhsa_dx10_clamp 1
		.amdhsa_ieee_mode 1
		.amdhsa_fp16_overflow 0
		.amdhsa_workgroup_processor_mode 1
		.amdhsa_memory_ordered 1
		.amdhsa_forward_progress 0
		.amdhsa_shared_vgpr_count 0
		.amdhsa_exception_fp_ieee_invalid_op 0
		.amdhsa_exception_fp_denorm_src 0
		.amdhsa_exception_fp_ieee_div_zero 0
		.amdhsa_exception_fp_ieee_overflow 0
		.amdhsa_exception_fp_ieee_underflow 0
		.amdhsa_exception_fp_ieee_inexact 0
		.amdhsa_exception_int_div_zero 0
	.end_amdhsa_kernel
	.section	.text._ZN2at6native29vectorized_elementwise_kernelILi16ENS0_11FillFunctorIiEESt5arrayIPcLm1EEEEviT0_T1_,"axG",@progbits,_ZN2at6native29vectorized_elementwise_kernelILi16ENS0_11FillFunctorIiEESt5arrayIPcLm1EEEEviT0_T1_,comdat
.Lfunc_end16:
	.size	_ZN2at6native29vectorized_elementwise_kernelILi16ENS0_11FillFunctorIiEESt5arrayIPcLm1EEEEviT0_T1_, .Lfunc_end16-_ZN2at6native29vectorized_elementwise_kernelILi16ENS0_11FillFunctorIiEESt5arrayIPcLm1EEEEviT0_T1_
                                        ; -- End function
	.section	.AMDGPU.csdata,"",@progbits
; Kernel info:
; codeLenInByte = 460
; NumSgprs: 18
; NumVgprs: 6
; ScratchSize: 0
; MemoryBound: 0
; FloatMode: 240
; IeeeMode: 1
; LDSByteSize: 0 bytes/workgroup (compile time only)
; SGPRBlocks: 2
; VGPRBlocks: 0
; NumSGPRsForWavesPerEU: 18
; NumVGPRsForWavesPerEU: 6
; Occupancy: 16
; WaveLimiterHint : 0
; COMPUTE_PGM_RSRC2:SCRATCH_EN: 0
; COMPUTE_PGM_RSRC2:USER_SGPR: 15
; COMPUTE_PGM_RSRC2:TRAP_HANDLER: 0
; COMPUTE_PGM_RSRC2:TGID_X_EN: 1
; COMPUTE_PGM_RSRC2:TGID_Y_EN: 0
; COMPUTE_PGM_RSRC2:TGID_Z_EN: 0
; COMPUTE_PGM_RSRC2:TIDIG_COMP_CNT: 0
	.section	.text._ZN2at6native29vectorized_elementwise_kernelILi8ENS0_11FillFunctorIiEESt5arrayIPcLm1EEEEviT0_T1_,"axG",@progbits,_ZN2at6native29vectorized_elementwise_kernelILi8ENS0_11FillFunctorIiEESt5arrayIPcLm1EEEEviT0_T1_,comdat
	.protected	_ZN2at6native29vectorized_elementwise_kernelILi8ENS0_11FillFunctorIiEESt5arrayIPcLm1EEEEviT0_T1_ ; -- Begin function _ZN2at6native29vectorized_elementwise_kernelILi8ENS0_11FillFunctorIiEESt5arrayIPcLm1EEEEviT0_T1_
	.globl	_ZN2at6native29vectorized_elementwise_kernelILi8ENS0_11FillFunctorIiEESt5arrayIPcLm1EEEEviT0_T1_
	.p2align	8
	.type	_ZN2at6native29vectorized_elementwise_kernelILi8ENS0_11FillFunctorIiEESt5arrayIPcLm1EEEEviT0_T1_,@function
_ZN2at6native29vectorized_elementwise_kernelILi8ENS0_11FillFunctorIiEESt5arrayIPcLm1EEEEviT0_T1_: ; @_ZN2at6native29vectorized_elementwise_kernelILi8ENS0_11FillFunctorIiEESt5arrayIPcLm1EEEEviT0_T1_
; %bb.0:
	s_load_b128 s[0:3], s[0:1], 0x0
	s_lshl_b32 s4, s15, 10
	s_mov_b32 s5, -1
	s_waitcnt lgkmcnt(0)
	s_sub_i32 s0, s0, s4
	s_delay_alu instid0(SALU_CYCLE_1)
	s_cmpk_gt_i32 s0, 0x3ff
	s_cbranch_scc0 .LBB17_2
; %bb.1:
	s_ashr_i32 s5, s4, 31
	v_dual_mov_b32 v1, s1 :: v_dual_mov_b32 v2, s1
	v_dual_mov_b32 v4, s1 :: v_dual_lshlrev_b32 v5, 4, v0
	s_lshl_b64 s[6:7], s[4:5], 2
	v_mov_b32_e32 v3, s1
	s_add_u32 s6, s2, s6
	s_addc_u32 s7, s3, s7
	s_mov_b32 s5, 0
	global_store_b128 v5, v[1:4], s[6:7]
.LBB17_2:
	s_and_not1_b32 vcc_lo, exec_lo, s5
	s_cbranch_vccnz .LBB17_8
; %bb.3:
	s_mov_b32 s5, exec_lo
	v_cmpx_gt_i32_e64 s0, v0
	s_cbranch_execnz .LBB17_9
; %bb.4:
	s_or_b32 exec_lo, exec_lo, s5
	s_delay_alu instid0(SALU_CYCLE_1)
	s_mov_b32 s5, exec_lo
	v_cmpx_gt_i32_e64 s0, v0
	s_cbranch_execnz .LBB17_10
.LBB17_5:
	s_or_b32 exec_lo, exec_lo, s5
	s_delay_alu instid0(SALU_CYCLE_1)
	s_mov_b32 s5, exec_lo
	v_cmpx_gt_i32_e64 s0, v0
	s_cbranch_execnz .LBB17_11
.LBB17_6:
	s_or_b32 exec_lo, exec_lo, s5
	v_cmp_gt_i32_e32 vcc_lo, s0, v0
	s_and_saveexec_b32 s0, vcc_lo
	s_cbranch_execz .LBB17_8
.LBB17_7:
	v_dual_mov_b32 v1, 0 :: v_dual_add_nc_u32 v0, s4, v0
	v_mov_b32_e32 v2, s1
	s_delay_alu instid0(VALU_DEP_2) | instskip(NEXT) | instid1(VALU_DEP_1)
	v_lshlrev_b64 v[0:1], 2, v[0:1]
	v_add_co_u32 v0, vcc_lo, s2, v0
	s_delay_alu instid0(VALU_DEP_2)
	v_add_co_ci_u32_e32 v1, vcc_lo, s3, v1, vcc_lo
	global_store_b32 v[0:1], v2, off
.LBB17_8:
	s_nop 0
	s_sendmsg sendmsg(MSG_DEALLOC_VGPRS)
	s_endpgm
.LBB17_9:
	v_or_b32_e32 v1, s4, v0
	v_dual_mov_b32 v2, 0 :: v_dual_mov_b32 v3, s1
	v_or_b32_e32 v0, 0x100, v0
	s_delay_alu instid0(VALU_DEP_2) | instskip(NEXT) | instid1(VALU_DEP_1)
	v_lshlrev_b64 v[1:2], 2, v[1:2]
	v_add_co_u32 v1, vcc_lo, s2, v1
	s_delay_alu instid0(VALU_DEP_2) | instskip(SKIP_2) | instid1(SALU_CYCLE_1)
	v_add_co_ci_u32_e32 v2, vcc_lo, s3, v2, vcc_lo
	global_store_b32 v[1:2], v3, off
	s_or_b32 exec_lo, exec_lo, s5
	s_mov_b32 s5, exec_lo
	v_cmpx_gt_i32_e64 s0, v0
	s_cbranch_execz .LBB17_5
.LBB17_10:
	v_dual_mov_b32 v2, 0 :: v_dual_add_nc_u32 v1, s4, v0
	v_dual_mov_b32 v3, s1 :: v_dual_add_nc_u32 v0, 0x100, v0
	s_delay_alu instid0(VALU_DEP_2) | instskip(NEXT) | instid1(VALU_DEP_1)
	v_lshlrev_b64 v[1:2], 2, v[1:2]
	v_add_co_u32 v1, vcc_lo, s2, v1
	s_delay_alu instid0(VALU_DEP_2) | instskip(SKIP_2) | instid1(SALU_CYCLE_1)
	v_add_co_ci_u32_e32 v2, vcc_lo, s3, v2, vcc_lo
	global_store_b32 v[1:2], v3, off
	s_or_b32 exec_lo, exec_lo, s5
	s_mov_b32 s5, exec_lo
	v_cmpx_gt_i32_e64 s0, v0
	s_cbranch_execz .LBB17_6
.LBB17_11:
	v_dual_mov_b32 v2, 0 :: v_dual_add_nc_u32 v1, s4, v0
	v_dual_mov_b32 v3, s1 :: v_dual_add_nc_u32 v0, 0x100, v0
	s_delay_alu instid0(VALU_DEP_2) | instskip(NEXT) | instid1(VALU_DEP_1)
	v_lshlrev_b64 v[1:2], 2, v[1:2]
	v_add_co_u32 v1, vcc_lo, s2, v1
	s_delay_alu instid0(VALU_DEP_2)
	v_add_co_ci_u32_e32 v2, vcc_lo, s3, v2, vcc_lo
	global_store_b32 v[1:2], v3, off
	s_or_b32 exec_lo, exec_lo, s5
	v_cmp_gt_i32_e32 vcc_lo, s0, v0
	s_and_saveexec_b32 s0, vcc_lo
	s_cbranch_execnz .LBB17_7
	s_branch .LBB17_8
	.section	.rodata,"a",@progbits
	.p2align	6, 0x0
	.amdhsa_kernel _ZN2at6native29vectorized_elementwise_kernelILi8ENS0_11FillFunctorIiEESt5arrayIPcLm1EEEEviT0_T1_
		.amdhsa_group_segment_fixed_size 0
		.amdhsa_private_segment_fixed_size 0
		.amdhsa_kernarg_size 16
		.amdhsa_user_sgpr_count 15
		.amdhsa_user_sgpr_dispatch_ptr 0
		.amdhsa_user_sgpr_queue_ptr 0
		.amdhsa_user_sgpr_kernarg_segment_ptr 1
		.amdhsa_user_sgpr_dispatch_id 0
		.amdhsa_user_sgpr_private_segment_size 0
		.amdhsa_wavefront_size32 1
		.amdhsa_uses_dynamic_stack 0
		.amdhsa_enable_private_segment 0
		.amdhsa_system_sgpr_workgroup_id_x 1
		.amdhsa_system_sgpr_workgroup_id_y 0
		.amdhsa_system_sgpr_workgroup_id_z 0
		.amdhsa_system_sgpr_workgroup_info 0
		.amdhsa_system_vgpr_workitem_id 0
		.amdhsa_next_free_vgpr 6
		.amdhsa_next_free_sgpr 16
		.amdhsa_reserve_vcc 1
		.amdhsa_float_round_mode_32 0
		.amdhsa_float_round_mode_16_64 0
		.amdhsa_float_denorm_mode_32 3
		.amdhsa_float_denorm_mode_16_64 3
		.amdhsa_dx10_clamp 1
		.amdhsa_ieee_mode 1
		.amdhsa_fp16_overflow 0
		.amdhsa_workgroup_processor_mode 1
		.amdhsa_memory_ordered 1
		.amdhsa_forward_progress 0
		.amdhsa_shared_vgpr_count 0
		.amdhsa_exception_fp_ieee_invalid_op 0
		.amdhsa_exception_fp_denorm_src 0
		.amdhsa_exception_fp_ieee_div_zero 0
		.amdhsa_exception_fp_ieee_overflow 0
		.amdhsa_exception_fp_ieee_underflow 0
		.amdhsa_exception_fp_ieee_inexact 0
		.amdhsa_exception_int_div_zero 0
	.end_amdhsa_kernel
	.section	.text._ZN2at6native29vectorized_elementwise_kernelILi8ENS0_11FillFunctorIiEESt5arrayIPcLm1EEEEviT0_T1_,"axG",@progbits,_ZN2at6native29vectorized_elementwise_kernelILi8ENS0_11FillFunctorIiEESt5arrayIPcLm1EEEEviT0_T1_,comdat
.Lfunc_end17:
	.size	_ZN2at6native29vectorized_elementwise_kernelILi8ENS0_11FillFunctorIiEESt5arrayIPcLm1EEEEviT0_T1_, .Lfunc_end17-_ZN2at6native29vectorized_elementwise_kernelILi8ENS0_11FillFunctorIiEESt5arrayIPcLm1EEEEviT0_T1_
                                        ; -- End function
	.section	.AMDGPU.csdata,"",@progbits
; Kernel info:
; codeLenInByte = 460
; NumSgprs: 18
; NumVgprs: 6
; ScratchSize: 0
; MemoryBound: 0
; FloatMode: 240
; IeeeMode: 1
; LDSByteSize: 0 bytes/workgroup (compile time only)
; SGPRBlocks: 2
; VGPRBlocks: 0
; NumSGPRsForWavesPerEU: 18
; NumVGPRsForWavesPerEU: 6
; Occupancy: 16
; WaveLimiterHint : 0
; COMPUTE_PGM_RSRC2:SCRATCH_EN: 0
; COMPUTE_PGM_RSRC2:USER_SGPR: 15
; COMPUTE_PGM_RSRC2:TRAP_HANDLER: 0
; COMPUTE_PGM_RSRC2:TGID_X_EN: 1
; COMPUTE_PGM_RSRC2:TGID_Y_EN: 0
; COMPUTE_PGM_RSRC2:TGID_Z_EN: 0
; COMPUTE_PGM_RSRC2:TIDIG_COMP_CNT: 0
	.section	.text._ZN2at6native29vectorized_elementwise_kernelILi4ENS0_11FillFunctorIiEESt5arrayIPcLm1EEEEviT0_T1_,"axG",@progbits,_ZN2at6native29vectorized_elementwise_kernelILi4ENS0_11FillFunctorIiEESt5arrayIPcLm1EEEEviT0_T1_,comdat
	.protected	_ZN2at6native29vectorized_elementwise_kernelILi4ENS0_11FillFunctorIiEESt5arrayIPcLm1EEEEviT0_T1_ ; -- Begin function _ZN2at6native29vectorized_elementwise_kernelILi4ENS0_11FillFunctorIiEESt5arrayIPcLm1EEEEviT0_T1_
	.globl	_ZN2at6native29vectorized_elementwise_kernelILi4ENS0_11FillFunctorIiEESt5arrayIPcLm1EEEEviT0_T1_
	.p2align	8
	.type	_ZN2at6native29vectorized_elementwise_kernelILi4ENS0_11FillFunctorIiEESt5arrayIPcLm1EEEEviT0_T1_,@function
_ZN2at6native29vectorized_elementwise_kernelILi4ENS0_11FillFunctorIiEESt5arrayIPcLm1EEEEviT0_T1_: ; @_ZN2at6native29vectorized_elementwise_kernelILi4ENS0_11FillFunctorIiEESt5arrayIPcLm1EEEEviT0_T1_
; %bb.0:
	s_load_b128 s[0:3], s[0:1], 0x0
	s_lshl_b32 s4, s15, 10
	s_mov_b32 s5, -1
	s_waitcnt lgkmcnt(0)
	s_sub_i32 s0, s0, s4
	s_delay_alu instid0(SALU_CYCLE_1)
	s_cmpk_gt_i32 s0, 0x3ff
	s_cbranch_scc0 .LBB18_2
; %bb.1:
	s_ashr_i32 s5, s4, 31
	v_dual_mov_b32 v1, s1 :: v_dual_mov_b32 v2, s1
	v_dual_mov_b32 v4, s1 :: v_dual_lshlrev_b32 v5, 4, v0
	s_lshl_b64 s[6:7], s[4:5], 2
	v_mov_b32_e32 v3, s1
	s_add_u32 s6, s2, s6
	s_addc_u32 s7, s3, s7
	s_mov_b32 s5, 0
	global_store_b128 v5, v[1:4], s[6:7]
.LBB18_2:
	s_and_not1_b32 vcc_lo, exec_lo, s5
	s_cbranch_vccnz .LBB18_8
; %bb.3:
	s_mov_b32 s5, exec_lo
	v_cmpx_gt_i32_e64 s0, v0
	s_cbranch_execnz .LBB18_9
; %bb.4:
	s_or_b32 exec_lo, exec_lo, s5
	s_delay_alu instid0(SALU_CYCLE_1)
	s_mov_b32 s5, exec_lo
	v_cmpx_gt_i32_e64 s0, v0
	s_cbranch_execnz .LBB18_10
.LBB18_5:
	s_or_b32 exec_lo, exec_lo, s5
	s_delay_alu instid0(SALU_CYCLE_1)
	s_mov_b32 s5, exec_lo
	v_cmpx_gt_i32_e64 s0, v0
	s_cbranch_execnz .LBB18_11
.LBB18_6:
	s_or_b32 exec_lo, exec_lo, s5
	v_cmp_gt_i32_e32 vcc_lo, s0, v0
	s_and_saveexec_b32 s0, vcc_lo
	s_cbranch_execz .LBB18_8
.LBB18_7:
	v_dual_mov_b32 v1, 0 :: v_dual_add_nc_u32 v0, s4, v0
	v_mov_b32_e32 v2, s1
	s_delay_alu instid0(VALU_DEP_2) | instskip(NEXT) | instid1(VALU_DEP_1)
	v_lshlrev_b64 v[0:1], 2, v[0:1]
	v_add_co_u32 v0, vcc_lo, s2, v0
	s_delay_alu instid0(VALU_DEP_2)
	v_add_co_ci_u32_e32 v1, vcc_lo, s3, v1, vcc_lo
	global_store_b32 v[0:1], v2, off
.LBB18_8:
	s_nop 0
	s_sendmsg sendmsg(MSG_DEALLOC_VGPRS)
	s_endpgm
.LBB18_9:
	v_or_b32_e32 v1, s4, v0
	v_dual_mov_b32 v2, 0 :: v_dual_mov_b32 v3, s1
	v_or_b32_e32 v0, 0x100, v0
	s_delay_alu instid0(VALU_DEP_2) | instskip(NEXT) | instid1(VALU_DEP_1)
	v_lshlrev_b64 v[1:2], 2, v[1:2]
	v_add_co_u32 v1, vcc_lo, s2, v1
	s_delay_alu instid0(VALU_DEP_2) | instskip(SKIP_2) | instid1(SALU_CYCLE_1)
	v_add_co_ci_u32_e32 v2, vcc_lo, s3, v2, vcc_lo
	global_store_b32 v[1:2], v3, off
	s_or_b32 exec_lo, exec_lo, s5
	s_mov_b32 s5, exec_lo
	v_cmpx_gt_i32_e64 s0, v0
	s_cbranch_execz .LBB18_5
.LBB18_10:
	v_dual_mov_b32 v2, 0 :: v_dual_add_nc_u32 v1, s4, v0
	v_dual_mov_b32 v3, s1 :: v_dual_add_nc_u32 v0, 0x100, v0
	s_delay_alu instid0(VALU_DEP_2) | instskip(NEXT) | instid1(VALU_DEP_1)
	v_lshlrev_b64 v[1:2], 2, v[1:2]
	v_add_co_u32 v1, vcc_lo, s2, v1
	s_delay_alu instid0(VALU_DEP_2) | instskip(SKIP_2) | instid1(SALU_CYCLE_1)
	v_add_co_ci_u32_e32 v2, vcc_lo, s3, v2, vcc_lo
	global_store_b32 v[1:2], v3, off
	s_or_b32 exec_lo, exec_lo, s5
	s_mov_b32 s5, exec_lo
	v_cmpx_gt_i32_e64 s0, v0
	s_cbranch_execz .LBB18_6
.LBB18_11:
	v_dual_mov_b32 v2, 0 :: v_dual_add_nc_u32 v1, s4, v0
	v_dual_mov_b32 v3, s1 :: v_dual_add_nc_u32 v0, 0x100, v0
	s_delay_alu instid0(VALU_DEP_2) | instskip(NEXT) | instid1(VALU_DEP_1)
	v_lshlrev_b64 v[1:2], 2, v[1:2]
	v_add_co_u32 v1, vcc_lo, s2, v1
	s_delay_alu instid0(VALU_DEP_2)
	v_add_co_ci_u32_e32 v2, vcc_lo, s3, v2, vcc_lo
	global_store_b32 v[1:2], v3, off
	s_or_b32 exec_lo, exec_lo, s5
	v_cmp_gt_i32_e32 vcc_lo, s0, v0
	s_and_saveexec_b32 s0, vcc_lo
	s_cbranch_execnz .LBB18_7
	s_branch .LBB18_8
	.section	.rodata,"a",@progbits
	.p2align	6, 0x0
	.amdhsa_kernel _ZN2at6native29vectorized_elementwise_kernelILi4ENS0_11FillFunctorIiEESt5arrayIPcLm1EEEEviT0_T1_
		.amdhsa_group_segment_fixed_size 0
		.amdhsa_private_segment_fixed_size 0
		.amdhsa_kernarg_size 16
		.amdhsa_user_sgpr_count 15
		.amdhsa_user_sgpr_dispatch_ptr 0
		.amdhsa_user_sgpr_queue_ptr 0
		.amdhsa_user_sgpr_kernarg_segment_ptr 1
		.amdhsa_user_sgpr_dispatch_id 0
		.amdhsa_user_sgpr_private_segment_size 0
		.amdhsa_wavefront_size32 1
		.amdhsa_uses_dynamic_stack 0
		.amdhsa_enable_private_segment 0
		.amdhsa_system_sgpr_workgroup_id_x 1
		.amdhsa_system_sgpr_workgroup_id_y 0
		.amdhsa_system_sgpr_workgroup_id_z 0
		.amdhsa_system_sgpr_workgroup_info 0
		.amdhsa_system_vgpr_workitem_id 0
		.amdhsa_next_free_vgpr 6
		.amdhsa_next_free_sgpr 16
		.amdhsa_reserve_vcc 1
		.amdhsa_float_round_mode_32 0
		.amdhsa_float_round_mode_16_64 0
		.amdhsa_float_denorm_mode_32 3
		.amdhsa_float_denorm_mode_16_64 3
		.amdhsa_dx10_clamp 1
		.amdhsa_ieee_mode 1
		.amdhsa_fp16_overflow 0
		.amdhsa_workgroup_processor_mode 1
		.amdhsa_memory_ordered 1
		.amdhsa_forward_progress 0
		.amdhsa_shared_vgpr_count 0
		.amdhsa_exception_fp_ieee_invalid_op 0
		.amdhsa_exception_fp_denorm_src 0
		.amdhsa_exception_fp_ieee_div_zero 0
		.amdhsa_exception_fp_ieee_overflow 0
		.amdhsa_exception_fp_ieee_underflow 0
		.amdhsa_exception_fp_ieee_inexact 0
		.amdhsa_exception_int_div_zero 0
	.end_amdhsa_kernel
	.section	.text._ZN2at6native29vectorized_elementwise_kernelILi4ENS0_11FillFunctorIiEESt5arrayIPcLm1EEEEviT0_T1_,"axG",@progbits,_ZN2at6native29vectorized_elementwise_kernelILi4ENS0_11FillFunctorIiEESt5arrayIPcLm1EEEEviT0_T1_,comdat
.Lfunc_end18:
	.size	_ZN2at6native29vectorized_elementwise_kernelILi4ENS0_11FillFunctorIiEESt5arrayIPcLm1EEEEviT0_T1_, .Lfunc_end18-_ZN2at6native29vectorized_elementwise_kernelILi4ENS0_11FillFunctorIiEESt5arrayIPcLm1EEEEviT0_T1_
                                        ; -- End function
	.section	.AMDGPU.csdata,"",@progbits
; Kernel info:
; codeLenInByte = 460
; NumSgprs: 18
; NumVgprs: 6
; ScratchSize: 0
; MemoryBound: 0
; FloatMode: 240
; IeeeMode: 1
; LDSByteSize: 0 bytes/workgroup (compile time only)
; SGPRBlocks: 2
; VGPRBlocks: 0
; NumSGPRsForWavesPerEU: 18
; NumVGPRsForWavesPerEU: 6
; Occupancy: 16
; WaveLimiterHint : 0
; COMPUTE_PGM_RSRC2:SCRATCH_EN: 0
; COMPUTE_PGM_RSRC2:USER_SGPR: 15
; COMPUTE_PGM_RSRC2:TRAP_HANDLER: 0
; COMPUTE_PGM_RSRC2:TGID_X_EN: 1
; COMPUTE_PGM_RSRC2:TGID_Y_EN: 0
; COMPUTE_PGM_RSRC2:TGID_Z_EN: 0
; COMPUTE_PGM_RSRC2:TIDIG_COMP_CNT: 0
	.section	.text._ZN2at6native29vectorized_elementwise_kernelILi2ENS0_11FillFunctorIiEESt5arrayIPcLm1EEEEviT0_T1_,"axG",@progbits,_ZN2at6native29vectorized_elementwise_kernelILi2ENS0_11FillFunctorIiEESt5arrayIPcLm1EEEEviT0_T1_,comdat
	.protected	_ZN2at6native29vectorized_elementwise_kernelILi2ENS0_11FillFunctorIiEESt5arrayIPcLm1EEEEviT0_T1_ ; -- Begin function _ZN2at6native29vectorized_elementwise_kernelILi2ENS0_11FillFunctorIiEESt5arrayIPcLm1EEEEviT0_T1_
	.globl	_ZN2at6native29vectorized_elementwise_kernelILi2ENS0_11FillFunctorIiEESt5arrayIPcLm1EEEEviT0_T1_
	.p2align	8
	.type	_ZN2at6native29vectorized_elementwise_kernelILi2ENS0_11FillFunctorIiEESt5arrayIPcLm1EEEEviT0_T1_,@function
_ZN2at6native29vectorized_elementwise_kernelILi2ENS0_11FillFunctorIiEESt5arrayIPcLm1EEEEviT0_T1_: ; @_ZN2at6native29vectorized_elementwise_kernelILi2ENS0_11FillFunctorIiEESt5arrayIPcLm1EEEEviT0_T1_
; %bb.0:
	s_load_b128 s[0:3], s[0:1], 0x0
	s_lshl_b32 s4, s15, 10
	s_waitcnt lgkmcnt(0)
	s_sub_i32 s6, s0, s4
	s_mov_b32 s0, -1
	s_cmpk_gt_i32 s6, 0x3ff
	s_cbranch_scc0 .LBB19_2
; %bb.1:
	s_ashr_i32 s5, s4, 31
	s_mov_b32 s0, s1
	v_dual_mov_b32 v2, s1 :: v_dual_lshlrev_b32 v3, 3, v0
	s_lshl_b64 s[8:9], s[4:5], 2
	v_mov_b32_e32 v1, s0
	s_add_u32 s8, s2, s8
	s_addc_u32 s9, s3, s9
	s_mov_b32 s0, 0
	s_clause 0x1
	global_store_b64 v3, v[1:2], s[8:9]
	global_store_b64 v3, v[1:2], s[8:9] offset:2048
.LBB19_2:
	s_and_not1_b32 vcc_lo, exec_lo, s0
	s_cbranch_vccnz .LBB19_8
; %bb.3:
	s_mov_b32 s0, exec_lo
	v_cmpx_gt_i32_e64 s6, v0
	s_cbranch_execnz .LBB19_9
; %bb.4:
	s_or_b32 exec_lo, exec_lo, s0
	s_delay_alu instid0(SALU_CYCLE_1)
	s_mov_b32 s0, exec_lo
	v_cmpx_gt_i32_e64 s6, v0
	s_cbranch_execnz .LBB19_10
.LBB19_5:
	s_or_b32 exec_lo, exec_lo, s0
	s_delay_alu instid0(SALU_CYCLE_1)
	s_mov_b32 s0, exec_lo
	v_cmpx_gt_i32_e64 s6, v0
	s_cbranch_execnz .LBB19_11
.LBB19_6:
	s_or_b32 exec_lo, exec_lo, s0
	s_delay_alu instid0(SALU_CYCLE_1)
	s_mov_b32 s0, exec_lo
	v_cmpx_gt_i32_e64 s6, v0
	s_cbranch_execz .LBB19_8
.LBB19_7:
	v_dual_mov_b32 v1, 0 :: v_dual_add_nc_u32 v0, s4, v0
	v_mov_b32_e32 v2, s1
	s_delay_alu instid0(VALU_DEP_2) | instskip(NEXT) | instid1(VALU_DEP_1)
	v_lshlrev_b64 v[0:1], 2, v[0:1]
	v_add_co_u32 v0, vcc_lo, s2, v0
	s_delay_alu instid0(VALU_DEP_2)
	v_add_co_ci_u32_e32 v1, vcc_lo, s3, v1, vcc_lo
	global_store_b32 v[0:1], v2, off
.LBB19_8:
	s_nop 0
	s_sendmsg sendmsg(MSG_DEALLOC_VGPRS)
	s_endpgm
.LBB19_9:
	v_or_b32_e32 v1, s4, v0
	v_dual_mov_b32 v2, 0 :: v_dual_mov_b32 v3, s1
	v_or_b32_e32 v0, 0x100, v0
	s_delay_alu instid0(VALU_DEP_2) | instskip(NEXT) | instid1(VALU_DEP_1)
	v_lshlrev_b64 v[1:2], 2, v[1:2]
	v_add_co_u32 v1, vcc_lo, s2, v1
	s_delay_alu instid0(VALU_DEP_2) | instskip(SKIP_2) | instid1(SALU_CYCLE_1)
	v_add_co_ci_u32_e32 v2, vcc_lo, s3, v2, vcc_lo
	global_store_b32 v[1:2], v3, off
	s_or_b32 exec_lo, exec_lo, s0
	s_mov_b32 s0, exec_lo
	v_cmpx_gt_i32_e64 s6, v0
	s_cbranch_execz .LBB19_5
.LBB19_10:
	v_dual_mov_b32 v2, 0 :: v_dual_add_nc_u32 v1, s4, v0
	v_dual_mov_b32 v3, s1 :: v_dual_add_nc_u32 v0, 0x100, v0
	s_delay_alu instid0(VALU_DEP_2) | instskip(NEXT) | instid1(VALU_DEP_1)
	v_lshlrev_b64 v[1:2], 2, v[1:2]
	v_add_co_u32 v1, vcc_lo, s2, v1
	s_delay_alu instid0(VALU_DEP_2) | instskip(SKIP_2) | instid1(SALU_CYCLE_1)
	v_add_co_ci_u32_e32 v2, vcc_lo, s3, v2, vcc_lo
	global_store_b32 v[1:2], v3, off
	s_or_b32 exec_lo, exec_lo, s0
	s_mov_b32 s0, exec_lo
	v_cmpx_gt_i32_e64 s6, v0
	s_cbranch_execz .LBB19_6
.LBB19_11:
	v_dual_mov_b32 v2, 0 :: v_dual_add_nc_u32 v1, s4, v0
	v_dual_mov_b32 v3, s1 :: v_dual_add_nc_u32 v0, 0x100, v0
	s_delay_alu instid0(VALU_DEP_2) | instskip(NEXT) | instid1(VALU_DEP_1)
	v_lshlrev_b64 v[1:2], 2, v[1:2]
	v_add_co_u32 v1, vcc_lo, s2, v1
	s_delay_alu instid0(VALU_DEP_2) | instskip(SKIP_2) | instid1(SALU_CYCLE_1)
	v_add_co_ci_u32_e32 v2, vcc_lo, s3, v2, vcc_lo
	global_store_b32 v[1:2], v3, off
	s_or_b32 exec_lo, exec_lo, s0
	s_mov_b32 s0, exec_lo
	v_cmpx_gt_i32_e64 s6, v0
	s_cbranch_execnz .LBB19_7
	s_branch .LBB19_8
	.section	.rodata,"a",@progbits
	.p2align	6, 0x0
	.amdhsa_kernel _ZN2at6native29vectorized_elementwise_kernelILi2ENS0_11FillFunctorIiEESt5arrayIPcLm1EEEEviT0_T1_
		.amdhsa_group_segment_fixed_size 0
		.amdhsa_private_segment_fixed_size 0
		.amdhsa_kernarg_size 16
		.amdhsa_user_sgpr_count 15
		.amdhsa_user_sgpr_dispatch_ptr 0
		.amdhsa_user_sgpr_queue_ptr 0
		.amdhsa_user_sgpr_kernarg_segment_ptr 1
		.amdhsa_user_sgpr_dispatch_id 0
		.amdhsa_user_sgpr_private_segment_size 0
		.amdhsa_wavefront_size32 1
		.amdhsa_uses_dynamic_stack 0
		.amdhsa_enable_private_segment 0
		.amdhsa_system_sgpr_workgroup_id_x 1
		.amdhsa_system_sgpr_workgroup_id_y 0
		.amdhsa_system_sgpr_workgroup_id_z 0
		.amdhsa_system_sgpr_workgroup_info 0
		.amdhsa_system_vgpr_workitem_id 0
		.amdhsa_next_free_vgpr 4
		.amdhsa_next_free_sgpr 16
		.amdhsa_reserve_vcc 1
		.amdhsa_float_round_mode_32 0
		.amdhsa_float_round_mode_16_64 0
		.amdhsa_float_denorm_mode_32 3
		.amdhsa_float_denorm_mode_16_64 3
		.amdhsa_dx10_clamp 1
		.amdhsa_ieee_mode 1
		.amdhsa_fp16_overflow 0
		.amdhsa_workgroup_processor_mode 1
		.amdhsa_memory_ordered 1
		.amdhsa_forward_progress 0
		.amdhsa_shared_vgpr_count 0
		.amdhsa_exception_fp_ieee_invalid_op 0
		.amdhsa_exception_fp_denorm_src 0
		.amdhsa_exception_fp_ieee_div_zero 0
		.amdhsa_exception_fp_ieee_overflow 0
		.amdhsa_exception_fp_ieee_underflow 0
		.amdhsa_exception_fp_ieee_inexact 0
		.amdhsa_exception_int_div_zero 0
	.end_amdhsa_kernel
	.section	.text._ZN2at6native29vectorized_elementwise_kernelILi2ENS0_11FillFunctorIiEESt5arrayIPcLm1EEEEviT0_T1_,"axG",@progbits,_ZN2at6native29vectorized_elementwise_kernelILi2ENS0_11FillFunctorIiEESt5arrayIPcLm1EEEEviT0_T1_,comdat
.Lfunc_end19:
	.size	_ZN2at6native29vectorized_elementwise_kernelILi2ENS0_11FillFunctorIiEESt5arrayIPcLm1EEEEviT0_T1_, .Lfunc_end19-_ZN2at6native29vectorized_elementwise_kernelILi2ENS0_11FillFunctorIiEESt5arrayIPcLm1EEEEviT0_T1_
                                        ; -- End function
	.section	.AMDGPU.csdata,"",@progbits
; Kernel info:
; codeLenInByte = 476
; NumSgprs: 18
; NumVgprs: 4
; ScratchSize: 0
; MemoryBound: 0
; FloatMode: 240
; IeeeMode: 1
; LDSByteSize: 0 bytes/workgroup (compile time only)
; SGPRBlocks: 2
; VGPRBlocks: 0
; NumSGPRsForWavesPerEU: 18
; NumVGPRsForWavesPerEU: 4
; Occupancy: 16
; WaveLimiterHint : 1
; COMPUTE_PGM_RSRC2:SCRATCH_EN: 0
; COMPUTE_PGM_RSRC2:USER_SGPR: 15
; COMPUTE_PGM_RSRC2:TRAP_HANDLER: 0
; COMPUTE_PGM_RSRC2:TGID_X_EN: 1
; COMPUTE_PGM_RSRC2:TGID_Y_EN: 0
; COMPUTE_PGM_RSRC2:TGID_Z_EN: 0
; COMPUTE_PGM_RSRC2:TIDIG_COMP_CNT: 0
	.section	.text._ZN2at6native27unrolled_elementwise_kernelINS0_11FillFunctorIiEESt5arrayIPcLm1EELi4E23TrivialOffsetCalculatorILi0EjES7_ILi1EjENS0_6memory15LoadWithoutCastENSA_16StoreWithoutCastEEEviT_T0_T2_T3_T4_T5_,"axG",@progbits,_ZN2at6native27unrolled_elementwise_kernelINS0_11FillFunctorIiEESt5arrayIPcLm1EELi4E23TrivialOffsetCalculatorILi0EjES7_ILi1EjENS0_6memory15LoadWithoutCastENSA_16StoreWithoutCastEEEviT_T0_T2_T3_T4_T5_,comdat
	.protected	_ZN2at6native27unrolled_elementwise_kernelINS0_11FillFunctorIiEESt5arrayIPcLm1EELi4E23TrivialOffsetCalculatorILi0EjES7_ILi1EjENS0_6memory15LoadWithoutCastENSA_16StoreWithoutCastEEEviT_T0_T2_T3_T4_T5_ ; -- Begin function _ZN2at6native27unrolled_elementwise_kernelINS0_11FillFunctorIiEESt5arrayIPcLm1EELi4E23TrivialOffsetCalculatorILi0EjES7_ILi1EjENS0_6memory15LoadWithoutCastENSA_16StoreWithoutCastEEEviT_T0_T2_T3_T4_T5_
	.globl	_ZN2at6native27unrolled_elementwise_kernelINS0_11FillFunctorIiEESt5arrayIPcLm1EELi4E23TrivialOffsetCalculatorILi0EjES7_ILi1EjENS0_6memory15LoadWithoutCastENSA_16StoreWithoutCastEEEviT_T0_T2_T3_T4_T5_
	.p2align	8
	.type	_ZN2at6native27unrolled_elementwise_kernelINS0_11FillFunctorIiEESt5arrayIPcLm1EELi4E23TrivialOffsetCalculatorILi0EjES7_ILi1EjENS0_6memory15LoadWithoutCastENSA_16StoreWithoutCastEEEviT_T0_T2_T3_T4_T5_,@function
_ZN2at6native27unrolled_elementwise_kernelINS0_11FillFunctorIiEESt5arrayIPcLm1EELi4E23TrivialOffsetCalculatorILi0EjES7_ILi1EjENS0_6memory15LoadWithoutCastENSA_16StoreWithoutCastEEEviT_T0_T2_T3_T4_T5_: ; @_ZN2at6native27unrolled_elementwise_kernelINS0_11FillFunctorIiEESt5arrayIPcLm1EELi4E23TrivialOffsetCalculatorILi0EjES7_ILi1EjENS0_6memory15LoadWithoutCastENSA_16StoreWithoutCastEEEviT_T0_T2_T3_T4_T5_
; %bb.0:
	s_load_b128 s[0:3], s[0:1], 0x0
	s_lshl_b32 s4, s15, 10
	s_mov_b32 s5, exec_lo
	s_waitcnt lgkmcnt(0)
	s_sub_i32 s0, s0, s4
	s_delay_alu instid0(SALU_CYCLE_1)
	v_cmpx_gt_i32_e64 s0, v0
	s_cbranch_execnz .LBB20_5
; %bb.1:
	s_or_b32 exec_lo, exec_lo, s5
	s_delay_alu instid0(SALU_CYCLE_1)
	s_mov_b32 s5, exec_lo
	v_cmpx_gt_i32_e64 s0, v0
	s_cbranch_execnz .LBB20_6
.LBB20_2:
	s_or_b32 exec_lo, exec_lo, s5
	s_delay_alu instid0(SALU_CYCLE_1)
	s_mov_b32 s5, exec_lo
	v_cmpx_gt_i32_e64 s0, v0
	s_cbranch_execnz .LBB20_7
.LBB20_3:
	s_or_b32 exec_lo, exec_lo, s5
	v_cmp_gt_i32_e32 vcc_lo, s0, v0
	s_and_saveexec_b32 s0, vcc_lo
	s_cbranch_execnz .LBB20_8
.LBB20_4:
	s_nop 0
	s_sendmsg sendmsg(MSG_DEALLOC_VGPRS)
	s_endpgm
.LBB20_5:
	v_or_b32_e32 v1, s4, v0
	v_dual_mov_b32 v2, 0 :: v_dual_mov_b32 v3, s1
	v_or_b32_e32 v0, 0x100, v0
	s_delay_alu instid0(VALU_DEP_2) | instskip(NEXT) | instid1(VALU_DEP_1)
	v_lshlrev_b64 v[1:2], 2, v[1:2]
	v_add_co_u32 v1, vcc_lo, s2, v1
	s_delay_alu instid0(VALU_DEP_2) | instskip(SKIP_2) | instid1(SALU_CYCLE_1)
	v_add_co_ci_u32_e32 v2, vcc_lo, s3, v2, vcc_lo
	global_store_b32 v[1:2], v3, off
	s_or_b32 exec_lo, exec_lo, s5
	s_mov_b32 s5, exec_lo
	v_cmpx_gt_i32_e64 s0, v0
	s_cbranch_execz .LBB20_2
.LBB20_6:
	v_dual_mov_b32 v2, 0 :: v_dual_add_nc_u32 v1, s4, v0
	v_dual_mov_b32 v3, s1 :: v_dual_add_nc_u32 v0, 0x100, v0
	s_delay_alu instid0(VALU_DEP_2) | instskip(NEXT) | instid1(VALU_DEP_1)
	v_lshlrev_b64 v[1:2], 2, v[1:2]
	v_add_co_u32 v1, vcc_lo, s2, v1
	s_delay_alu instid0(VALU_DEP_2) | instskip(SKIP_2) | instid1(SALU_CYCLE_1)
	v_add_co_ci_u32_e32 v2, vcc_lo, s3, v2, vcc_lo
	global_store_b32 v[1:2], v3, off
	s_or_b32 exec_lo, exec_lo, s5
	s_mov_b32 s5, exec_lo
	v_cmpx_gt_i32_e64 s0, v0
	s_cbranch_execz .LBB20_3
.LBB20_7:
	v_dual_mov_b32 v2, 0 :: v_dual_add_nc_u32 v1, s4, v0
	v_dual_mov_b32 v3, s1 :: v_dual_add_nc_u32 v0, 0x100, v0
	s_delay_alu instid0(VALU_DEP_2) | instskip(NEXT) | instid1(VALU_DEP_1)
	v_lshlrev_b64 v[1:2], 2, v[1:2]
	v_add_co_u32 v1, vcc_lo, s2, v1
	s_delay_alu instid0(VALU_DEP_2)
	v_add_co_ci_u32_e32 v2, vcc_lo, s3, v2, vcc_lo
	global_store_b32 v[1:2], v3, off
	s_or_b32 exec_lo, exec_lo, s5
	v_cmp_gt_i32_e32 vcc_lo, s0, v0
	s_and_saveexec_b32 s0, vcc_lo
	s_cbranch_execz .LBB20_4
.LBB20_8:
	v_dual_mov_b32 v1, 0 :: v_dual_add_nc_u32 v0, s4, v0
	v_mov_b32_e32 v2, s1
	s_delay_alu instid0(VALU_DEP_2) | instskip(NEXT) | instid1(VALU_DEP_1)
	v_lshlrev_b64 v[0:1], 2, v[0:1]
	v_add_co_u32 v0, vcc_lo, s2, v0
	s_delay_alu instid0(VALU_DEP_2)
	v_add_co_ci_u32_e32 v1, vcc_lo, s3, v1, vcc_lo
	global_store_b32 v[0:1], v2, off
	s_nop 0
	s_sendmsg sendmsg(MSG_DEALLOC_VGPRS)
	s_endpgm
	.section	.rodata,"a",@progbits
	.p2align	6, 0x0
	.amdhsa_kernel _ZN2at6native27unrolled_elementwise_kernelINS0_11FillFunctorIiEESt5arrayIPcLm1EELi4E23TrivialOffsetCalculatorILi0EjES7_ILi1EjENS0_6memory15LoadWithoutCastENSA_16StoreWithoutCastEEEviT_T0_T2_T3_T4_T5_
		.amdhsa_group_segment_fixed_size 0
		.amdhsa_private_segment_fixed_size 0
		.amdhsa_kernarg_size 20
		.amdhsa_user_sgpr_count 15
		.amdhsa_user_sgpr_dispatch_ptr 0
		.amdhsa_user_sgpr_queue_ptr 0
		.amdhsa_user_sgpr_kernarg_segment_ptr 1
		.amdhsa_user_sgpr_dispatch_id 0
		.amdhsa_user_sgpr_private_segment_size 0
		.amdhsa_wavefront_size32 1
		.amdhsa_uses_dynamic_stack 0
		.amdhsa_enable_private_segment 0
		.amdhsa_system_sgpr_workgroup_id_x 1
		.amdhsa_system_sgpr_workgroup_id_y 0
		.amdhsa_system_sgpr_workgroup_id_z 0
		.amdhsa_system_sgpr_workgroup_info 0
		.amdhsa_system_vgpr_workitem_id 0
		.amdhsa_next_free_vgpr 4
		.amdhsa_next_free_sgpr 16
		.amdhsa_reserve_vcc 1
		.amdhsa_float_round_mode_32 0
		.amdhsa_float_round_mode_16_64 0
		.amdhsa_float_denorm_mode_32 3
		.amdhsa_float_denorm_mode_16_64 3
		.amdhsa_dx10_clamp 1
		.amdhsa_ieee_mode 1
		.amdhsa_fp16_overflow 0
		.amdhsa_workgroup_processor_mode 1
		.amdhsa_memory_ordered 1
		.amdhsa_forward_progress 0
		.amdhsa_shared_vgpr_count 0
		.amdhsa_exception_fp_ieee_invalid_op 0
		.amdhsa_exception_fp_denorm_src 0
		.amdhsa_exception_fp_ieee_div_zero 0
		.amdhsa_exception_fp_ieee_overflow 0
		.amdhsa_exception_fp_ieee_underflow 0
		.amdhsa_exception_fp_ieee_inexact 0
		.amdhsa_exception_int_div_zero 0
	.end_amdhsa_kernel
	.section	.text._ZN2at6native27unrolled_elementwise_kernelINS0_11FillFunctorIiEESt5arrayIPcLm1EELi4E23TrivialOffsetCalculatorILi0EjES7_ILi1EjENS0_6memory15LoadWithoutCastENSA_16StoreWithoutCastEEEviT_T0_T2_T3_T4_T5_,"axG",@progbits,_ZN2at6native27unrolled_elementwise_kernelINS0_11FillFunctorIiEESt5arrayIPcLm1EELi4E23TrivialOffsetCalculatorILi0EjES7_ILi1EjENS0_6memory15LoadWithoutCastENSA_16StoreWithoutCastEEEviT_T0_T2_T3_T4_T5_,comdat
.Lfunc_end20:
	.size	_ZN2at6native27unrolled_elementwise_kernelINS0_11FillFunctorIiEESt5arrayIPcLm1EELi4E23TrivialOffsetCalculatorILi0EjES7_ILi1EjENS0_6memory15LoadWithoutCastENSA_16StoreWithoutCastEEEviT_T0_T2_T3_T4_T5_, .Lfunc_end20-_ZN2at6native27unrolled_elementwise_kernelINS0_11FillFunctorIiEESt5arrayIPcLm1EELi4E23TrivialOffsetCalculatorILi0EjES7_ILi1EjENS0_6memory15LoadWithoutCastENSA_16StoreWithoutCastEEEviT_T0_T2_T3_T4_T5_
                                        ; -- End function
	.section	.AMDGPU.csdata,"",@progbits
; Kernel info:
; codeLenInByte = 400
; NumSgprs: 18
; NumVgprs: 4
; ScratchSize: 0
; MemoryBound: 0
; FloatMode: 240
; IeeeMode: 1
; LDSByteSize: 0 bytes/workgroup (compile time only)
; SGPRBlocks: 2
; VGPRBlocks: 0
; NumSGPRsForWavesPerEU: 18
; NumVGPRsForWavesPerEU: 4
; Occupancy: 16
; WaveLimiterHint : 0
; COMPUTE_PGM_RSRC2:SCRATCH_EN: 0
; COMPUTE_PGM_RSRC2:USER_SGPR: 15
; COMPUTE_PGM_RSRC2:TRAP_HANDLER: 0
; COMPUTE_PGM_RSRC2:TGID_X_EN: 1
; COMPUTE_PGM_RSRC2:TGID_Y_EN: 0
; COMPUTE_PGM_RSRC2:TGID_Z_EN: 0
; COMPUTE_PGM_RSRC2:TIDIG_COMP_CNT: 0
	.section	.text._ZN2at6native32elementwise_kernel_manual_unrollILi128ELi4EZNS0_22gpu_kernel_impl_nocastINS0_11FillFunctorIiEEEEvRNS_18TensorIteratorBaseERKT_EUlibE_EEviT1_,"axG",@progbits,_ZN2at6native32elementwise_kernel_manual_unrollILi128ELi4EZNS0_22gpu_kernel_impl_nocastINS0_11FillFunctorIiEEEEvRNS_18TensorIteratorBaseERKT_EUlibE_EEviT1_,comdat
	.protected	_ZN2at6native32elementwise_kernel_manual_unrollILi128ELi4EZNS0_22gpu_kernel_impl_nocastINS0_11FillFunctorIiEEEEvRNS_18TensorIteratorBaseERKT_EUlibE_EEviT1_ ; -- Begin function _ZN2at6native32elementwise_kernel_manual_unrollILi128ELi4EZNS0_22gpu_kernel_impl_nocastINS0_11FillFunctorIiEEEEvRNS_18TensorIteratorBaseERKT_EUlibE_EEviT1_
	.globl	_ZN2at6native32elementwise_kernel_manual_unrollILi128ELi4EZNS0_22gpu_kernel_impl_nocastINS0_11FillFunctorIiEEEEvRNS_18TensorIteratorBaseERKT_EUlibE_EEviT1_
	.p2align	8
	.type	_ZN2at6native32elementwise_kernel_manual_unrollILi128ELi4EZNS0_22gpu_kernel_impl_nocastINS0_11FillFunctorIiEEEEvRNS_18TensorIteratorBaseERKT_EUlibE_EEviT1_,@function
_ZN2at6native32elementwise_kernel_manual_unrollILi128ELi4EZNS0_22gpu_kernel_impl_nocastINS0_11FillFunctorIiEEEEvRNS_18TensorIteratorBaseERKT_EUlibE_EEviT1_: ; @_ZN2at6native32elementwise_kernel_manual_unrollILi128ELi4EZNS0_22gpu_kernel_impl_nocastINS0_11FillFunctorIiEEEEvRNS_18TensorIteratorBaseERKT_EUlibE_EEviT1_
; %bb.0:
	s_clause 0x1
	s_load_b32 s18, s[0:1], 0x8
	s_load_b32 s24, s[0:1], 0x0
	v_lshl_or_b32 v2, s15, 9, v0
	s_or_b32 s0, s0, 8
	s_mov_b32 s2, exec_lo
	s_delay_alu instid0(VALU_DEP_1) | instskip(SKIP_2) | instid1(SALU_CYCLE_1)
	v_or_b32_e32 v4, 0x180, v2
	s_waitcnt lgkmcnt(0)
	s_add_i32 s19, s18, -1
	s_cmp_gt_u32 s19, 1
	s_cselect_b32 s20, -1, 0
	v_cmpx_le_i32_e64 s24, v4
	s_xor_b32 s21, exec_lo, s2
	s_cbranch_execz .LBB21_7
; %bb.1:
	s_clause 0x4
	s_load_b128 s[4:7], s[0:1], 0x4
	s_load_b64 s[10:11], s[0:1], 0x14
	s_load_b64 s[8:9], s[0:1], 0xc4
	;; [unrolled: 1-line block ×3, first 2 shown]
	s_load_b32 s22, s[0:1], 0x110
	s_cmp_lg_u32 s18, 0
	s_mov_b32 s27, exec_lo
	s_cselect_b32 s26, -1, 0
	s_add_u32 s12, s0, 0xc4
	s_addc_u32 s13, s1, 0
	s_min_u32 s25, s19, 15
	s_cmp_gt_u32 s18, 1
	s_cselect_b32 s23, -1, 0
	v_cmpx_gt_i32_e64 s24, v2
	s_cbranch_execz .LBB21_14
; %bb.2:
	s_and_not1_b32 vcc_lo, exec_lo, s20
	s_cbranch_vccnz .LBB21_21
; %bb.3:
	v_mov_b32_e32 v0, 0
	s_and_not1_b32 vcc_lo, exec_lo, s26
	s_cbranch_vccnz .LBB21_73
; %bb.4:
	s_add_i32 s29, s25, 1
	s_cmp_eq_u32 s19, 2
	s_mov_b32 s28, 0
	s_cbranch_scc1 .LBB21_69
; %bb.5:
	v_dual_mov_b32 v0, 0 :: v_dual_mov_b32 v1, v2
	s_and_b32 s28, s29, 28
	s_mov_b32 s30, 0
	s_mov_b64 s[14:15], s[0:1]
	s_mov_b64 s[16:17], s[12:13]
.LBB21_6:                               ; =>This Inner Loop Header: Depth=1
	s_clause 0x1
	s_load_b256 s[36:43], s[14:15], 0x4
	s_load_b128 s[44:47], s[14:15], 0x24
	s_load_b128 s[48:51], s[16:17], 0x0
	s_add_u32 s14, s14, 48
	s_addc_u32 s15, s15, 0
	s_add_i32 s30, s30, 4
	s_add_u32 s16, s16, 16
	s_addc_u32 s17, s17, 0
	s_cmp_lg_u32 s28, s30
	s_waitcnt lgkmcnt(0)
	v_mul_hi_u32 v3, s37, v1
	s_delay_alu instid0(VALU_DEP_1) | instskip(NEXT) | instid1(VALU_DEP_1)
	v_add_nc_u32_e32 v3, v1, v3
	v_lshrrev_b32_e32 v3, s38, v3
	s_delay_alu instid0(VALU_DEP_1) | instskip(SKIP_1) | instid1(VALU_DEP_2)
	v_mul_hi_u32 v4, s40, v3
	v_mul_lo_u32 v7, v3, s36
	v_add_nc_u32_e32 v4, v3, v4
	s_delay_alu instid0(VALU_DEP_2) | instskip(NEXT) | instid1(VALU_DEP_2)
	v_sub_nc_u32_e32 v7, v1, v7
	v_lshrrev_b32_e32 v4, s41, v4
	s_delay_alu instid0(VALU_DEP_2) | instskip(NEXT) | instid1(VALU_DEP_2)
	v_mul_lo_u32 v7, v7, s48
	v_mul_hi_u32 v5, s43, v4
	v_mul_lo_u32 v8, v4, s39
	s_delay_alu instid0(VALU_DEP_2) | instskip(NEXT) | instid1(VALU_DEP_2)
	v_add_nc_u32_e32 v5, v4, v5
	v_sub_nc_u32_e32 v3, v3, v8
	s_delay_alu instid0(VALU_DEP_2) | instskip(NEXT) | instid1(VALU_DEP_2)
	v_lshrrev_b32_e32 v5, s44, v5
	v_mul_lo_u32 v3, v3, s49
	s_delay_alu instid0(VALU_DEP_2) | instskip(NEXT) | instid1(VALU_DEP_2)
	v_mul_hi_u32 v6, s46, v5
	v_add3_u32 v0, v7, v0, v3
	s_delay_alu instid0(VALU_DEP_2) | instskip(NEXT) | instid1(VALU_DEP_1)
	v_add_nc_u32_e32 v6, v5, v6
	v_lshrrev_b32_e32 v1, s47, v6
	v_mul_lo_u32 v6, v5, s42
	s_delay_alu instid0(VALU_DEP_2) | instskip(NEXT) | instid1(VALU_DEP_2)
	v_mul_lo_u32 v9, v1, s45
	v_sub_nc_u32_e32 v4, v4, v6
	s_delay_alu instid0(VALU_DEP_2) | instskip(NEXT) | instid1(VALU_DEP_2)
	v_sub_nc_u32_e32 v5, v5, v9
	v_mul_lo_u32 v4, v4, s50
	s_delay_alu instid0(VALU_DEP_2) | instskip(NEXT) | instid1(VALU_DEP_1)
	v_mul_lo_u32 v5, v5, s51
	v_add3_u32 v0, v4, v0, v5
	s_cbranch_scc1 .LBB21_6
	s_branch .LBB21_70
.LBB21_7:
	s_and_not1_saveexec_b32 s2, s21
	s_cbranch_execz .LBB21_94
.LBB21_8:
	v_cndmask_b32_e64 v3, 0, 1, s20
	s_and_not1_b32 vcc_lo, exec_lo, s20
	s_cbranch_vccnz .LBB21_20
; %bb.9:
	v_mov_b32_e32 v0, 0
	s_cmp_eq_u32 s18, 0
	s_mov_b32 s6, 0
	s_cbranch_scc1 .LBB21_26
; %bb.10:
	s_min_u32 s7, s19, 15
	v_mov_b32_e32 v0, 0
	s_add_i32 s7, s7, 1
	s_cmp_eq_u32 s19, 2
	s_mov_b32 s8, 0
	s_cbranch_scc1 .LBB21_23
; %bb.11:
	v_dual_mov_b32 v0, 0 :: v_dual_mov_b32 v1, v2
	s_add_u32 s2, s0, 0xc4
	s_addc_u32 s3, s1, 0
	s_and_b32 s8, s7, 28
	s_mov_b32 s9, 0
	s_mov_b64 s[4:5], s[0:1]
.LBB21_12:                              ; =>This Inner Loop Header: Depth=1
	s_clause 0x1
	s_load_b256 s[20:27], s[4:5], 0x4
	s_load_b128 s[12:15], s[4:5], 0x24
	s_load_b128 s[28:31], s[2:3], 0x0
	s_add_u32 s4, s4, 48
	s_addc_u32 s5, s5, 0
	s_add_i32 s9, s9, 4
	s_add_u32 s2, s2, 16
	s_addc_u32 s3, s3, 0
	s_cmp_lg_u32 s8, s9
	s_waitcnt lgkmcnt(0)
	v_mul_hi_u32 v5, s21, v1
	s_delay_alu instid0(VALU_DEP_1) | instskip(NEXT) | instid1(VALU_DEP_1)
	v_add_nc_u32_e32 v5, v1, v5
	v_lshrrev_b32_e32 v5, s22, v5
	s_delay_alu instid0(VALU_DEP_1) | instskip(SKIP_1) | instid1(VALU_DEP_2)
	v_mul_hi_u32 v6, s24, v5
	v_mul_lo_u32 v9, v5, s20
	v_add_nc_u32_e32 v6, v5, v6
	s_delay_alu instid0(VALU_DEP_2) | instskip(NEXT) | instid1(VALU_DEP_2)
	v_sub_nc_u32_e32 v9, v1, v9
	v_lshrrev_b32_e32 v6, s25, v6
	s_delay_alu instid0(VALU_DEP_2) | instskip(NEXT) | instid1(VALU_DEP_2)
	v_mul_lo_u32 v9, v9, s28
	v_mul_hi_u32 v7, s27, v6
	v_mul_lo_u32 v10, v6, s23
	s_delay_alu instid0(VALU_DEP_2) | instskip(NEXT) | instid1(VALU_DEP_2)
	v_add_nc_u32_e32 v7, v6, v7
	v_sub_nc_u32_e32 v5, v5, v10
	s_delay_alu instid0(VALU_DEP_2) | instskip(NEXT) | instid1(VALU_DEP_2)
	v_lshrrev_b32_e32 v7, s12, v7
	v_mul_lo_u32 v5, v5, s29
	s_delay_alu instid0(VALU_DEP_2) | instskip(NEXT) | instid1(VALU_DEP_2)
	v_mul_hi_u32 v8, s14, v7
	v_add3_u32 v0, v9, v0, v5
	s_delay_alu instid0(VALU_DEP_2) | instskip(NEXT) | instid1(VALU_DEP_1)
	v_add_nc_u32_e32 v8, v7, v8
	v_lshrrev_b32_e32 v1, s15, v8
	v_mul_lo_u32 v8, v7, s26
	s_delay_alu instid0(VALU_DEP_2) | instskip(NEXT) | instid1(VALU_DEP_2)
	v_mul_lo_u32 v11, v1, s13
	v_sub_nc_u32_e32 v6, v6, v8
	s_delay_alu instid0(VALU_DEP_2) | instskip(NEXT) | instid1(VALU_DEP_2)
	v_sub_nc_u32_e32 v7, v7, v11
	v_mul_lo_u32 v6, v6, s30
	s_delay_alu instid0(VALU_DEP_2) | instskip(NEXT) | instid1(VALU_DEP_1)
	v_mul_lo_u32 v7, v7, s31
	v_add3_u32 v0, v6, v0, v7
	s_cbranch_scc1 .LBB21_12
; %bb.13:
	s_and_b32 s7, s7, 3
	s_delay_alu instid0(SALU_CYCLE_1)
	s_cmp_eq_u32 s7, 0
	s_cbranch_scc0 .LBB21_24
	s_branch .LBB21_26
.LBB21_14:
	s_or_b32 exec_lo, exec_lo, s27
	s_delay_alu instid0(SALU_CYCLE_1)
	s_mov_b32 s27, exec_lo
	v_cmpx_gt_i32_e64 s24, v2
	s_cbranch_execz .LBB21_77
.LBB21_15:
	s_and_not1_b32 vcc_lo, exec_lo, s20
	s_cbranch_vccnz .LBB21_22
; %bb.16:
	v_mov_b32_e32 v0, 0
	s_and_not1_b32 vcc_lo, exec_lo, s26
	s_cbranch_vccnz .LBB21_88
; %bb.17:
	s_add_i32 s29, s25, 1
	s_cmp_eq_u32 s19, 2
	s_mov_b32 s28, 0
	s_cbranch_scc1 .LBB21_84
; %bb.18:
	v_dual_mov_b32 v0, 0 :: v_dual_mov_b32 v1, v2
	s_and_b32 s28, s29, 28
	s_mov_b32 s30, 0
	s_mov_b64 s[14:15], s[0:1]
	s_mov_b64 s[16:17], s[12:13]
.LBB21_19:                              ; =>This Inner Loop Header: Depth=1
	s_clause 0x1
	s_load_b256 s[36:43], s[14:15], 0x4
	s_load_b128 s[44:47], s[14:15], 0x24
	s_load_b128 s[48:51], s[16:17], 0x0
	s_add_u32 s14, s14, 48
	s_addc_u32 s15, s15, 0
	s_add_i32 s30, s30, 4
	s_add_u32 s16, s16, 16
	s_addc_u32 s17, s17, 0
	s_cmp_eq_u32 s28, s30
	s_waitcnt lgkmcnt(0)
	v_mul_hi_u32 v3, s37, v1
	s_delay_alu instid0(VALU_DEP_1) | instskip(NEXT) | instid1(VALU_DEP_1)
	v_add_nc_u32_e32 v3, v1, v3
	v_lshrrev_b32_e32 v3, s38, v3
	s_delay_alu instid0(VALU_DEP_1) | instskip(SKIP_1) | instid1(VALU_DEP_2)
	v_mul_hi_u32 v4, s40, v3
	v_mul_lo_u32 v7, v3, s36
	v_add_nc_u32_e32 v4, v3, v4
	s_delay_alu instid0(VALU_DEP_2) | instskip(NEXT) | instid1(VALU_DEP_2)
	v_sub_nc_u32_e32 v7, v1, v7
	v_lshrrev_b32_e32 v4, s41, v4
	s_delay_alu instid0(VALU_DEP_2) | instskip(NEXT) | instid1(VALU_DEP_2)
	v_mul_lo_u32 v7, v7, s48
	v_mul_hi_u32 v5, s43, v4
	v_mul_lo_u32 v8, v4, s39
	s_delay_alu instid0(VALU_DEP_2) | instskip(NEXT) | instid1(VALU_DEP_2)
	v_add_nc_u32_e32 v5, v4, v5
	v_sub_nc_u32_e32 v3, v3, v8
	s_delay_alu instid0(VALU_DEP_2) | instskip(NEXT) | instid1(VALU_DEP_2)
	v_lshrrev_b32_e32 v5, s44, v5
	v_mul_lo_u32 v3, v3, s49
	s_delay_alu instid0(VALU_DEP_2) | instskip(NEXT) | instid1(VALU_DEP_2)
	v_mul_hi_u32 v6, s46, v5
	v_add3_u32 v0, v7, v0, v3
	s_delay_alu instid0(VALU_DEP_2) | instskip(NEXT) | instid1(VALU_DEP_1)
	v_add_nc_u32_e32 v6, v5, v6
	v_lshrrev_b32_e32 v1, s47, v6
	v_mul_lo_u32 v6, v5, s42
	s_delay_alu instid0(VALU_DEP_2) | instskip(NEXT) | instid1(VALU_DEP_2)
	v_mul_lo_u32 v9, v1, s45
	v_sub_nc_u32_e32 v4, v4, v6
	s_delay_alu instid0(VALU_DEP_2) | instskip(NEXT) | instid1(VALU_DEP_2)
	v_sub_nc_u32_e32 v5, v5, v9
	v_mul_lo_u32 v4, v4, s50
	s_delay_alu instid0(VALU_DEP_2) | instskip(NEXT) | instid1(VALU_DEP_1)
	v_mul_lo_u32 v5, v5, s51
	v_add3_u32 v0, v4, v0, v5
	s_cbranch_scc0 .LBB21_19
	s_branch .LBB21_85
.LBB21_20:
	s_mov_b32 s6, -1
                                        ; implicit-def: $vgpr0
	s_branch .LBB21_26
.LBB21_21:
                                        ; implicit-def: $vgpr0
	s_branch .LBB21_74
.LBB21_22:
                                        ; implicit-def: $vgpr0
	s_branch .LBB21_89
.LBB21_23:
	v_mov_b32_e32 v1, v2
	s_and_b32 s7, s7, 3
	s_delay_alu instid0(SALU_CYCLE_1)
	s_cmp_eq_u32 s7, 0
	s_cbranch_scc1 .LBB21_26
.LBB21_24:
	s_lshl_b32 s2, s8, 2
	s_mul_i32 s4, s8, 12
	s_add_u32 s2, s2, s0
	s_addc_u32 s3, 0, s1
	s_add_u32 s2, s2, 0xc4
	s_addc_u32 s3, s3, 0
	;; [unrolled: 2-line block ×3, first 2 shown]
	.p2align	6
.LBB21_25:                              ; =>This Inner Loop Header: Depth=1
	s_clause 0x1
	s_load_b64 s[8:9], s[4:5], 0x4
	s_load_b32 s10, s[4:5], 0xc
	s_add_u32 s4, s4, 12
	s_addc_u32 s5, s5, 0
	s_waitcnt lgkmcnt(0)
	v_mul_hi_u32 v5, s9, v1
	s_load_b32 s9, s[2:3], 0x0
	s_add_u32 s2, s2, 4
	s_addc_u32 s3, s3, 0
	s_add_i32 s7, s7, -1
	s_delay_alu instid0(SALU_CYCLE_1) | instskip(NEXT) | instid1(VALU_DEP_1)
	s_cmp_lg_u32 s7, 0
	v_add_nc_u32_e32 v5, v1, v5
	s_delay_alu instid0(VALU_DEP_1) | instskip(NEXT) | instid1(VALU_DEP_1)
	v_lshrrev_b32_e32 v7, s10, v5
	v_mul_lo_u32 v5, v7, s8
	s_delay_alu instid0(VALU_DEP_1) | instskip(SKIP_1) | instid1(VALU_DEP_1)
	v_sub_nc_u32_e32 v1, v1, v5
	s_waitcnt lgkmcnt(0)
	v_mad_u64_u32 v[5:6], null, v1, s9, v[0:1]
	s_delay_alu instid0(VALU_DEP_1)
	v_dual_mov_b32 v1, v7 :: v_dual_mov_b32 v0, v5
	s_cbranch_scc1 .LBB21_25
.LBB21_26:
	s_and_not1_b32 vcc_lo, exec_lo, s6
	s_cbranch_vccnz .LBB21_29
; %bb.27:
	s_clause 0x1
	s_load_b128 s[4:7], s[0:1], 0x4
	s_load_b32 s2, s[0:1], 0xc4
	s_cmp_lt_u32 s18, 2
	s_waitcnt lgkmcnt(0)
	v_mul_hi_u32 v0, s5, v2
	s_delay_alu instid0(VALU_DEP_1) | instskip(NEXT) | instid1(VALU_DEP_1)
	v_add_nc_u32_e32 v0, v2, v0
	v_lshrrev_b32_e32 v1, s6, v0
	s_delay_alu instid0(VALU_DEP_1) | instskip(NEXT) | instid1(VALU_DEP_1)
	v_mul_lo_u32 v0, v1, s4
	v_sub_nc_u32_e32 v0, v2, v0
	s_delay_alu instid0(VALU_DEP_1)
	v_mul_lo_u32 v0, v0, s2
	s_cbranch_scc1 .LBB21_29
; %bb.28:
	s_clause 0x1
	s_load_b128 s[4:7], s[0:1], 0x10
	s_load_b32 s2, s[0:1], 0xc8
	s_waitcnt lgkmcnt(0)
	v_mul_hi_u32 v5, s5, v1
	s_delay_alu instid0(VALU_DEP_1) | instskip(NEXT) | instid1(VALU_DEP_1)
	v_add_nc_u32_e32 v5, v1, v5
	v_lshrrev_b32_e32 v5, s6, v5
	s_delay_alu instid0(VALU_DEP_1) | instskip(NEXT) | instid1(VALU_DEP_1)
	v_mul_lo_u32 v5, v5, s4
	v_sub_nc_u32_e32 v1, v1, v5
	s_delay_alu instid0(VALU_DEP_1) | instskip(NEXT) | instid1(VALU_DEP_1)
	v_mad_u64_u32 v[5:6], null, v1, s2, v[0:1]
	v_mov_b32_e32 v0, v5
.LBB21_29:
	v_cmp_ne_u32_e32 vcc_lo, 1, v3
	v_add_nc_u32_e32 v5, 0x80, v2
	s_cbranch_vccnz .LBB21_35
; %bb.30:
	v_mov_b32_e32 v1, 0
	s_cmp_eq_u32 s18, 0
	s_mov_b32 s6, 0
	s_cbranch_scc1 .LBB21_39
; %bb.31:
	s_min_u32 s7, s19, 15
	v_mov_b32_e32 v1, 0
	s_add_i32 s7, s7, 1
	s_cmp_eq_u32 s19, 2
	s_mov_b32 s8, 0
	s_cbranch_scc1 .LBB21_36
; %bb.32:
	v_dual_mov_b32 v1, 0 :: v_dual_mov_b32 v6, v5
	s_add_u32 s2, s0, 0xc4
	s_addc_u32 s3, s1, 0
	s_and_b32 s8, s7, 28
	s_mov_b32 s9, 0
	s_mov_b64 s[4:5], s[0:1]
.LBB21_33:                              ; =>This Inner Loop Header: Depth=1
	s_clause 0x1
	s_load_b256 s[20:27], s[4:5], 0x4
	s_load_b128 s[12:15], s[4:5], 0x24
	s_load_b128 s[28:31], s[2:3], 0x0
	s_add_u32 s4, s4, 48
	s_addc_u32 s5, s5, 0
	s_add_i32 s9, s9, 4
	s_add_u32 s2, s2, 16
	s_addc_u32 s3, s3, 0
	s_cmp_lg_u32 s8, s9
	s_waitcnt lgkmcnt(0)
	v_mul_hi_u32 v7, s21, v6
	s_delay_alu instid0(VALU_DEP_1) | instskip(NEXT) | instid1(VALU_DEP_1)
	v_add_nc_u32_e32 v7, v6, v7
	v_lshrrev_b32_e32 v7, s22, v7
	s_delay_alu instid0(VALU_DEP_1) | instskip(SKIP_1) | instid1(VALU_DEP_2)
	v_mul_hi_u32 v8, s24, v7
	v_mul_lo_u32 v11, v7, s20
	v_add_nc_u32_e32 v8, v7, v8
	s_delay_alu instid0(VALU_DEP_2) | instskip(NEXT) | instid1(VALU_DEP_2)
	v_sub_nc_u32_e32 v11, v6, v11
	v_lshrrev_b32_e32 v8, s25, v8
	s_delay_alu instid0(VALU_DEP_2) | instskip(NEXT) | instid1(VALU_DEP_2)
	v_mul_lo_u32 v11, v11, s28
	v_mul_hi_u32 v9, s27, v8
	v_mul_lo_u32 v12, v8, s23
	s_delay_alu instid0(VALU_DEP_2) | instskip(NEXT) | instid1(VALU_DEP_2)
	v_add_nc_u32_e32 v9, v8, v9
	v_sub_nc_u32_e32 v7, v7, v12
	s_delay_alu instid0(VALU_DEP_2) | instskip(NEXT) | instid1(VALU_DEP_2)
	v_lshrrev_b32_e32 v9, s12, v9
	v_mul_lo_u32 v7, v7, s29
	s_delay_alu instid0(VALU_DEP_2) | instskip(NEXT) | instid1(VALU_DEP_2)
	v_mul_hi_u32 v10, s14, v9
	v_add3_u32 v1, v11, v1, v7
	s_delay_alu instid0(VALU_DEP_2) | instskip(NEXT) | instid1(VALU_DEP_1)
	v_add_nc_u32_e32 v10, v9, v10
	v_lshrrev_b32_e32 v6, s15, v10
	v_mul_lo_u32 v10, v9, s26
	s_delay_alu instid0(VALU_DEP_2) | instskip(NEXT) | instid1(VALU_DEP_2)
	v_mul_lo_u32 v13, v6, s13
	v_sub_nc_u32_e32 v8, v8, v10
	s_delay_alu instid0(VALU_DEP_2) | instskip(NEXT) | instid1(VALU_DEP_2)
	v_sub_nc_u32_e32 v9, v9, v13
	v_mul_lo_u32 v8, v8, s30
	s_delay_alu instid0(VALU_DEP_2) | instskip(NEXT) | instid1(VALU_DEP_1)
	v_mul_lo_u32 v9, v9, s31
	v_add3_u32 v1, v8, v1, v9
	s_cbranch_scc1 .LBB21_33
; %bb.34:
	s_and_b32 s7, s7, 3
	s_delay_alu instid0(SALU_CYCLE_1)
	s_cmp_eq_u32 s7, 0
	s_cbranch_scc0 .LBB21_37
	s_branch .LBB21_39
.LBB21_35:
	s_mov_b32 s6, -1
                                        ; implicit-def: $vgpr1
	s_branch .LBB21_39
.LBB21_36:
	v_mov_b32_e32 v6, v5
	s_and_b32 s7, s7, 3
	s_delay_alu instid0(SALU_CYCLE_1)
	s_cmp_eq_u32 s7, 0
	s_cbranch_scc1 .LBB21_39
.LBB21_37:
	s_lshl_b32 s2, s8, 2
	s_mul_i32 s4, s8, 12
	s_add_u32 s2, s2, s0
	s_addc_u32 s3, 0, s1
	s_add_u32 s2, s2, 0xc4
	s_addc_u32 s3, s3, 0
	;; [unrolled: 2-line block ×3, first 2 shown]
	.p2align	6
.LBB21_38:                              ; =>This Inner Loop Header: Depth=1
	s_clause 0x1
	s_load_b64 s[8:9], s[4:5], 0x4
	s_load_b32 s10, s[4:5], 0xc
	s_add_u32 s4, s4, 12
	s_addc_u32 s5, s5, 0
	s_waitcnt lgkmcnt(0)
	v_mul_hi_u32 v7, s9, v6
	s_load_b32 s9, s[2:3], 0x0
	s_add_u32 s2, s2, 4
	s_addc_u32 s3, s3, 0
	s_add_i32 s7, s7, -1
	s_delay_alu instid0(SALU_CYCLE_1) | instskip(NEXT) | instid1(VALU_DEP_1)
	s_cmp_lg_u32 s7, 0
	v_add_nc_u32_e32 v7, v6, v7
	s_delay_alu instid0(VALU_DEP_1) | instskip(NEXT) | instid1(VALU_DEP_1)
	v_lshrrev_b32_e32 v9, s10, v7
	v_mul_lo_u32 v7, v9, s8
	s_delay_alu instid0(VALU_DEP_1) | instskip(SKIP_1) | instid1(VALU_DEP_1)
	v_sub_nc_u32_e32 v6, v6, v7
	s_waitcnt lgkmcnt(0)
	v_mad_u64_u32 v[7:8], null, v6, s9, v[1:2]
	s_delay_alu instid0(VALU_DEP_1)
	v_dual_mov_b32 v6, v9 :: v_dual_mov_b32 v1, v7
	s_cbranch_scc1 .LBB21_38
.LBB21_39:
	s_and_not1_b32 vcc_lo, exec_lo, s6
	s_cbranch_vccnz .LBB21_42
; %bb.40:
	s_clause 0x1
	s_load_b128 s[4:7], s[0:1], 0x4
	s_load_b32 s2, s[0:1], 0xc4
	s_cmp_lt_u32 s18, 2
	s_waitcnt lgkmcnt(0)
	v_mul_hi_u32 v1, s5, v5
	s_delay_alu instid0(VALU_DEP_1) | instskip(NEXT) | instid1(VALU_DEP_1)
	v_add_nc_u32_e32 v1, v5, v1
	v_lshrrev_b32_e32 v6, s6, v1
	s_delay_alu instid0(VALU_DEP_1) | instskip(NEXT) | instid1(VALU_DEP_1)
	v_mul_lo_u32 v1, v6, s4
	v_sub_nc_u32_e32 v1, v5, v1
	s_delay_alu instid0(VALU_DEP_1)
	v_mul_lo_u32 v1, v1, s2
	s_cbranch_scc1 .LBB21_42
; %bb.41:
	s_clause 0x1
	s_load_b128 s[4:7], s[0:1], 0x10
	s_load_b32 s2, s[0:1], 0xc8
	s_waitcnt lgkmcnt(0)
	v_mul_hi_u32 v5, s5, v6
	s_delay_alu instid0(VALU_DEP_1) | instskip(NEXT) | instid1(VALU_DEP_1)
	v_add_nc_u32_e32 v5, v6, v5
	v_lshrrev_b32_e32 v5, s6, v5
	s_delay_alu instid0(VALU_DEP_1) | instskip(NEXT) | instid1(VALU_DEP_1)
	v_mul_lo_u32 v5, v5, s4
	v_sub_nc_u32_e32 v7, v6, v5
	s_delay_alu instid0(VALU_DEP_1) | instskip(NEXT) | instid1(VALU_DEP_1)
	v_mad_u64_u32 v[5:6], null, v7, s2, v[1:2]
	v_mov_b32_e32 v1, v5
.LBB21_42:
	v_cmp_ne_u32_e32 vcc_lo, 1, v3
	v_add_nc_u32_e32 v5, 0x100, v2
	s_cbranch_vccnz .LBB21_48
; %bb.43:
	v_mov_b32_e32 v2, 0
	s_cmp_eq_u32 s18, 0
	s_mov_b32 s6, 0
	s_cbranch_scc1 .LBB21_52
; %bb.44:
	s_min_u32 s7, s19, 15
	v_mov_b32_e32 v2, 0
	s_add_i32 s7, s7, 1
	s_cmp_eq_u32 s19, 2
	s_mov_b32 s8, 0
	s_cbranch_scc1 .LBB21_49
; %bb.45:
	v_mov_b32_e32 v2, 0
	v_mov_b32_e32 v6, v5
	s_add_u32 s2, s0, 0xc4
	s_addc_u32 s3, s1, 0
	s_and_b32 s8, s7, 28
	s_mov_b32 s9, 0
	s_mov_b64 s[4:5], s[0:1]
.LBB21_46:                              ; =>This Inner Loop Header: Depth=1
	s_clause 0x1
	s_load_b256 s[20:27], s[4:5], 0x4
	s_load_b128 s[12:15], s[4:5], 0x24
	s_load_b128 s[28:31], s[2:3], 0x0
	s_add_u32 s4, s4, 48
	s_addc_u32 s5, s5, 0
	s_add_i32 s9, s9, 4
	s_add_u32 s2, s2, 16
	s_addc_u32 s3, s3, 0
	s_cmp_lg_u32 s8, s9
	s_waitcnt lgkmcnt(0)
	v_mul_hi_u32 v7, s21, v6
	s_delay_alu instid0(VALU_DEP_1) | instskip(NEXT) | instid1(VALU_DEP_1)
	v_add_nc_u32_e32 v7, v6, v7
	v_lshrrev_b32_e32 v7, s22, v7
	s_delay_alu instid0(VALU_DEP_1) | instskip(SKIP_1) | instid1(VALU_DEP_2)
	v_mul_hi_u32 v8, s24, v7
	v_mul_lo_u32 v11, v7, s20
	v_add_nc_u32_e32 v8, v7, v8
	s_delay_alu instid0(VALU_DEP_2) | instskip(NEXT) | instid1(VALU_DEP_2)
	v_sub_nc_u32_e32 v11, v6, v11
	v_lshrrev_b32_e32 v8, s25, v8
	s_delay_alu instid0(VALU_DEP_2) | instskip(NEXT) | instid1(VALU_DEP_2)
	v_mul_lo_u32 v11, v11, s28
	v_mul_hi_u32 v9, s27, v8
	v_mul_lo_u32 v12, v8, s23
	s_delay_alu instid0(VALU_DEP_2) | instskip(NEXT) | instid1(VALU_DEP_2)
	v_add_nc_u32_e32 v9, v8, v9
	v_sub_nc_u32_e32 v7, v7, v12
	s_delay_alu instid0(VALU_DEP_2) | instskip(NEXT) | instid1(VALU_DEP_2)
	v_lshrrev_b32_e32 v9, s12, v9
	v_mul_lo_u32 v7, v7, s29
	s_delay_alu instid0(VALU_DEP_2) | instskip(NEXT) | instid1(VALU_DEP_2)
	v_mul_hi_u32 v10, s14, v9
	v_add3_u32 v2, v11, v2, v7
	s_delay_alu instid0(VALU_DEP_2) | instskip(NEXT) | instid1(VALU_DEP_1)
	v_add_nc_u32_e32 v10, v9, v10
	v_lshrrev_b32_e32 v6, s15, v10
	v_mul_lo_u32 v10, v9, s26
	s_delay_alu instid0(VALU_DEP_2) | instskip(NEXT) | instid1(VALU_DEP_2)
	v_mul_lo_u32 v13, v6, s13
	v_sub_nc_u32_e32 v8, v8, v10
	s_delay_alu instid0(VALU_DEP_2) | instskip(NEXT) | instid1(VALU_DEP_2)
	v_sub_nc_u32_e32 v9, v9, v13
	v_mul_lo_u32 v8, v8, s30
	s_delay_alu instid0(VALU_DEP_2) | instskip(NEXT) | instid1(VALU_DEP_1)
	v_mul_lo_u32 v9, v9, s31
	v_add3_u32 v2, v8, v2, v9
	s_cbranch_scc1 .LBB21_46
; %bb.47:
	s_and_b32 s7, s7, 3
	s_delay_alu instid0(SALU_CYCLE_1)
	s_cmp_eq_u32 s7, 0
	s_cbranch_scc0 .LBB21_50
	s_branch .LBB21_52
.LBB21_48:
	s_mov_b32 s6, -1
                                        ; implicit-def: $vgpr2
	s_branch .LBB21_52
.LBB21_49:
	v_mov_b32_e32 v6, v5
	s_and_b32 s7, s7, 3
	s_delay_alu instid0(SALU_CYCLE_1)
	s_cmp_eq_u32 s7, 0
	s_cbranch_scc1 .LBB21_52
.LBB21_50:
	s_lshl_b32 s2, s8, 2
	s_mul_i32 s4, s8, 12
	s_add_u32 s2, s2, s0
	s_addc_u32 s3, 0, s1
	s_add_u32 s2, s2, 0xc4
	s_addc_u32 s3, s3, 0
	;; [unrolled: 2-line block ×3, first 2 shown]
	.p2align	6
.LBB21_51:                              ; =>This Inner Loop Header: Depth=1
	s_clause 0x1
	s_load_b64 s[8:9], s[4:5], 0x4
	s_load_b32 s10, s[4:5], 0xc
	s_add_u32 s4, s4, 12
	s_addc_u32 s5, s5, 0
	s_waitcnt lgkmcnt(0)
	v_mul_hi_u32 v7, s9, v6
	s_load_b32 s9, s[2:3], 0x0
	s_add_u32 s2, s2, 4
	s_addc_u32 s3, s3, 0
	s_add_i32 s7, s7, -1
	s_delay_alu instid0(SALU_CYCLE_1) | instskip(NEXT) | instid1(VALU_DEP_1)
	s_cmp_lg_u32 s7, 0
	v_add_nc_u32_e32 v7, v6, v7
	s_delay_alu instid0(VALU_DEP_1) | instskip(NEXT) | instid1(VALU_DEP_1)
	v_lshrrev_b32_e32 v9, s10, v7
	v_mul_lo_u32 v7, v9, s8
	s_delay_alu instid0(VALU_DEP_1) | instskip(SKIP_1) | instid1(VALU_DEP_1)
	v_sub_nc_u32_e32 v6, v6, v7
	s_waitcnt lgkmcnt(0)
	v_mad_u64_u32 v[7:8], null, v6, s9, v[2:3]
	v_mov_b32_e32 v6, v9
	s_delay_alu instid0(VALU_DEP_2)
	v_mov_b32_e32 v2, v7
	s_cbranch_scc1 .LBB21_51
.LBB21_52:
	s_and_not1_b32 vcc_lo, exec_lo, s6
	s_cbranch_vccnz .LBB21_55
; %bb.53:
	s_clause 0x1
	s_load_b128 s[4:7], s[0:1], 0x4
	s_load_b32 s2, s[0:1], 0xc4
	s_cmp_lt_u32 s18, 2
	s_waitcnt lgkmcnt(0)
	v_mul_hi_u32 v2, s5, v5
	s_delay_alu instid0(VALU_DEP_1) | instskip(NEXT) | instid1(VALU_DEP_1)
	v_add_nc_u32_e32 v2, v5, v2
	v_lshrrev_b32_e32 v6, s6, v2
	s_delay_alu instid0(VALU_DEP_1) | instskip(NEXT) | instid1(VALU_DEP_1)
	v_mul_lo_u32 v2, v6, s4
	v_sub_nc_u32_e32 v2, v5, v2
	s_delay_alu instid0(VALU_DEP_1)
	v_mul_lo_u32 v2, v2, s2
	s_cbranch_scc1 .LBB21_55
; %bb.54:
	s_clause 0x1
	s_load_b128 s[4:7], s[0:1], 0x10
	s_load_b32 s2, s[0:1], 0xc8
	s_waitcnt lgkmcnt(0)
	v_mul_hi_u32 v5, s5, v6
	s_delay_alu instid0(VALU_DEP_1) | instskip(NEXT) | instid1(VALU_DEP_1)
	v_add_nc_u32_e32 v5, v6, v5
	v_lshrrev_b32_e32 v5, s6, v5
	s_delay_alu instid0(VALU_DEP_1) | instskip(NEXT) | instid1(VALU_DEP_1)
	v_mul_lo_u32 v5, v5, s4
	v_sub_nc_u32_e32 v7, v6, v5
	s_delay_alu instid0(VALU_DEP_1) | instskip(NEXT) | instid1(VALU_DEP_1)
	v_mad_u64_u32 v[5:6], null, v7, s2, v[2:3]
	v_mov_b32_e32 v2, v5
.LBB21_55:
	v_cmp_ne_u32_e32 vcc_lo, 1, v3
	s_cbranch_vccnz .LBB21_61
; %bb.56:
	v_mov_b32_e32 v3, 0
	s_cmp_eq_u32 s18, 0
	s_mov_b32 s6, 0
	s_cbranch_scc1 .LBB21_65
; %bb.57:
	s_min_u32 s7, s19, 15
	v_mov_b32_e32 v3, 0
	s_add_i32 s7, s7, 1
	s_cmp_eq_u32 s19, 2
	s_mov_b32 s8, 0
	s_cbranch_scc1 .LBB21_62
; %bb.58:
	v_mov_b32_e32 v3, 0
	v_mov_b32_e32 v5, v4
	s_add_u32 s2, s0, 0xc4
	s_addc_u32 s3, s1, 0
	s_and_b32 s8, s7, 28
	s_mov_b32 s9, 0
	s_mov_b64 s[4:5], s[0:1]
.LBB21_59:                              ; =>This Inner Loop Header: Depth=1
	s_clause 0x1
	s_load_b256 s[20:27], s[4:5], 0x4
	s_load_b128 s[12:15], s[4:5], 0x24
	s_load_b128 s[28:31], s[2:3], 0x0
	s_add_u32 s4, s4, 48
	s_addc_u32 s5, s5, 0
	s_add_i32 s9, s9, 4
	s_add_u32 s2, s2, 16
	s_addc_u32 s3, s3, 0
	s_cmp_lg_u32 s8, s9
	s_waitcnt lgkmcnt(0)
	v_mul_hi_u32 v6, s21, v5
	s_delay_alu instid0(VALU_DEP_1) | instskip(NEXT) | instid1(VALU_DEP_1)
	v_add_nc_u32_e32 v6, v5, v6
	v_lshrrev_b32_e32 v6, s22, v6
	s_delay_alu instid0(VALU_DEP_1) | instskip(SKIP_1) | instid1(VALU_DEP_2)
	v_mul_hi_u32 v7, s24, v6
	v_mul_lo_u32 v10, v6, s20
	v_add_nc_u32_e32 v7, v6, v7
	s_delay_alu instid0(VALU_DEP_2) | instskip(NEXT) | instid1(VALU_DEP_2)
	v_sub_nc_u32_e32 v10, v5, v10
	v_lshrrev_b32_e32 v7, s25, v7
	s_delay_alu instid0(VALU_DEP_2) | instskip(NEXT) | instid1(VALU_DEP_2)
	v_mul_lo_u32 v10, v10, s28
	v_mul_hi_u32 v8, s27, v7
	v_mul_lo_u32 v11, v7, s23
	s_delay_alu instid0(VALU_DEP_2) | instskip(NEXT) | instid1(VALU_DEP_2)
	v_add_nc_u32_e32 v8, v7, v8
	v_sub_nc_u32_e32 v6, v6, v11
	s_delay_alu instid0(VALU_DEP_2) | instskip(NEXT) | instid1(VALU_DEP_2)
	v_lshrrev_b32_e32 v8, s12, v8
	v_mul_lo_u32 v6, v6, s29
	s_delay_alu instid0(VALU_DEP_2) | instskip(NEXT) | instid1(VALU_DEP_2)
	v_mul_hi_u32 v9, s14, v8
	v_add3_u32 v3, v10, v3, v6
	s_delay_alu instid0(VALU_DEP_2) | instskip(NEXT) | instid1(VALU_DEP_1)
	v_add_nc_u32_e32 v9, v8, v9
	v_lshrrev_b32_e32 v5, s15, v9
	v_mul_lo_u32 v9, v8, s26
	s_delay_alu instid0(VALU_DEP_2) | instskip(NEXT) | instid1(VALU_DEP_2)
	v_mul_lo_u32 v12, v5, s13
	v_sub_nc_u32_e32 v7, v7, v9
	s_delay_alu instid0(VALU_DEP_2) | instskip(NEXT) | instid1(VALU_DEP_2)
	v_sub_nc_u32_e32 v8, v8, v12
	v_mul_lo_u32 v7, v7, s30
	s_delay_alu instid0(VALU_DEP_2) | instskip(NEXT) | instid1(VALU_DEP_1)
	v_mul_lo_u32 v8, v8, s31
	v_add3_u32 v3, v7, v3, v8
	s_cbranch_scc1 .LBB21_59
; %bb.60:
	s_and_b32 s7, s7, 3
	s_delay_alu instid0(SALU_CYCLE_1)
	s_cmp_eq_u32 s7, 0
	s_cbranch_scc0 .LBB21_63
	s_branch .LBB21_65
.LBB21_61:
	s_mov_b32 s6, -1
                                        ; implicit-def: $vgpr3
	s_branch .LBB21_65
.LBB21_62:
	v_mov_b32_e32 v5, v4
	s_and_b32 s7, s7, 3
	s_delay_alu instid0(SALU_CYCLE_1)
	s_cmp_eq_u32 s7, 0
	s_cbranch_scc1 .LBB21_65
.LBB21_63:
	s_lshl_b32 s2, s8, 2
	s_mul_i32 s4, s8, 12
	s_add_u32 s2, s2, s0
	s_addc_u32 s3, 0, s1
	s_add_u32 s2, s2, 0xc4
	s_addc_u32 s3, s3, 0
	;; [unrolled: 2-line block ×3, first 2 shown]
	.p2align	6
.LBB21_64:                              ; =>This Inner Loop Header: Depth=1
	s_clause 0x1
	s_load_b64 s[8:9], s[4:5], 0x4
	s_load_b32 s10, s[4:5], 0xc
	s_add_u32 s4, s4, 12
	s_addc_u32 s5, s5, 0
	s_waitcnt lgkmcnt(0)
	v_mul_hi_u32 v6, s9, v5
	s_load_b32 s9, s[2:3], 0x0
	s_add_u32 s2, s2, 4
	s_addc_u32 s3, s3, 0
	s_add_i32 s7, s7, -1
	s_delay_alu instid0(SALU_CYCLE_1) | instskip(NEXT) | instid1(VALU_DEP_1)
	s_cmp_lg_u32 s7, 0
	v_add_nc_u32_e32 v6, v5, v6
	s_delay_alu instid0(VALU_DEP_1) | instskip(NEXT) | instid1(VALU_DEP_1)
	v_lshrrev_b32_e32 v8, s10, v6
	v_mul_lo_u32 v6, v8, s8
	s_delay_alu instid0(VALU_DEP_1) | instskip(SKIP_1) | instid1(VALU_DEP_1)
	v_sub_nc_u32_e32 v5, v5, v6
	s_waitcnt lgkmcnt(0)
	v_mad_u64_u32 v[6:7], null, v5, s9, v[3:4]
	v_mov_b32_e32 v5, v8
	s_delay_alu instid0(VALU_DEP_2)
	v_mov_b32_e32 v3, v6
	s_cbranch_scc1 .LBB21_64
.LBB21_65:
	s_and_not1_b32 vcc_lo, exec_lo, s6
	s_cbranch_vccnz .LBB21_68
; %bb.66:
	s_clause 0x1
	s_load_b128 s[4:7], s[0:1], 0x4
	s_load_b32 s2, s[0:1], 0xc4
	s_cmp_lt_u32 s18, 2
	s_waitcnt lgkmcnt(0)
	v_mul_hi_u32 v3, s5, v4
	s_delay_alu instid0(VALU_DEP_1) | instskip(NEXT) | instid1(VALU_DEP_1)
	v_add_nc_u32_e32 v3, v4, v3
	v_lshrrev_b32_e32 v5, s6, v3
	s_delay_alu instid0(VALU_DEP_1) | instskip(NEXT) | instid1(VALU_DEP_1)
	v_mul_lo_u32 v3, v5, s4
	v_sub_nc_u32_e32 v3, v4, v3
	s_delay_alu instid0(VALU_DEP_1)
	v_mul_lo_u32 v3, v3, s2
	s_cbranch_scc1 .LBB21_68
; %bb.67:
	s_clause 0x1
	s_load_b128 s[4:7], s[0:1], 0x10
	s_load_b32 s2, s[0:1], 0xc8
	s_waitcnt lgkmcnt(0)
	v_mul_hi_u32 v4, s5, v5
	s_delay_alu instid0(VALU_DEP_1) | instskip(NEXT) | instid1(VALU_DEP_1)
	v_add_nc_u32_e32 v4, v5, v4
	v_lshrrev_b32_e32 v4, s6, v4
	s_delay_alu instid0(VALU_DEP_1) | instskip(NEXT) | instid1(VALU_DEP_1)
	v_mul_lo_u32 v4, v4, s4
	v_sub_nc_u32_e32 v6, v5, v4
	s_delay_alu instid0(VALU_DEP_1) | instskip(NEXT) | instid1(VALU_DEP_1)
	v_mad_u64_u32 v[4:5], null, v6, s2, v[3:4]
	v_mov_b32_e32 v3, v4
.LBB21_68:
	s_clause 0x1
	s_load_b32 s2, s[0:1], 0x110
	s_load_b64 s[0:1], s[0:1], 0x108
	s_waitcnt lgkmcnt(0)
	v_mov_b32_e32 v4, s2
	s_clause 0x3
	global_store_b32 v0, v4, s[0:1]
	global_store_b32 v1, v4, s[0:1]
	;; [unrolled: 1-line block ×4, first 2 shown]
	s_nop 0
	s_sendmsg sendmsg(MSG_DEALLOC_VGPRS)
	s_endpgm
.LBB21_69:
	v_mov_b32_e32 v1, v2
.LBB21_70:
	s_and_b32 s29, s29, 3
	s_delay_alu instid0(SALU_CYCLE_1)
	s_cmp_eq_u32 s29, 0
	s_cbranch_scc1 .LBB21_73
; %bb.71:
	s_lshl_b32 s14, s28, 2
	s_mul_i32 s16, s28, 12
	s_add_u32 s14, s14, s0
	s_addc_u32 s15, s1, 0
	s_add_u32 s14, s14, 0xc4
	s_addc_u32 s15, s15, 0
	;; [unrolled: 2-line block ×3, first 2 shown]
	.p2align	6
.LBB21_72:                              ; =>This Inner Loop Header: Depth=1
	s_clause 0x1
	s_load_b64 s[30:31], s[16:17], 0x4
	s_load_b32 s28, s[16:17], 0xc
	s_add_u32 s16, s16, 12
	s_addc_u32 s17, s17, 0
	s_waitcnt lgkmcnt(0)
	v_mul_hi_u32 v3, s31, v1
	s_load_b32 s31, s[14:15], 0x0
	s_add_u32 s14, s14, 4
	s_addc_u32 s15, s15, 0
	s_add_i32 s29, s29, -1
	s_delay_alu instid0(SALU_CYCLE_1) | instskip(NEXT) | instid1(VALU_DEP_1)
	s_cmp_lg_u32 s29, 0
	v_add_nc_u32_e32 v3, v1, v3
	s_delay_alu instid0(VALU_DEP_1) | instskip(NEXT) | instid1(VALU_DEP_1)
	v_lshrrev_b32_e32 v5, s28, v3
	v_mul_lo_u32 v3, v5, s30
	s_delay_alu instid0(VALU_DEP_1) | instskip(SKIP_1) | instid1(VALU_DEP_1)
	v_sub_nc_u32_e32 v1, v1, v3
	s_waitcnt lgkmcnt(0)
	v_mad_u64_u32 v[3:4], null, v1, s31, v[0:1]
	s_delay_alu instid0(VALU_DEP_1)
	v_dual_mov_b32 v1, v5 :: v_dual_mov_b32 v0, v3
	s_cbranch_scc1 .LBB21_72
.LBB21_73:
	s_cbranch_execnz .LBB21_76
.LBB21_74:
	s_waitcnt lgkmcnt(0)
	v_mul_hi_u32 v0, s5, v2
	s_and_not1_b32 vcc_lo, exec_lo, s23
	s_delay_alu instid0(VALU_DEP_1) | instskip(NEXT) | instid1(VALU_DEP_1)
	v_add_nc_u32_e32 v0, v2, v0
	v_lshrrev_b32_e32 v1, s6, v0
	s_delay_alu instid0(VALU_DEP_1) | instskip(NEXT) | instid1(VALU_DEP_1)
	v_mul_lo_u32 v0, v1, s4
	v_sub_nc_u32_e32 v0, v2, v0
	s_delay_alu instid0(VALU_DEP_1)
	v_mul_lo_u32 v0, v0, s8
	s_cbranch_vccnz .LBB21_76
; %bb.75:
	v_mul_hi_u32 v3, s10, v1
	s_delay_alu instid0(VALU_DEP_1) | instskip(NEXT) | instid1(VALU_DEP_1)
	v_add_nc_u32_e32 v3, v1, v3
	v_lshrrev_b32_e32 v3, s11, v3
	s_delay_alu instid0(VALU_DEP_1) | instskip(NEXT) | instid1(VALU_DEP_1)
	v_mul_lo_u32 v3, v3, s7
	v_sub_nc_u32_e32 v1, v1, v3
	s_delay_alu instid0(VALU_DEP_1) | instskip(NEXT) | instid1(VALU_DEP_1)
	v_mad_u64_u32 v[3:4], null, v1, s9, v[0:1]
	v_mov_b32_e32 v0, v3
.LBB21_76:
	s_waitcnt lgkmcnt(0)
	v_dual_mov_b32 v1, s22 :: v_dual_add_nc_u32 v2, 0x80, v2
	global_store_b32 v0, v1, s[2:3]
	s_or_b32 exec_lo, exec_lo, s27
	s_delay_alu instid0(SALU_CYCLE_1)
	s_mov_b32 s27, exec_lo
	v_cmpx_gt_i32_e64 s24, v2
	s_cbranch_execnz .LBB21_15
.LBB21_77:
	s_or_b32 exec_lo, exec_lo, s27
	s_delay_alu instid0(SALU_CYCLE_1)
	s_mov_b32 s27, exec_lo
	v_cmpx_gt_i32_e64 s24, v2
	s_cbranch_execz .LBB21_92
.LBB21_78:
	s_and_not1_b32 vcc_lo, exec_lo, s20
	s_cbranch_vccnz .LBB21_83
; %bb.79:
	v_mov_b32_e32 v0, 0
	s_and_not1_b32 vcc_lo, exec_lo, s26
	s_cbranch_vccnz .LBB21_99
; %bb.80:
	s_add_i32 s29, s25, 1
	s_cmp_eq_u32 s19, 2
	s_mov_b32 s28, 0
	s_cbranch_scc1 .LBB21_95
; %bb.81:
	v_dual_mov_b32 v0, 0 :: v_dual_mov_b32 v1, v2
	s_and_b32 s28, s29, 28
	s_mov_b32 s30, 0
	s_mov_b64 s[14:15], s[0:1]
	s_mov_b64 s[16:17], s[12:13]
.LBB21_82:                              ; =>This Inner Loop Header: Depth=1
	s_clause 0x1
	s_load_b256 s[36:43], s[14:15], 0x4
	s_load_b128 s[44:47], s[14:15], 0x24
	s_load_b128 s[48:51], s[16:17], 0x0
	s_add_u32 s14, s14, 48
	s_addc_u32 s15, s15, 0
	s_add_i32 s30, s30, 4
	s_add_u32 s16, s16, 16
	s_addc_u32 s17, s17, 0
	s_cmp_eq_u32 s28, s30
	s_waitcnt lgkmcnt(0)
	v_mul_hi_u32 v3, s37, v1
	s_delay_alu instid0(VALU_DEP_1) | instskip(NEXT) | instid1(VALU_DEP_1)
	v_add_nc_u32_e32 v3, v1, v3
	v_lshrrev_b32_e32 v3, s38, v3
	s_delay_alu instid0(VALU_DEP_1) | instskip(SKIP_1) | instid1(VALU_DEP_2)
	v_mul_hi_u32 v4, s40, v3
	v_mul_lo_u32 v7, v3, s36
	v_add_nc_u32_e32 v4, v3, v4
	s_delay_alu instid0(VALU_DEP_2) | instskip(NEXT) | instid1(VALU_DEP_2)
	v_sub_nc_u32_e32 v7, v1, v7
	v_lshrrev_b32_e32 v4, s41, v4
	s_delay_alu instid0(VALU_DEP_2) | instskip(NEXT) | instid1(VALU_DEP_2)
	v_mul_lo_u32 v7, v7, s48
	v_mul_hi_u32 v5, s43, v4
	v_mul_lo_u32 v8, v4, s39
	s_delay_alu instid0(VALU_DEP_2) | instskip(NEXT) | instid1(VALU_DEP_2)
	v_add_nc_u32_e32 v5, v4, v5
	v_sub_nc_u32_e32 v3, v3, v8
	s_delay_alu instid0(VALU_DEP_2) | instskip(NEXT) | instid1(VALU_DEP_2)
	v_lshrrev_b32_e32 v5, s44, v5
	v_mul_lo_u32 v3, v3, s49
	s_delay_alu instid0(VALU_DEP_2) | instskip(NEXT) | instid1(VALU_DEP_2)
	v_mul_hi_u32 v6, s46, v5
	v_add3_u32 v0, v7, v0, v3
	s_delay_alu instid0(VALU_DEP_2) | instskip(NEXT) | instid1(VALU_DEP_1)
	v_add_nc_u32_e32 v6, v5, v6
	v_lshrrev_b32_e32 v1, s47, v6
	v_mul_lo_u32 v6, v5, s42
	s_delay_alu instid0(VALU_DEP_2) | instskip(NEXT) | instid1(VALU_DEP_2)
	v_mul_lo_u32 v9, v1, s45
	v_sub_nc_u32_e32 v4, v4, v6
	s_delay_alu instid0(VALU_DEP_2) | instskip(NEXT) | instid1(VALU_DEP_2)
	v_sub_nc_u32_e32 v5, v5, v9
	v_mul_lo_u32 v4, v4, s50
	s_delay_alu instid0(VALU_DEP_2) | instskip(NEXT) | instid1(VALU_DEP_1)
	v_mul_lo_u32 v5, v5, s51
	v_add3_u32 v0, v4, v0, v5
	s_cbranch_scc0 .LBB21_82
	s_branch .LBB21_96
.LBB21_83:
                                        ; implicit-def: $vgpr0
	s_branch .LBB21_100
.LBB21_84:
	v_mov_b32_e32 v1, v2
.LBB21_85:
	s_and_b32 s29, s29, 3
	s_delay_alu instid0(SALU_CYCLE_1)
	s_cmp_eq_u32 s29, 0
	s_cbranch_scc1 .LBB21_88
; %bb.86:
	s_lshl_b32 s14, s28, 2
	s_mul_i32 s16, s28, 12
	s_add_u32 s14, s14, s0
	s_addc_u32 s15, s1, 0
	s_add_u32 s14, s14, 0xc4
	s_addc_u32 s15, s15, 0
	;; [unrolled: 2-line block ×3, first 2 shown]
	.p2align	6
.LBB21_87:                              ; =>This Inner Loop Header: Depth=1
	s_clause 0x1
	s_load_b64 s[30:31], s[16:17], 0x4
	s_load_b32 s28, s[16:17], 0xc
	s_add_u32 s16, s16, 12
	s_addc_u32 s17, s17, 0
	s_waitcnt lgkmcnt(0)
	v_mul_hi_u32 v3, s31, v1
	s_load_b32 s31, s[14:15], 0x0
	s_add_u32 s14, s14, 4
	s_addc_u32 s15, s15, 0
	s_add_i32 s29, s29, -1
	s_delay_alu instid0(SALU_CYCLE_1) | instskip(NEXT) | instid1(VALU_DEP_1)
	s_cmp_lg_u32 s29, 0
	v_add_nc_u32_e32 v3, v1, v3
	s_delay_alu instid0(VALU_DEP_1) | instskip(NEXT) | instid1(VALU_DEP_1)
	v_lshrrev_b32_e32 v5, s28, v3
	v_mul_lo_u32 v3, v5, s30
	s_delay_alu instid0(VALU_DEP_1) | instskip(SKIP_1) | instid1(VALU_DEP_1)
	v_sub_nc_u32_e32 v1, v1, v3
	s_waitcnt lgkmcnt(0)
	v_mad_u64_u32 v[3:4], null, v1, s31, v[0:1]
	s_delay_alu instid0(VALU_DEP_1)
	v_dual_mov_b32 v1, v5 :: v_dual_mov_b32 v0, v3
	s_cbranch_scc1 .LBB21_87
.LBB21_88:
	s_cbranch_execnz .LBB21_91
.LBB21_89:
	s_waitcnt lgkmcnt(0)
	v_mul_hi_u32 v0, s5, v2
	s_and_not1_b32 vcc_lo, exec_lo, s23
	s_delay_alu instid0(VALU_DEP_1) | instskip(NEXT) | instid1(VALU_DEP_1)
	v_add_nc_u32_e32 v0, v2, v0
	v_lshrrev_b32_e32 v1, s6, v0
	s_delay_alu instid0(VALU_DEP_1) | instskip(NEXT) | instid1(VALU_DEP_1)
	v_mul_lo_u32 v0, v1, s4
	v_sub_nc_u32_e32 v0, v2, v0
	s_delay_alu instid0(VALU_DEP_1)
	v_mul_lo_u32 v0, v0, s8
	s_cbranch_vccnz .LBB21_91
; %bb.90:
	v_mul_hi_u32 v3, s10, v1
	s_delay_alu instid0(VALU_DEP_1) | instskip(NEXT) | instid1(VALU_DEP_1)
	v_add_nc_u32_e32 v3, v1, v3
	v_lshrrev_b32_e32 v3, s11, v3
	s_delay_alu instid0(VALU_DEP_1) | instskip(NEXT) | instid1(VALU_DEP_1)
	v_mul_lo_u32 v3, v3, s7
	v_sub_nc_u32_e32 v1, v1, v3
	s_delay_alu instid0(VALU_DEP_1) | instskip(NEXT) | instid1(VALU_DEP_1)
	v_mad_u64_u32 v[3:4], null, v1, s9, v[0:1]
	v_mov_b32_e32 v0, v3
.LBB21_91:
	s_waitcnt lgkmcnt(0)
	v_dual_mov_b32 v1, s22 :: v_dual_add_nc_u32 v2, 0x80, v2
	global_store_b32 v0, v1, s[2:3]
	s_or_b32 exec_lo, exec_lo, s27
	s_delay_alu instid0(SALU_CYCLE_1)
	s_mov_b32 s27, exec_lo
	v_cmpx_gt_i32_e64 s24, v2
	s_cbranch_execnz .LBB21_78
.LBB21_92:
	s_or_b32 exec_lo, exec_lo, s27
	s_delay_alu instid0(SALU_CYCLE_1)
	s_mov_b32 s16, exec_lo
	v_cmpx_gt_i32_e64 s24, v2
	s_cbranch_execnz .LBB21_103
.LBB21_93:
	s_or_b32 exec_lo, exec_lo, s16
                                        ; implicit-def: $vgpr4
                                        ; implicit-def: $vgpr2
	s_waitcnt lgkmcnt(0)
	s_and_not1_saveexec_b32 s2, s21
	s_cbranch_execnz .LBB21_8
.LBB21_94:
	s_nop 0
	s_sendmsg sendmsg(MSG_DEALLOC_VGPRS)
	s_endpgm
.LBB21_95:
	v_mov_b32_e32 v1, v2
.LBB21_96:
	s_and_b32 s29, s29, 3
	s_delay_alu instid0(SALU_CYCLE_1)
	s_cmp_eq_u32 s29, 0
	s_cbranch_scc1 .LBB21_99
; %bb.97:
	s_lshl_b32 s14, s28, 2
	s_mul_i32 s16, s28, 12
	s_add_u32 s14, s14, s0
	s_addc_u32 s15, s1, 0
	s_add_u32 s14, s14, 0xc4
	s_addc_u32 s15, s15, 0
	;; [unrolled: 2-line block ×3, first 2 shown]
	.p2align	6
.LBB21_98:                              ; =>This Inner Loop Header: Depth=1
	s_clause 0x1
	s_load_b64 s[30:31], s[16:17], 0x4
	s_load_b32 s28, s[16:17], 0xc
	s_add_u32 s16, s16, 12
	s_addc_u32 s17, s17, 0
	s_waitcnt lgkmcnt(0)
	v_mul_hi_u32 v3, s31, v1
	s_load_b32 s31, s[14:15], 0x0
	s_add_u32 s14, s14, 4
	s_addc_u32 s15, s15, 0
	s_add_i32 s29, s29, -1
	s_delay_alu instid0(SALU_CYCLE_1) | instskip(NEXT) | instid1(VALU_DEP_1)
	s_cmp_lg_u32 s29, 0
	v_add_nc_u32_e32 v3, v1, v3
	s_delay_alu instid0(VALU_DEP_1) | instskip(NEXT) | instid1(VALU_DEP_1)
	v_lshrrev_b32_e32 v5, s28, v3
	v_mul_lo_u32 v3, v5, s30
	s_delay_alu instid0(VALU_DEP_1) | instskip(SKIP_1) | instid1(VALU_DEP_1)
	v_sub_nc_u32_e32 v1, v1, v3
	s_waitcnt lgkmcnt(0)
	v_mad_u64_u32 v[3:4], null, v1, s31, v[0:1]
	s_delay_alu instid0(VALU_DEP_1)
	v_dual_mov_b32 v1, v5 :: v_dual_mov_b32 v0, v3
	s_cbranch_scc1 .LBB21_98
.LBB21_99:
	s_cbranch_execnz .LBB21_102
.LBB21_100:
	s_waitcnt lgkmcnt(0)
	v_mul_hi_u32 v0, s5, v2
	s_and_not1_b32 vcc_lo, exec_lo, s23
	s_delay_alu instid0(VALU_DEP_1) | instskip(NEXT) | instid1(VALU_DEP_1)
	v_add_nc_u32_e32 v0, v2, v0
	v_lshrrev_b32_e32 v1, s6, v0
	s_delay_alu instid0(VALU_DEP_1) | instskip(NEXT) | instid1(VALU_DEP_1)
	v_mul_lo_u32 v0, v1, s4
	v_sub_nc_u32_e32 v0, v2, v0
	s_delay_alu instid0(VALU_DEP_1)
	v_mul_lo_u32 v0, v0, s8
	s_cbranch_vccnz .LBB21_102
; %bb.101:
	v_mul_hi_u32 v3, s10, v1
	s_delay_alu instid0(VALU_DEP_1) | instskip(NEXT) | instid1(VALU_DEP_1)
	v_add_nc_u32_e32 v3, v1, v3
	v_lshrrev_b32_e32 v3, s11, v3
	s_delay_alu instid0(VALU_DEP_1) | instskip(NEXT) | instid1(VALU_DEP_1)
	v_mul_lo_u32 v3, v3, s7
	v_sub_nc_u32_e32 v1, v1, v3
	s_delay_alu instid0(VALU_DEP_1) | instskip(NEXT) | instid1(VALU_DEP_1)
	v_mad_u64_u32 v[3:4], null, v1, s9, v[0:1]
	v_mov_b32_e32 v0, v3
.LBB21_102:
	s_waitcnt lgkmcnt(0)
	v_dual_mov_b32 v1, s22 :: v_dual_add_nc_u32 v2, 0x80, v2
	global_store_b32 v0, v1, s[2:3]
	s_or_b32 exec_lo, exec_lo, s27
	s_delay_alu instid0(SALU_CYCLE_1)
	s_mov_b32 s16, exec_lo
	v_cmpx_gt_i32_e64 s24, v2
	s_cbranch_execz .LBB21_93
.LBB21_103:
	s_and_not1_b32 vcc_lo, exec_lo, s20
	s_cbranch_vccnz .LBB21_108
; %bb.104:
	v_mov_b32_e32 v0, 0
	s_and_not1_b32 vcc_lo, exec_lo, s26
	s_cbranch_vccnz .LBB21_113
; %bb.105:
	s_add_i32 s25, s25, 1
	s_cmp_eq_u32 s19, 2
	s_mov_b32 s17, 0
	s_cbranch_scc1 .LBB21_109
; %bb.106:
	v_dual_mov_b32 v0, 0 :: v_dual_mov_b32 v1, v2
	s_and_b32 s17, s25, 28
	s_mov_b32 s24, 0
	s_mov_b64 s[14:15], s[0:1]
.LBB21_107:                             ; =>This Inner Loop Header: Depth=1
	s_clause 0x1
	s_load_b256 s[36:43], s[14:15], 0x4
	s_load_b128 s[28:31], s[14:15], 0x24
	s_load_b128 s[44:47], s[12:13], 0x0
	s_add_u32 s14, s14, 48
	s_addc_u32 s15, s15, 0
	s_add_i32 s24, s24, 4
	s_add_u32 s12, s12, 16
	s_addc_u32 s13, s13, 0
	s_cmp_eq_u32 s17, s24
	s_waitcnt lgkmcnt(0)
	v_mul_hi_u32 v3, s37, v1
	s_delay_alu instid0(VALU_DEP_1) | instskip(NEXT) | instid1(VALU_DEP_1)
	v_add_nc_u32_e32 v3, v1, v3
	v_lshrrev_b32_e32 v3, s38, v3
	s_delay_alu instid0(VALU_DEP_1) | instskip(SKIP_1) | instid1(VALU_DEP_2)
	v_mul_hi_u32 v4, s40, v3
	v_mul_lo_u32 v7, v3, s36
	v_add_nc_u32_e32 v4, v3, v4
	s_delay_alu instid0(VALU_DEP_2) | instskip(NEXT) | instid1(VALU_DEP_2)
	v_sub_nc_u32_e32 v7, v1, v7
	v_lshrrev_b32_e32 v4, s41, v4
	s_delay_alu instid0(VALU_DEP_2) | instskip(NEXT) | instid1(VALU_DEP_2)
	v_mul_lo_u32 v7, v7, s44
	v_mul_hi_u32 v5, s43, v4
	v_mul_lo_u32 v8, v4, s39
	s_delay_alu instid0(VALU_DEP_2) | instskip(NEXT) | instid1(VALU_DEP_2)
	v_add_nc_u32_e32 v5, v4, v5
	v_sub_nc_u32_e32 v3, v3, v8
	s_delay_alu instid0(VALU_DEP_2) | instskip(NEXT) | instid1(VALU_DEP_2)
	v_lshrrev_b32_e32 v5, s28, v5
	v_mul_lo_u32 v3, v3, s45
	s_delay_alu instid0(VALU_DEP_2) | instskip(NEXT) | instid1(VALU_DEP_2)
	v_mul_hi_u32 v6, s30, v5
	v_add3_u32 v0, v7, v0, v3
	s_delay_alu instid0(VALU_DEP_2) | instskip(NEXT) | instid1(VALU_DEP_1)
	v_add_nc_u32_e32 v6, v5, v6
	v_lshrrev_b32_e32 v1, s31, v6
	v_mul_lo_u32 v6, v5, s42
	s_delay_alu instid0(VALU_DEP_2) | instskip(NEXT) | instid1(VALU_DEP_2)
	v_mul_lo_u32 v9, v1, s29
	v_sub_nc_u32_e32 v4, v4, v6
	s_delay_alu instid0(VALU_DEP_2) | instskip(NEXT) | instid1(VALU_DEP_2)
	v_sub_nc_u32_e32 v5, v5, v9
	v_mul_lo_u32 v4, v4, s46
	s_delay_alu instid0(VALU_DEP_2) | instskip(NEXT) | instid1(VALU_DEP_1)
	v_mul_lo_u32 v5, v5, s47
	v_add3_u32 v0, v4, v0, v5
	s_cbranch_scc0 .LBB21_107
	s_branch .LBB21_110
.LBB21_108:
                                        ; implicit-def: $vgpr0
	s_branch .LBB21_114
.LBB21_109:
	v_mov_b32_e32 v1, v2
.LBB21_110:
	s_and_b32 s24, s25, 3
	s_delay_alu instid0(SALU_CYCLE_1)
	s_cmp_eq_u32 s24, 0
	s_cbranch_scc1 .LBB21_113
; %bb.111:
	s_lshl_b32 s12, s17, 2
	s_mul_i32 s14, s17, 12
	s_add_u32 s12, s12, s0
	s_addc_u32 s13, s1, 0
	s_add_u32 s12, s12, 0xc4
	s_addc_u32 s13, s13, 0
	;; [unrolled: 2-line block ×3, first 2 shown]
	.p2align	6
.LBB21_112:                             ; =>This Inner Loop Header: Depth=1
	s_clause 0x1
	s_load_b64 s[26:27], s[14:15], 0x4
	s_load_b32 s17, s[14:15], 0xc
	s_load_b32 s25, s[12:13], 0x0
	s_add_u32 s14, s14, 12
	s_addc_u32 s15, s15, 0
	s_add_u32 s12, s12, 4
	s_addc_u32 s13, s13, 0
	s_add_i32 s24, s24, -1
	s_delay_alu instid0(SALU_CYCLE_1) | instskip(SKIP_2) | instid1(VALU_DEP_1)
	s_cmp_lg_u32 s24, 0
	s_waitcnt lgkmcnt(0)
	v_mul_hi_u32 v3, s27, v1
	v_add_nc_u32_e32 v3, v1, v3
	s_delay_alu instid0(VALU_DEP_1) | instskip(NEXT) | instid1(VALU_DEP_1)
	v_lshrrev_b32_e32 v5, s17, v3
	v_mul_lo_u32 v3, v5, s26
	s_delay_alu instid0(VALU_DEP_1) | instskip(NEXT) | instid1(VALU_DEP_1)
	v_sub_nc_u32_e32 v1, v1, v3
	v_mad_u64_u32 v[3:4], null, v1, s25, v[0:1]
	s_delay_alu instid0(VALU_DEP_1)
	v_dual_mov_b32 v1, v5 :: v_dual_mov_b32 v0, v3
	s_cbranch_scc1 .LBB21_112
.LBB21_113:
	s_cbranch_execnz .LBB21_116
.LBB21_114:
	s_waitcnt lgkmcnt(0)
	v_mul_hi_u32 v0, s5, v2
	s_and_not1_b32 vcc_lo, exec_lo, s23
	s_delay_alu instid0(VALU_DEP_1) | instskip(NEXT) | instid1(VALU_DEP_1)
	v_add_nc_u32_e32 v0, v2, v0
	v_lshrrev_b32_e32 v1, s6, v0
	s_delay_alu instid0(VALU_DEP_1) | instskip(NEXT) | instid1(VALU_DEP_1)
	v_mul_lo_u32 v0, v1, s4
	v_sub_nc_u32_e32 v0, v2, v0
	s_delay_alu instid0(VALU_DEP_1)
	v_mul_lo_u32 v0, v0, s8
	s_cbranch_vccnz .LBB21_116
; %bb.115:
	v_mul_hi_u32 v2, s10, v1
	s_delay_alu instid0(VALU_DEP_1) | instskip(NEXT) | instid1(VALU_DEP_1)
	v_add_nc_u32_e32 v2, v1, v2
	v_lshrrev_b32_e32 v2, s11, v2
	s_delay_alu instid0(VALU_DEP_1) | instskip(NEXT) | instid1(VALU_DEP_1)
	v_mul_lo_u32 v2, v2, s7
	v_sub_nc_u32_e32 v3, v1, v2
	s_delay_alu instid0(VALU_DEP_1) | instskip(NEXT) | instid1(VALU_DEP_1)
	v_mad_u64_u32 v[1:2], null, v3, s9, v[0:1]
	v_mov_b32_e32 v0, v1
.LBB21_116:
	s_waitcnt lgkmcnt(0)
	v_mov_b32_e32 v1, s22
	global_store_b32 v0, v1, s[2:3]
	s_or_b32 exec_lo, exec_lo, s16
                                        ; implicit-def: $vgpr4
                                        ; implicit-def: $vgpr2
	s_and_not1_saveexec_b32 s2, s21
	s_cbranch_execz .LBB21_94
	s_branch .LBB21_8
	.section	.rodata,"a",@progbits
	.p2align	6, 0x0
	.amdhsa_kernel _ZN2at6native32elementwise_kernel_manual_unrollILi128ELi4EZNS0_22gpu_kernel_impl_nocastINS0_11FillFunctorIiEEEEvRNS_18TensorIteratorBaseERKT_EUlibE_EEviT1_
		.amdhsa_group_segment_fixed_size 0
		.amdhsa_private_segment_fixed_size 0
		.amdhsa_kernarg_size 288
		.amdhsa_user_sgpr_count 15
		.amdhsa_user_sgpr_dispatch_ptr 0
		.amdhsa_user_sgpr_queue_ptr 0
		.amdhsa_user_sgpr_kernarg_segment_ptr 1
		.amdhsa_user_sgpr_dispatch_id 0
		.amdhsa_user_sgpr_private_segment_size 0
		.amdhsa_wavefront_size32 1
		.amdhsa_uses_dynamic_stack 0
		.amdhsa_enable_private_segment 0
		.amdhsa_system_sgpr_workgroup_id_x 1
		.amdhsa_system_sgpr_workgroup_id_y 0
		.amdhsa_system_sgpr_workgroup_id_z 0
		.amdhsa_system_sgpr_workgroup_info 0
		.amdhsa_system_vgpr_workitem_id 0
		.amdhsa_next_free_vgpr 14
		.amdhsa_next_free_sgpr 52
		.amdhsa_reserve_vcc 1
		.amdhsa_float_round_mode_32 0
		.amdhsa_float_round_mode_16_64 0
		.amdhsa_float_denorm_mode_32 3
		.amdhsa_float_denorm_mode_16_64 3
		.amdhsa_dx10_clamp 1
		.amdhsa_ieee_mode 1
		.amdhsa_fp16_overflow 0
		.amdhsa_workgroup_processor_mode 1
		.amdhsa_memory_ordered 1
		.amdhsa_forward_progress 0
		.amdhsa_shared_vgpr_count 0
		.amdhsa_exception_fp_ieee_invalid_op 0
		.amdhsa_exception_fp_denorm_src 0
		.amdhsa_exception_fp_ieee_div_zero 0
		.amdhsa_exception_fp_ieee_overflow 0
		.amdhsa_exception_fp_ieee_underflow 0
		.amdhsa_exception_fp_ieee_inexact 0
		.amdhsa_exception_int_div_zero 0
	.end_amdhsa_kernel
	.section	.text._ZN2at6native32elementwise_kernel_manual_unrollILi128ELi4EZNS0_22gpu_kernel_impl_nocastINS0_11FillFunctorIiEEEEvRNS_18TensorIteratorBaseERKT_EUlibE_EEviT1_,"axG",@progbits,_ZN2at6native32elementwise_kernel_manual_unrollILi128ELi4EZNS0_22gpu_kernel_impl_nocastINS0_11FillFunctorIiEEEEvRNS_18TensorIteratorBaseERKT_EUlibE_EEviT1_,comdat
.Lfunc_end21:
	.size	_ZN2at6native32elementwise_kernel_manual_unrollILi128ELi4EZNS0_22gpu_kernel_impl_nocastINS0_11FillFunctorIiEEEEvRNS_18TensorIteratorBaseERKT_EUlibE_EEviT1_, .Lfunc_end21-_ZN2at6native32elementwise_kernel_manual_unrollILi128ELi4EZNS0_22gpu_kernel_impl_nocastINS0_11FillFunctorIiEEEEvRNS_18TensorIteratorBaseERKT_EUlibE_EEviT1_
                                        ; -- End function
	.section	.AMDGPU.csdata,"",@progbits
; Kernel info:
; codeLenInByte = 5924
; NumSgprs: 54
; NumVgprs: 14
; ScratchSize: 0
; MemoryBound: 0
; FloatMode: 240
; IeeeMode: 1
; LDSByteSize: 0 bytes/workgroup (compile time only)
; SGPRBlocks: 6
; VGPRBlocks: 1
; NumSGPRsForWavesPerEU: 54
; NumVGPRsForWavesPerEU: 14
; Occupancy: 16
; WaveLimiterHint : 1
; COMPUTE_PGM_RSRC2:SCRATCH_EN: 0
; COMPUTE_PGM_RSRC2:USER_SGPR: 15
; COMPUTE_PGM_RSRC2:TRAP_HANDLER: 0
; COMPUTE_PGM_RSRC2:TGID_X_EN: 1
; COMPUTE_PGM_RSRC2:TGID_Y_EN: 0
; COMPUTE_PGM_RSRC2:TGID_Z_EN: 0
; COMPUTE_PGM_RSRC2:TIDIG_COMP_CNT: 0
	.section	.text._ZN2at6native32elementwise_kernel_manual_unrollILi128ELi4EZNS0_15gpu_kernel_implINS0_11FillFunctorIiEEEEvRNS_18TensorIteratorBaseERKT_EUlibE_EEviT1_,"axG",@progbits,_ZN2at6native32elementwise_kernel_manual_unrollILi128ELi4EZNS0_15gpu_kernel_implINS0_11FillFunctorIiEEEEvRNS_18TensorIteratorBaseERKT_EUlibE_EEviT1_,comdat
	.protected	_ZN2at6native32elementwise_kernel_manual_unrollILi128ELi4EZNS0_15gpu_kernel_implINS0_11FillFunctorIiEEEEvRNS_18TensorIteratorBaseERKT_EUlibE_EEviT1_ ; -- Begin function _ZN2at6native32elementwise_kernel_manual_unrollILi128ELi4EZNS0_15gpu_kernel_implINS0_11FillFunctorIiEEEEvRNS_18TensorIteratorBaseERKT_EUlibE_EEviT1_
	.globl	_ZN2at6native32elementwise_kernel_manual_unrollILi128ELi4EZNS0_15gpu_kernel_implINS0_11FillFunctorIiEEEEvRNS_18TensorIteratorBaseERKT_EUlibE_EEviT1_
	.p2align	8
	.type	_ZN2at6native32elementwise_kernel_manual_unrollILi128ELi4EZNS0_15gpu_kernel_implINS0_11FillFunctorIiEEEEvRNS_18TensorIteratorBaseERKT_EUlibE_EEviT1_,@function
_ZN2at6native32elementwise_kernel_manual_unrollILi128ELi4EZNS0_15gpu_kernel_implINS0_11FillFunctorIiEEEEvRNS_18TensorIteratorBaseERKT_EUlibE_EEviT1_: ; @_ZN2at6native32elementwise_kernel_manual_unrollILi128ELi4EZNS0_15gpu_kernel_implINS0_11FillFunctorIiEEEEvRNS_18TensorIteratorBaseERKT_EUlibE_EEviT1_
; %bb.0:
	s_clause 0x2
	s_load_b32 s29, s[0:1], 0x0
	s_load_b128 s[4:7], s[0:1], 0x8
	s_load_b32 s9, s[0:1], 0x18
	v_lshl_or_b32 v15, s15, 9, v0
	s_mov_b32 s8, 0
	s_mov_b32 s1, 0
	s_mov_b32 s0, exec_lo
	s_delay_alu instid0(VALU_DEP_1) | instskip(SKIP_1) | instid1(VALU_DEP_1)
	v_or_b32_e32 v0, 0x180, v15
	s_waitcnt lgkmcnt(0)
	v_cmpx_le_i32_e64 s29, v0
	s_xor_b32 s10, exec_lo, s0
	s_cbranch_execz .LBB22_151
; %bb.1:
	v_cvt_f32_i32_e32 v4, s7
	s_ashr_i32 s3, s7, 31
	s_movk_i32 s16, 0x7f
	s_mov_b32 s33, 0
	s_mov_b32 s34, -1
	v_bfe_u32 v2, v4, 23, 8
	v_and_b32_e32 v0, 0x3fffff, v4
	v_and_b32_e32 v1, 0x400000, v4
	v_readfirstlane_b32 s1, v4
	v_add_f32_e64 v14, 0x46000000, |v4|
	v_add_f32_e64 v13, 0x42800000, |v4|
	v_or_b32_e32 v0, v2, v0
	v_cmp_ne_u32_e32 vcc_lo, 0, v1
	s_and_b32 s15, s1, 0x7fffffff
	v_lshrrev_b32_e32 v5, 24, v4
	v_bfe_u32 v7, v4, 16, 1
	v_cmp_ne_u32_e64 s0, 0, v0
	v_cvt_f64_i32_e32 v[0:1], s7
	v_lshrrev_b32_e32 v3, 23, v4
	v_and_b32_e32 v12, 0x80, v5
	v_add_nc_u32_e32 v5, v4, v7
	s_and_b32 s12, vcc_lo, s0
	s_cmp_lt_u32 s15, 0x43800000
	v_readfirstlane_b32 s0, v14
	s_cselect_b32 s26, -1, 0
	s_cmp_gt_u32 s15, 0x3bffffff
	v_add_f32_e64 v6, 0x46800000, |v4|
	s_cselect_b32 s21, -1, 0
	s_bfe_u32 s2, s1, 0x10014
	s_and_b32 s0, s0, 0xff
	s_add_i32 s13, s1, s2
	v_cvt_f16_f32_e32 v8, v4
	s_add_i32 s11, s13, 0x487ffff
	v_readfirstlane_b32 s23, v6
	s_lshr_b32 s25, s11, 20
	s_cmp_lg_u32 s0, 0
	v_readfirstlane_b32 s0, v13
	s_cselect_b32 s28, -1, 0
	s_cmp_gt_u32 s15, 0x477fffff
	v_and_b32_e32 v9, 0xffff, v8
	s_cselect_b32 s11, -1, 0
	s_cmp_lt_u32 s15, 0x47800000
	s_mov_b32 s2, s7
	s_cselect_b32 s24, -1, 0
	s_cmp_gt_u32 s15, 0x37ffffff
	s_mov_b32 s30, 0
	s_cselect_b32 s18, -1, 0
	s_bfe_u32 s14, s1, 0x10015
	s_and_b32 s0, s0, 0xff
	s_add_i32 s1, s1, s14
	s_mov_b32 s31, exec_lo
	s_add_i32 s14, s1, 0x88fffff
	s_delay_alu instid0(SALU_CYCLE_1)
	s_lshr_b32 s20, s14, 21
	s_cmp_lg_u32 s0, 0
	v_cmp_eq_u32_e64 s0, 0xff, v2
	s_cselect_b32 s27, -1, 0
	s_cmp_gt_u32 s15, 0x43efffff
	v_cndmask_b32_e64 v2, 0, 1, s12
	s_cselect_b32 s14, -1, 0
	s_cmp_lt_u32 s15, 0x3c800000
	s_cselect_b32 s17, -1, 0
	s_add_i32 s13, s13, 0x407ffff
	v_add_nc_u32_e32 v16, v3, v2
	s_and_b32 s19, s13, 0xff00000
	s_lshr_b32 s13, s13, 20
	s_cmp_lg_u32 s19, 0x7f00000
	v_add_f32_e64 v2, 0x43000000, |v4|
	s_cselect_b32 s19, s13, 0x7e
	s_cmp_lt_u32 s15, 0x38800000
	v_add_nc_u32_e32 v3, 0x7fff, v5
	s_cselect_b32 s12, -1, 0
	s_add_i32 s1, s1, 0x80fffff
	s_delay_alu instid0(SALU_CYCLE_1)
	s_lshr_b32 s13, s1, 21
	s_cmp_gt_u32 s15, 0x7f800000
	s_movk_i32 s1, 0x7c
	s_cselect_b32 s22, s16, 0x7e
	s_cselect_b32 s15, 0x7f, s1
	s_cmp_lg_u32 s7, 0
	v_readfirstlane_b32 s16, v2
	s_cselect_b32 s1, -1, 0
	v_lshrrev_b32_e32 v11, 16, v3
	v_cndmask_b32_e64 v10, 0, 1, s1
	v_cmpx_gt_i32_e64 s29, v15
	s_cbranch_execz .LBB22_100
; %bb.2:
	v_mul_lo_u32 v2, v15, s6
	v_and_b32_e64 v17, 0xff, s9
	s_delay_alu instid0(VALU_DEP_1) | instskip(NEXT) | instid1(VALU_DEP_3)
	v_cmp_gt_i16_e32 vcc_lo, 11, v17
	v_ashrrev_i32_e32 v3, 31, v2
	v_add_co_u32 v6, s1, s4, v2
	s_delay_alu instid0(VALU_DEP_1)
	v_add_co_ci_u32_e64 v7, s1, s5, v3, s1
	s_cbranch_vccnz .LBB22_9
; %bb.3:
	v_cmp_lt_i16_e32 vcc_lo, 25, v17
	s_cbranch_vccz .LBB22_12
; %bb.4:
	v_cmp_lt_i16_e32 vcc_lo, 28, v17
	s_cbranch_vccz .LBB22_13
	;; [unrolled: 3-line block ×4, first 2 shown]
; %bb.7:
	v_cmp_eq_u16_e32 vcc_lo, 46, v17
	s_mov_b32 s34, 0
	s_mov_b32 s1, -1
	s_cbranch_vccz .LBB22_16
; %bb.8:
	s_mov_b32 s30, -1
	s_mov_b32 s1, 0
	global_store_b32 v[6:7], v11, off
	s_branch .LBB22_16
.LBB22_9:
	s_mov_b32 s1, 0
	s_and_b32 vcc_lo, exec_lo, s34
	s_cbranch_vccnz .LBB22_60
.LBB22_10:
	s_and_not1_b32 vcc_lo, exec_lo, s30
	s_cbranch_vccnz .LBB22_98
.LBB22_11:
	v_add_nc_u32_e32 v15, 0x80, v15
	s_mov_b32 s34, -1
	s_branch .LBB22_99
.LBB22_12:
	s_mov_b32 s1, 0
	s_and_b32 vcc_lo, exec_lo, s34
	s_cbranch_vccnz .LBB22_38
	s_branch .LBB22_59
.LBB22_13:
	s_mov_b32 s1, 0
	s_branch .LBB22_24
.LBB22_14:
	s_mov_b32 s1, 0
	s_branch .LBB22_20
.LBB22_15:
	s_mov_b32 s1, 0
.LBB22_16:
	s_and_b32 vcc_lo, exec_lo, s34
	s_cbranch_vccz .LBB22_19
; %bb.17:
	v_cmp_eq_u16_e32 vcc_lo, 44, v17
	s_mov_b32 s1, -1
	s_cbranch_vccz .LBB22_19
; %bb.18:
	v_cndmask_b32_e64 v2, v16, 0xff, s0
	s_mov_b32 s30, -1
	s_mov_b32 s1, 0
	s_mov_b32 s34, 0
	global_store_b8 v[6:7], v2, off
	s_branch .LBB22_20
.LBB22_19:
	s_mov_b32 s34, 0
.LBB22_20:
	s_delay_alu instid0(SALU_CYCLE_1)
	s_and_b32 vcc_lo, exec_lo, s34
	s_cbranch_vccz .LBB22_23
; %bb.21:
	v_cmp_eq_u16_e32 vcc_lo, 29, v17
	s_mov_b32 s1, -1
	s_cbranch_vccz .LBB22_23
; %bb.22:
	v_dual_mov_b32 v2, s2 :: v_dual_mov_b32 v3, s3
	s_mov_b32 s30, -1
	s_mov_b32 s1, 0
	s_mov_b32 s34, 0
	global_store_b64 v[6:7], v[2:3], off
	s_branch .LBB22_24
.LBB22_23:
	s_mov_b32 s34, 0
.LBB22_24:
	s_delay_alu instid0(SALU_CYCLE_1)
	s_and_b32 vcc_lo, exec_lo, s34
	s_cbranch_vccz .LBB22_37
; %bb.25:
	v_cmp_gt_i16_e32 vcc_lo, 27, v17
	s_mov_b32 s30, -1
	s_cbranch_vccnz .LBB22_31
; %bb.26:
	v_cmp_lt_i16_e32 vcc_lo, 27, v17
	s_cbranch_vccz .LBB22_28
; %bb.27:
	v_mov_b32_e32 v2, s7
	s_mov_b32 s30, 0
	global_store_b32 v[6:7], v2, off
.LBB22_28:
	s_and_not1_b32 vcc_lo, exec_lo, s30
	s_cbranch_vccnz .LBB22_30
; %bb.29:
	v_mov_b32_e32 v2, s7
	global_store_b16 v[6:7], v2, off
.LBB22_30:
	s_mov_b32 s30, 0
.LBB22_31:
	s_delay_alu instid0(SALU_CYCLE_1)
	s_and_not1_b32 vcc_lo, exec_lo, s30
	s_cbranch_vccnz .LBB22_36
; %bb.32:
	v_mov_b32_e32 v2, 0x80
	s_and_not1_b32 vcc_lo, exec_lo, s26
	s_cbranch_vccnz .LBB22_35
; %bb.33:
	v_mov_b32_e32 v2, 0
	s_or_b32 s30, s21, s28
	s_delay_alu instid0(SALU_CYCLE_1)
	s_and_not1_b32 vcc_lo, exec_lo, s30
	s_cbranch_vccnz .LBB22_35
; %bb.34:
	v_cndmask_b32_e64 v2, v14, s25, s21
	s_delay_alu instid0(VALU_DEP_1)
	v_or_b32_e32 v2, v2, v12
.LBB22_35:
	global_store_b8 v[6:7], v2, off
.LBB22_36:
	s_mov_b32 s30, -1
.LBB22_37:
	s_branch .LBB22_59
.LBB22_38:
	v_cmp_lt_i16_e32 vcc_lo, 22, v17
	s_mov_b32 s34, -1
	s_cbranch_vccz .LBB22_51
; %bb.39:
	v_cmp_gt_i16_e32 vcc_lo, 24, v17
	s_mov_b32 s30, -1
	s_cbranch_vccnz .LBB22_48
; %bb.40:
	v_cmp_lt_i16_e32 vcc_lo, 24, v17
	s_cbranch_vccz .LBB22_45
; %bb.41:
	v_mov_b32_e32 v2, 0x80
	s_and_not1_b32 vcc_lo, exec_lo, s24
	s_cbranch_vccnz .LBB22_44
; %bb.42:
	v_mov_b32_e32 v2, 0
	s_or_b32 s30, s18, s27
	s_delay_alu instid0(SALU_CYCLE_1)
	s_and_not1_b32 vcc_lo, exec_lo, s30
	s_cbranch_vccnz .LBB22_44
; %bb.43:
	v_cndmask_b32_e64 v2, v13, s20, s18
	s_delay_alu instid0(VALU_DEP_1)
	v_or_b32_e32 v2, v2, v12
.LBB22_44:
	s_mov_b32 s30, 0
	global_store_b8 v[6:7], v2, off
.LBB22_45:
	s_and_b32 vcc_lo, exec_lo, s30
	s_cbranch_vccz .LBB22_47
; %bb.46:
	s_and_b32 s30, s17, exec_lo
	s_cselect_b32 s30, s23, s19
	s_and_b32 s34, s14, exec_lo
	s_cselect_b32 s30, s22, s30
	s_delay_alu instid0(SALU_CYCLE_1)
	v_or_b32_e32 v2, s30, v12
	global_store_b8 v[6:7], v2, off
.LBB22_47:
	s_mov_b32 s30, 0
.LBB22_48:
	s_delay_alu instid0(SALU_CYCLE_1)
	s_and_not1_b32 vcc_lo, exec_lo, s30
	s_cbranch_vccnz .LBB22_50
; %bb.49:
	s_and_b32 s30, s12, exec_lo
	s_cselect_b32 s30, s16, s13
	s_and_b32 s34, s11, exec_lo
	s_cselect_b32 s30, s15, s30
	s_delay_alu instid0(SALU_CYCLE_1)
	v_or_b32_e32 v2, s30, v12
	global_store_b8 v[6:7], v2, off
.LBB22_50:
	s_mov_b32 s34, 0
	s_mov_b32 s30, -1
.LBB22_51:
	s_and_not1_b32 vcc_lo, exec_lo, s34
	s_cbranch_vccnz .LBB22_59
; %bb.52:
	v_cmp_lt_i16_e32 vcc_lo, 14, v17
	s_mov_b32 s34, -1
	s_cbranch_vccz .LBB22_56
; %bb.53:
	v_cmp_eq_u16_e32 vcc_lo, 15, v17
	s_mov_b32 s1, -1
	s_cbranch_vccz .LBB22_55
; %bb.54:
	s_mov_b32 s30, -1
	s_mov_b32 s1, 0
	global_store_b16 v[6:7], v11, off
.LBB22_55:
	s_mov_b32 s34, 0
.LBB22_56:
	s_delay_alu instid0(SALU_CYCLE_1)
	s_and_b32 vcc_lo, exec_lo, s34
	s_cbranch_vccz .LBB22_59
; %bb.57:
	v_cmp_eq_u16_e32 vcc_lo, 11, v17
	s_mov_b32 s1, -1
	s_cbranch_vccz .LBB22_59
; %bb.58:
	s_mov_b32 s30, -1
	s_mov_b32 s1, 0
	global_store_b8 v[6:7], v10, off
.LBB22_59:
	s_branch .LBB22_10
.LBB22_60:
	v_cmp_gt_i16_e32 vcc_lo, 5, v17
	s_mov_b32 s30, -1
	s_cbranch_vccnz .LBB22_81
; %bb.61:
	v_cmp_gt_i16_e32 vcc_lo, 8, v17
	s_cbranch_vccnz .LBB22_71
; %bb.62:
	v_cmp_gt_i16_e32 vcc_lo, 9, v17
	s_cbranch_vccnz .LBB22_68
; %bb.63:
	v_cmp_lt_i16_e32 vcc_lo, 9, v17
	s_cbranch_vccz .LBB22_65
; %bb.64:
	v_mov_b32_e32 v2, 0
	s_mov_b32 s30, 0
	s_delay_alu instid0(VALU_DEP_1)
	v_mov_b32_e32 v3, v2
	global_store_b128 v[6:7], v[0:3], off
.LBB22_65:
	s_and_not1_b32 vcc_lo, exec_lo, s30
	s_cbranch_vccnz .LBB22_67
; %bb.66:
	v_mov_b32_e32 v5, 0
	global_store_b64 v[6:7], v[4:5], off
.LBB22_67:
	s_mov_b32 s30, 0
.LBB22_68:
	s_delay_alu instid0(SALU_CYCLE_1)
	s_and_not1_b32 vcc_lo, exec_lo, s30
	s_cbranch_vccnz .LBB22_70
; %bb.69:
	global_store_b32 v[6:7], v9, off
.LBB22_70:
	s_mov_b32 s30, 0
.LBB22_71:
	s_delay_alu instid0(SALU_CYCLE_1)
	s_and_not1_b32 vcc_lo, exec_lo, s30
	s_cbranch_vccnz .LBB22_80
; %bb.72:
	v_cmp_gt_i16_e32 vcc_lo, 6, v17
	s_mov_b32 s30, -1
	s_cbranch_vccnz .LBB22_78
; %bb.73:
	v_cmp_lt_i16_e32 vcc_lo, 6, v17
	s_cbranch_vccz .LBB22_75
; %bb.74:
	s_mov_b32 s30, 0
	global_store_b64 v[6:7], v[0:1], off
.LBB22_75:
	s_and_not1_b32 vcc_lo, exec_lo, s30
	s_cbranch_vccnz .LBB22_77
; %bb.76:
	global_store_b32 v[6:7], v4, off
.LBB22_77:
	s_mov_b32 s30, 0
.LBB22_78:
	s_delay_alu instid0(SALU_CYCLE_1)
	s_and_not1_b32 vcc_lo, exec_lo, s30
	s_cbranch_vccnz .LBB22_80
; %bb.79:
	global_store_b16 v[6:7], v8, off
.LBB22_80:
	s_mov_b32 s30, 0
.LBB22_81:
	s_delay_alu instid0(SALU_CYCLE_1)
	s_and_not1_b32 vcc_lo, exec_lo, s30
	s_cbranch_vccnz .LBB22_97
; %bb.82:
	v_cmp_gt_i16_e32 vcc_lo, 2, v17
	s_mov_b32 s30, -1
	s_cbranch_vccnz .LBB22_92
; %bb.83:
	v_cmp_gt_i16_e32 vcc_lo, 3, v17
	s_cbranch_vccnz .LBB22_89
; %bb.84:
	v_cmp_lt_i16_e32 vcc_lo, 3, v17
	s_cbranch_vccz .LBB22_86
; %bb.85:
	v_dual_mov_b32 v2, s2 :: v_dual_mov_b32 v3, s3
	s_mov_b32 s30, 0
	global_store_b64 v[6:7], v[2:3], off
.LBB22_86:
	s_and_not1_b32 vcc_lo, exec_lo, s30
	s_cbranch_vccnz .LBB22_88
; %bb.87:
	v_mov_b32_e32 v2, s7
	global_store_b32 v[6:7], v2, off
.LBB22_88:
	s_mov_b32 s30, 0
.LBB22_89:
	s_delay_alu instid0(SALU_CYCLE_1)
	s_and_not1_b32 vcc_lo, exec_lo, s30
	s_cbranch_vccnz .LBB22_91
; %bb.90:
	v_mov_b32_e32 v2, s7
	global_store_b16 v[6:7], v2, off
.LBB22_91:
	s_mov_b32 s30, 0
.LBB22_92:
	s_delay_alu instid0(SALU_CYCLE_1)
	s_and_not1_b32 vcc_lo, exec_lo, s30
	s_cbranch_vccnz .LBB22_97
; %bb.93:
	v_cmp_lt_i16_e32 vcc_lo, 0, v17
	s_mov_b32 s30, -1
	s_cbranch_vccz .LBB22_95
; %bb.94:
	v_mov_b32_e32 v2, s7
	s_mov_b32 s30, 0
	global_store_b8 v[6:7], v2, off
.LBB22_95:
	s_and_not1_b32 vcc_lo, exec_lo, s30
	s_cbranch_vccnz .LBB22_97
; %bb.96:
	v_mov_b32_e32 v2, s7
	global_store_b8 v[6:7], v2, off
.LBB22_97:
	s_branch .LBB22_11
.LBB22_98:
	s_mov_b32 s34, 0
                                        ; implicit-def: $vgpr15
.LBB22_99:
	s_and_b32 s30, s1, exec_lo
	s_or_not1_b32 s34, s34, exec_lo
.LBB22_100:
	s_or_b32 exec_lo, exec_lo, s31
	s_mov_b32 s1, 0
                                        ; implicit-def: $vgpr17
                                        ; implicit-def: $vgpr6_vgpr7
	s_and_saveexec_b32 s31, s34
	s_cbranch_execz .LBB22_109
; %bb.101:
	s_mov_b32 s1, -1
	s_mov_b32 s33, s30
	s_mov_b32 s34, exec_lo
	v_cmpx_gt_i32_e64 s29, v15
	s_cbranch_execz .LBB22_326
; %bb.102:
	v_mul_lo_u32 v2, v15, s6
	v_and_b32_e64 v17, 0xff, s9
	s_delay_alu instid0(VALU_DEP_1) | instskip(NEXT) | instid1(VALU_DEP_3)
	v_cmp_gt_i16_e32 vcc_lo, 11, v17
	v_ashrrev_i32_e32 v3, 31, v2
	v_add_co_u32 v6, s1, s4, v2
	s_delay_alu instid0(VALU_DEP_1)
	v_add_co_ci_u32_e64 v7, s1, s5, v3, s1
	s_cbranch_vccnz .LBB22_219
; %bb.103:
	v_cmp_lt_i16_e32 vcc_lo, 25, v17
	s_cbranch_vccz .LBB22_222
; %bb.104:
	v_cmp_lt_i16_e32 vcc_lo, 28, v17
	s_cbranch_vccz .LBB22_223
	;; [unrolled: 3-line block ×4, first 2 shown]
; %bb.107:
	v_cmp_eq_u16_e32 vcc_lo, 46, v17
	s_mov_b32 s35, 0
	s_mov_b32 s1, -1
	s_mov_b32 s33, 0
	s_cbranch_vccz .LBB22_241
; %bb.108:
	s_mov_b32 s33, -1
	s_mov_b32 s1, 0
	global_store_b32 v[6:7], v11, off
	s_branch .LBB22_241
.LBB22_109:
	s_or_b32 exec_lo, exec_lo, s31
	s_mov_b32 s0, 0
	s_and_saveexec_b32 s11, s30
	s_cbranch_execnz .LBB22_791
.LBB22_110:
	s_or_b32 exec_lo, exec_lo, s11
	s_and_saveexec_b32 s11, s33
	s_delay_alu instid0(SALU_CYCLE_1)
	s_xor_b32 s11, exec_lo, s11
	s_cbranch_execz .LBB22_112
.LBB22_111:
	global_store_b8 v[6:7], v10, off
.LBB22_112:
	s_or_b32 exec_lo, exec_lo, s11
	s_and_saveexec_b32 s11, s1
	s_delay_alu instid0(SALU_CYCLE_1)
	s_xor_b32 s1, exec_lo, s11
	s_cbranch_execz .LBB22_150
; %bb.113:
	v_cmp_gt_i16_e32 vcc_lo, 5, v17
	s_mov_b32 s11, -1
	s_cbranch_vccnz .LBB22_134
; %bb.114:
	v_cmp_gt_i16_e32 vcc_lo, 8, v17
	s_cbranch_vccnz .LBB22_124
; %bb.115:
	v_cmp_gt_i16_e32 vcc_lo, 9, v17
	s_cbranch_vccnz .LBB22_121
; %bb.116:
	v_cmp_lt_i16_e32 vcc_lo, 9, v17
	s_cbranch_vccz .LBB22_118
; %bb.117:
	v_mov_b32_e32 v2, 0
	s_mov_b32 s11, 0
	s_delay_alu instid0(VALU_DEP_1)
	v_mov_b32_e32 v3, v2
	global_store_b128 v[6:7], v[0:3], off
.LBB22_118:
	s_and_not1_b32 vcc_lo, exec_lo, s11
	s_cbranch_vccnz .LBB22_120
; %bb.119:
	v_mov_b32_e32 v5, 0
	global_store_b64 v[6:7], v[4:5], off
.LBB22_120:
	s_mov_b32 s11, 0
.LBB22_121:
	s_delay_alu instid0(SALU_CYCLE_1)
	s_and_not1_b32 vcc_lo, exec_lo, s11
	s_cbranch_vccnz .LBB22_123
; %bb.122:
	global_store_b32 v[6:7], v9, off
.LBB22_123:
	s_mov_b32 s11, 0
.LBB22_124:
	s_delay_alu instid0(SALU_CYCLE_1)
	s_and_not1_b32 vcc_lo, exec_lo, s11
	s_cbranch_vccnz .LBB22_133
; %bb.125:
	v_cmp_gt_i16_e32 vcc_lo, 6, v17
	s_mov_b32 s11, -1
	s_cbranch_vccnz .LBB22_131
; %bb.126:
	v_cmp_lt_i16_e32 vcc_lo, 6, v17
	s_cbranch_vccz .LBB22_128
; %bb.127:
	s_mov_b32 s11, 0
	global_store_b64 v[6:7], v[0:1], off
.LBB22_128:
	s_and_not1_b32 vcc_lo, exec_lo, s11
	s_cbranch_vccnz .LBB22_130
; %bb.129:
	global_store_b32 v[6:7], v4, off
.LBB22_130:
	s_mov_b32 s11, 0
.LBB22_131:
	s_delay_alu instid0(SALU_CYCLE_1)
	s_and_not1_b32 vcc_lo, exec_lo, s11
	s_cbranch_vccnz .LBB22_133
; %bb.132:
	global_store_b16 v[6:7], v8, off
.LBB22_133:
	s_mov_b32 s11, 0
.LBB22_134:
	s_delay_alu instid0(SALU_CYCLE_1)
	s_and_not1_b32 vcc_lo, exec_lo, s11
	s_cbranch_vccnz .LBB22_150
; %bb.135:
	v_cmp_gt_i16_e32 vcc_lo, 2, v17
	s_mov_b32 s11, -1
	s_cbranch_vccnz .LBB22_145
; %bb.136:
	v_cmp_gt_i16_e32 vcc_lo, 3, v17
	s_cbranch_vccnz .LBB22_142
; %bb.137:
	v_cmp_lt_i16_e32 vcc_lo, 3, v17
	s_cbranch_vccz .LBB22_139
; %bb.138:
	v_dual_mov_b32 v0, s2 :: v_dual_mov_b32 v1, s3
	s_mov_b32 s11, 0
	global_store_b64 v[6:7], v[0:1], off
.LBB22_139:
	s_and_not1_b32 vcc_lo, exec_lo, s11
	s_cbranch_vccnz .LBB22_141
; %bb.140:
	v_mov_b32_e32 v0, s7
	global_store_b32 v[6:7], v0, off
.LBB22_141:
	s_mov_b32 s11, 0
.LBB22_142:
	s_delay_alu instid0(SALU_CYCLE_1)
	s_and_not1_b32 vcc_lo, exec_lo, s11
	s_cbranch_vccnz .LBB22_144
; %bb.143:
	v_mov_b32_e32 v0, s7
	global_store_b16 v[6:7], v0, off
.LBB22_144:
	s_mov_b32 s11, 0
.LBB22_145:
	s_delay_alu instid0(SALU_CYCLE_1)
	s_and_not1_b32 vcc_lo, exec_lo, s11
	s_cbranch_vccnz .LBB22_150
; %bb.146:
	v_cmp_lt_i16_e32 vcc_lo, 0, v17
	s_mov_b32 s2, -1
	s_cbranch_vccz .LBB22_148
; %bb.147:
	v_mov_b32_e32 v0, s7
	s_mov_b32 s2, 0
	global_store_b8 v[6:7], v0, off
.LBB22_148:
	s_and_not1_b32 vcc_lo, exec_lo, s2
	s_cbranch_vccnz .LBB22_150
; %bb.149:
	v_mov_b32_e32 v0, s7
	global_store_b8 v[6:7], v0, off
.LBB22_150:
	s_or_b32 exec_lo, exec_lo, s1
	s_delay_alu instid0(SALU_CYCLE_1)
	s_and_b32 s1, s0, exec_lo
                                        ; implicit-def: $vgpr15
.LBB22_151:
	s_or_saveexec_b32 s2, s10
	s_mov_b32 s0, 0
                                        ; implicit-def: $vgpr2
                                        ; implicit-def: $vgpr0_vgpr1
	s_xor_b32 exec_lo, exec_lo, s2
	s_cbranch_execz .LBB22_685
; %bb.152:
	v_mul_lo_u32 v3, s6, v15
	v_and_b32_e64 v2, 0xff, s9
	s_delay_alu instid0(VALU_DEP_1) | instskip(NEXT) | instid1(VALU_DEP_3)
	v_cmp_gt_i16_e32 vcc_lo, 11, v2
	v_ashrrev_i32_e32 v1, 31, v3
	v_add_co_u32 v0, s0, s4, v3
	s_delay_alu instid0(VALU_DEP_1)
	v_add_co_ci_u32_e64 v1, s0, s5, v1, s0
	s_cbranch_vccnz .LBB22_180
; %bb.153:
	v_cmp_lt_i16_e32 vcc_lo, 25, v2
	s_mov_b32 s3, -1
	s_mov_b32 s9, 0
	s_mov_b32 s0, 0
	s_cbranch_vccz .LBB22_233
; %bb.154:
	v_cmp_lt_i16_e32 vcc_lo, 28, v2
	s_cbranch_vccz .LBB22_169
; %bb.155:
	v_cmp_lt_i16_e32 vcc_lo, 43, v2
	;; [unrolled: 3-line block ×3, first 2 shown]
	s_cbranch_vccz .LBB22_159
; %bb.157:
	v_cmp_eq_u16_e32 vcc_lo, 46, v2
	s_mov_b32 s0, -1
	s_mov_b32 s3, 0
	s_cbranch_vccz .LBB22_159
; %bb.158:
	v_cvt_f32_i32_e32 v4, s7
	s_mov_b32 s0, 0
	s_mov_b32 s9, -1
	s_delay_alu instid0(VALU_DEP_1) | instskip(NEXT) | instid1(VALU_DEP_1)
	v_bfe_u32 v5, v4, 16, 1
	v_add_nc_u32_e32 v4, v4, v5
	s_delay_alu instid0(VALU_DEP_1) | instskip(NEXT) | instid1(VALU_DEP_1)
	v_add_nc_u32_e32 v4, 0x7fff, v4
	v_lshrrev_b32_e32 v4, 16, v4
	global_store_b32 v[0:1], v4, off
.LBB22_159:
	s_and_b32 vcc_lo, exec_lo, s3
	s_cbranch_vccz .LBB22_164
; %bb.160:
	v_cmp_eq_u16_e32 vcc_lo, 44, v2
	s_mov_b32 s0, -1
	s_cbranch_vccz .LBB22_164
; %bb.161:
	v_cvt_f32_i32_e32 v4, s7
	v_mov_b32_e32 v5, 0xff
	s_delay_alu instid0(VALU_DEP_2) | instskip(NEXT) | instid1(VALU_DEP_1)
	v_readfirstlane_b32 s0, v4
	s_bfe_u32 s3, s0, 0x80017
	s_delay_alu instid0(SALU_CYCLE_1)
	s_cmpk_eq_i32 s3, 0xff
	s_cbranch_scc1 .LBB22_163
; %bb.162:
	s_bitcmp1_b32 s0, 22
	v_lshrrev_b32_e32 v4, 23, v4
	s_cselect_b32 s9, -1, 0
	s_and_b32 s0, s0, 0x3fffff
	s_delay_alu instid0(SALU_CYCLE_1) | instskip(NEXT) | instid1(SALU_CYCLE_1)
	s_or_b32 s0, s3, s0
	s_cmp_lg_u32 s0, 0
	s_cselect_b32 s0, -1, 0
	s_delay_alu instid0(SALU_CYCLE_1) | instskip(NEXT) | instid1(SALU_CYCLE_1)
	s_and_b32 s0, s9, s0
	v_cndmask_b32_e64 v5, 0, 1, s0
	s_delay_alu instid0(VALU_DEP_1)
	v_add_nc_u32_e32 v5, v4, v5
.LBB22_163:
	s_mov_b32 s0, 0
	s_mov_b32 s9, -1
	global_store_b8 v[0:1], v5, off
.LBB22_164:
	s_mov_b32 s3, 0
.LBB22_165:
	s_delay_alu instid0(SALU_CYCLE_1)
	s_and_b32 vcc_lo, exec_lo, s3
	s_cbranch_vccz .LBB22_168
; %bb.166:
	v_cmp_eq_u16_e32 vcc_lo, 29, v2
	s_mov_b32 s0, -1
	s_cbranch_vccz .LBB22_168
; %bb.167:
	s_ashr_i32 s0, s7, 31
	s_delay_alu instid0(SALU_CYCLE_1)
	v_dual_mov_b32 v4, s7 :: v_dual_mov_b32 v5, s0
	s_mov_b32 s0, 0
	s_mov_b32 s9, -1
	global_store_b64 v[0:1], v[4:5], off
.LBB22_168:
	s_mov_b32 s3, 0
.LBB22_169:
	s_delay_alu instid0(SALU_CYCLE_1)
	s_and_b32 vcc_lo, exec_lo, s3
	s_cbranch_vccz .LBB22_232
; %bb.170:
	v_cmp_gt_i16_e32 vcc_lo, 27, v2
	s_mov_b32 s3, -1
	s_cbranch_vccnz .LBB22_176
; %bb.171:
	v_cmp_lt_i16_e32 vcc_lo, 27, v2
	s_cbranch_vccz .LBB22_173
; %bb.172:
	v_mov_b32_e32 v4, s7
	s_mov_b32 s3, 0
	global_store_b32 v[0:1], v4, off
.LBB22_173:
	s_and_not1_b32 vcc_lo, exec_lo, s3
	s_cbranch_vccnz .LBB22_175
; %bb.174:
	v_mov_b32_e32 v4, s7
	global_store_b16 v[0:1], v4, off
.LBB22_175:
	s_mov_b32 s3, 0
.LBB22_176:
	s_delay_alu instid0(SALU_CYCLE_1)
	s_and_not1_b32 vcc_lo, exec_lo, s3
	s_cbranch_vccnz .LBB22_231
; %bb.177:
	v_cvt_f32_i32_e32 v4, s7
	v_mov_b32_e32 v5, 0x80
	s_delay_alu instid0(VALU_DEP_2) | instskip(NEXT) | instid1(VALU_DEP_1)
	v_readfirstlane_b32 s3, v4
	s_and_b32 s9, s3, 0x7fffffff
	s_delay_alu instid0(SALU_CYCLE_1)
	s_cmp_gt_u32 s9, 0x437fffff
	s_cbranch_scc1 .LBB22_230
; %bb.178:
	s_cmp_gt_u32 s9, 0x3bffffff
	s_cbranch_scc0 .LBB22_225
; %bb.179:
	s_bfe_u32 s9, s3, 0x10014
	s_mov_b32 s10, 0
	s_add_i32 s9, s3, s9
	s_delay_alu instid0(SALU_CYCLE_1) | instskip(NEXT) | instid1(SALU_CYCLE_1)
	s_add_i32 s9, s9, 0x487ffff
	s_lshr_b32 s11, s9, 20
	s_mov_b32 s9, -1
	s_branch .LBB22_226
.LBB22_180:
	s_mov_b32 s9, 0
	s_mov_b32 s3, s1
	s_cbranch_execz .LBB22_382
; %bb.181:
	v_cmp_gt_i16_e32 vcc_lo, 5, v2
	s_mov_b32 s0, -1
	s_cbranch_vccnz .LBB22_202
; %bb.182:
	v_cmp_gt_i16_e32 vcc_lo, 8, v2
	s_cbranch_vccnz .LBB22_192
; %bb.183:
	v_cmp_gt_i16_e32 vcc_lo, 9, v2
	s_cbranch_vccnz .LBB22_189
; %bb.184:
	v_cmp_lt_i16_e32 vcc_lo, 9, v2
	s_cbranch_vccz .LBB22_186
; %bb.185:
	v_cvt_f64_i32_e32 v[4:5], s7
	v_mov_b32_e32 v6, 0
	s_mov_b32 s0, 0
	s_delay_alu instid0(VALU_DEP_1)
	v_mov_b32_e32 v7, v6
	global_store_b128 v[0:1], v[4:7], off
.LBB22_186:
	s_and_not1_b32 vcc_lo, exec_lo, s0
	s_cbranch_vccnz .LBB22_188
; %bb.187:
	v_cvt_f32_i32_e32 v4, s7
	v_mov_b32_e32 v5, 0
	global_store_b64 v[0:1], v[4:5], off
.LBB22_188:
	s_mov_b32 s0, 0
.LBB22_189:
	s_delay_alu instid0(SALU_CYCLE_1)
	s_and_not1_b32 vcc_lo, exec_lo, s0
	s_cbranch_vccnz .LBB22_191
; %bb.190:
	v_cvt_f32_i32_e32 v4, s7
	s_delay_alu instid0(VALU_DEP_1) | instskip(NEXT) | instid1(VALU_DEP_1)
	v_cvt_f16_f32_e32 v4, v4
	v_and_b32_e32 v4, 0xffff, v4
	global_store_b32 v[0:1], v4, off
.LBB22_191:
	s_mov_b32 s0, 0
.LBB22_192:
	s_delay_alu instid0(SALU_CYCLE_1)
	s_and_not1_b32 vcc_lo, exec_lo, s0
	s_cbranch_vccnz .LBB22_201
; %bb.193:
	v_cmp_gt_i16_e32 vcc_lo, 6, v2
	s_mov_b32 s0, -1
	s_cbranch_vccnz .LBB22_199
; %bb.194:
	v_cmp_lt_i16_e32 vcc_lo, 6, v2
	s_cbranch_vccz .LBB22_196
; %bb.195:
	v_cvt_f64_i32_e32 v[4:5], s7
	s_mov_b32 s0, 0
	global_store_b64 v[0:1], v[4:5], off
.LBB22_196:
	s_and_not1_b32 vcc_lo, exec_lo, s0
	s_cbranch_vccnz .LBB22_198
; %bb.197:
	v_cvt_f32_i32_e32 v4, s7
	global_store_b32 v[0:1], v4, off
.LBB22_198:
	s_mov_b32 s0, 0
.LBB22_199:
	s_delay_alu instid0(SALU_CYCLE_1)
	s_and_not1_b32 vcc_lo, exec_lo, s0
	s_cbranch_vccnz .LBB22_201
; %bb.200:
	v_cvt_f32_i32_e32 v4, s7
	s_delay_alu instid0(VALU_DEP_1)
	v_cvt_f16_f32_e32 v4, v4
	global_store_b16 v[0:1], v4, off
.LBB22_201:
	s_mov_b32 s0, 0
.LBB22_202:
	s_delay_alu instid0(SALU_CYCLE_1)
	s_and_not1_b32 vcc_lo, exec_lo, s0
	s_cbranch_vccnz .LBB22_218
; %bb.203:
	v_cmp_gt_i16_e32 vcc_lo, 2, v2
	s_mov_b32 s0, -1
	s_cbranch_vccnz .LBB22_213
; %bb.204:
	v_cmp_gt_i16_e32 vcc_lo, 3, v2
	s_cbranch_vccnz .LBB22_210
; %bb.205:
	v_cmp_lt_i16_e32 vcc_lo, 3, v2
	s_cbranch_vccz .LBB22_207
; %bb.206:
	s_ashr_i32 s0, s7, 31
	s_delay_alu instid0(SALU_CYCLE_1)
	v_dual_mov_b32 v4, s7 :: v_dual_mov_b32 v5, s0
	s_mov_b32 s0, 0
	global_store_b64 v[0:1], v[4:5], off
.LBB22_207:
	s_and_not1_b32 vcc_lo, exec_lo, s0
	s_cbranch_vccnz .LBB22_209
; %bb.208:
	v_mov_b32_e32 v4, s7
	global_store_b32 v[0:1], v4, off
.LBB22_209:
	s_mov_b32 s0, 0
.LBB22_210:
	s_delay_alu instid0(SALU_CYCLE_1)
	s_and_not1_b32 vcc_lo, exec_lo, s0
	s_cbranch_vccnz .LBB22_212
; %bb.211:
	v_mov_b32_e32 v4, s7
	global_store_b16 v[0:1], v4, off
.LBB22_212:
	s_mov_b32 s0, 0
.LBB22_213:
	s_delay_alu instid0(SALU_CYCLE_1)
	s_and_not1_b32 vcc_lo, exec_lo, s0
	s_cbranch_vccnz .LBB22_218
; %bb.214:
	v_cmp_lt_i16_e32 vcc_lo, 0, v2
	s_mov_b32 s0, -1
	s_cbranch_vccz .LBB22_216
; %bb.215:
	v_mov_b32_e32 v4, s7
	s_mov_b32 s0, 0
	global_store_b8 v[0:1], v4, off
.LBB22_216:
	s_and_not1_b32 vcc_lo, exec_lo, s0
	s_cbranch_vccnz .LBB22_218
; %bb.217:
	v_mov_b32_e32 v4, s7
	global_store_b8 v[0:1], v4, off
.LBB22_218:
	s_branch .LBB22_383
.LBB22_219:
	s_mov_b32 s33, 0
	s_mov_b32 s1, s30
	s_cbranch_execnz .LBB22_286
.LBB22_220:
	s_and_not1_b32 vcc_lo, exec_lo, s33
	s_cbranch_vccnz .LBB22_324
.LBB22_221:
	v_add_nc_u32_e32 v15, 0x80, v15
	s_mov_b32 s35, -1
	s_branch .LBB22_325
.LBB22_222:
	s_mov_b32 s35, -1
	s_mov_b32 s33, 0
	s_mov_b32 s1, s30
	s_branch .LBB22_263
.LBB22_223:
	s_mov_b32 s35, -1
	s_mov_b32 s33, 0
	s_mov_b32 s1, s30
	s_branch .LBB22_249
.LBB22_224:
	s_mov_b32 s35, -1
	s_mov_b32 s33, 0
	s_mov_b32 s1, s30
	s_branch .LBB22_245
.LBB22_225:
	s_mov_b32 s10, -1
	s_mov_b32 s9, 0
                                        ; implicit-def: $sgpr11
.LBB22_226:
	v_mov_b32_e32 v4, s11
	s_and_not1_b32 vcc_lo, exec_lo, s10
                                        ; implicit-def: $sgpr10
	s_cbranch_vccnz .LBB22_228
; %bb.227:
	v_add_f32_e64 v4, 0x46000000, |s3|
	s_mov_b32 s10, 0
	s_delay_alu instid0(VALU_DEP_1) | instskip(NEXT) | instid1(VALU_DEP_1)
	v_and_b32_e32 v4, 0xff, v4
	v_cmp_ne_u32_e64 s9, 0, v4
.LBB22_228:
	v_mov_b32_e32 v5, s10
	s_delay_alu instid0(VALU_DEP_2)
	s_and_not1_b32 vcc_lo, exec_lo, s9
	s_cbranch_vccnz .LBB22_230
; %bb.229:
	s_lshr_b32 s3, s3, 24
	s_delay_alu instid0(SALU_CYCLE_1) | instskip(NEXT) | instid1(SALU_CYCLE_1)
	s_and_b32 s3, s3, 0x80
	v_or_b32_e32 v5, s3, v4
.LBB22_230:
	global_store_b8 v[0:1], v5, off
.LBB22_231:
	s_mov_b32 s9, -1
.LBB22_232:
	s_mov_b32 s3, 0
.LBB22_233:
	s_delay_alu instid0(SALU_CYCLE_1)
	s_and_b32 vcc_lo, exec_lo, s3
	s_cbranch_vccz .LBB22_378
; %bb.234:
	v_cmp_lt_i16_e32 vcc_lo, 22, v2
	s_mov_b32 s3, -1
	s_cbranch_vccz .LBB22_371
; %bb.235:
	v_cmp_gt_i16_e32 vcc_lo, 24, v2
	s_cbranch_vccnz .LBB22_358
; %bb.236:
	v_cmp_lt_i16_e32 vcc_lo, 24, v2
	s_cbranch_vccz .LBB22_345
; %bb.237:
	v_cvt_f32_i32_e32 v4, s7
	v_mov_b32_e32 v5, 0x80
	s_delay_alu instid0(VALU_DEP_2) | instskip(NEXT) | instid1(VALU_DEP_1)
	v_readfirstlane_b32 s3, v4
	s_and_b32 s8, s3, 0x7fffffff
	s_delay_alu instid0(SALU_CYCLE_1)
	s_cmp_gt_u32 s8, 0x477fffff
	s_cbranch_scc1 .LBB22_344
; %bb.238:
	s_cmp_gt_u32 s8, 0x37ffffff
	s_cbranch_scc0 .LBB22_339
; %bb.239:
	s_bfe_u32 s8, s3, 0x10015
	s_mov_b32 s9, 0
	s_add_i32 s8, s3, s8
	s_delay_alu instid0(SALU_CYCLE_1) | instskip(NEXT) | instid1(SALU_CYCLE_1)
	s_add_i32 s8, s8, 0x88fffff
	s_lshr_b32 s10, s8, 21
	s_mov_b32 s8, -1
	s_branch .LBB22_340
.LBB22_240:
	s_mov_b32 s35, -1
	s_mov_b32 s33, 0
	s_mov_b32 s1, s30
.LBB22_241:
	s_and_b32 vcc_lo, exec_lo, s35
	s_cbranch_vccz .LBB22_244
; %bb.242:
	v_cmp_eq_u16_e32 vcc_lo, 44, v17
	s_mov_b32 s1, -1
	s_cbranch_vccz .LBB22_244
; %bb.243:
	v_cndmask_b32_e64 v2, v16, 0xff, s0
	s_mov_b32 s33, -1
	s_mov_b32 s1, 0
	global_store_b8 v[6:7], v2, off
.LBB22_244:
	s_mov_b32 s35, 0
.LBB22_245:
	s_delay_alu instid0(SALU_CYCLE_1)
	s_and_b32 vcc_lo, exec_lo, s35
	s_cbranch_vccz .LBB22_248
; %bb.246:
	v_cmp_eq_u16_e32 vcc_lo, 29, v17
	s_mov_b32 s1, -1
	s_cbranch_vccz .LBB22_248
; %bb.247:
	v_dual_mov_b32 v2, s2 :: v_dual_mov_b32 v3, s3
	s_mov_b32 s33, -1
	s_mov_b32 s1, 0
	s_mov_b32 s35, 0
	global_store_b64 v[6:7], v[2:3], off
	s_branch .LBB22_249
.LBB22_248:
	s_mov_b32 s35, 0
.LBB22_249:
	s_delay_alu instid0(SALU_CYCLE_1)
	s_and_b32 vcc_lo, exec_lo, s35
	s_cbranch_vccz .LBB22_262
; %bb.250:
	v_cmp_gt_i16_e32 vcc_lo, 27, v17
	s_mov_b32 s33, -1
	s_cbranch_vccnz .LBB22_256
; %bb.251:
	v_cmp_lt_i16_e32 vcc_lo, 27, v17
	s_cbranch_vccz .LBB22_253
; %bb.252:
	v_mov_b32_e32 v2, s7
	s_mov_b32 s33, 0
	global_store_b32 v[6:7], v2, off
.LBB22_253:
	s_and_not1_b32 vcc_lo, exec_lo, s33
	s_cbranch_vccnz .LBB22_255
; %bb.254:
	v_mov_b32_e32 v2, s7
	global_store_b16 v[6:7], v2, off
.LBB22_255:
	s_mov_b32 s33, 0
.LBB22_256:
	s_delay_alu instid0(SALU_CYCLE_1)
	s_and_not1_b32 vcc_lo, exec_lo, s33
	s_cbranch_vccnz .LBB22_261
; %bb.257:
	v_mov_b32_e32 v2, 0x80
	s_and_not1_b32 vcc_lo, exec_lo, s26
	s_cbranch_vccnz .LBB22_260
; %bb.258:
	v_mov_b32_e32 v2, 0
	s_or_b32 s33, s21, s28
	s_delay_alu instid0(SALU_CYCLE_1)
	s_and_not1_b32 vcc_lo, exec_lo, s33
	s_cbranch_vccnz .LBB22_260
; %bb.259:
	v_cndmask_b32_e64 v2, v14, s25, s21
	s_delay_alu instid0(VALU_DEP_1)
	v_or_b32_e32 v2, v2, v12
.LBB22_260:
	global_store_b8 v[6:7], v2, off
.LBB22_261:
	s_mov_b32 s33, -1
.LBB22_262:
	s_mov_b32 s35, 0
.LBB22_263:
	s_delay_alu instid0(SALU_CYCLE_1)
	s_and_b32 vcc_lo, exec_lo, s35
	s_cbranch_vccz .LBB22_285
; %bb.264:
	v_cmp_lt_i16_e32 vcc_lo, 22, v17
	s_mov_b32 s35, -1
	s_cbranch_vccz .LBB22_277
; %bb.265:
	v_cmp_gt_i16_e32 vcc_lo, 24, v17
	s_mov_b32 s33, -1
	s_cbranch_vccnz .LBB22_274
; %bb.266:
	v_cmp_lt_i16_e32 vcc_lo, 24, v17
	s_cbranch_vccz .LBB22_271
; %bb.267:
	v_mov_b32_e32 v2, 0x80
	s_and_not1_b32 vcc_lo, exec_lo, s24
	s_cbranch_vccnz .LBB22_270
; %bb.268:
	v_mov_b32_e32 v2, 0
	s_or_b32 s33, s18, s27
	s_delay_alu instid0(SALU_CYCLE_1)
	s_and_not1_b32 vcc_lo, exec_lo, s33
	s_cbranch_vccnz .LBB22_270
; %bb.269:
	v_cndmask_b32_e64 v2, v13, s20, s18
	s_delay_alu instid0(VALU_DEP_1)
	v_or_b32_e32 v2, v2, v12
.LBB22_270:
	s_mov_b32 s33, 0
	global_store_b8 v[6:7], v2, off
.LBB22_271:
	s_and_b32 vcc_lo, exec_lo, s33
	s_cbranch_vccz .LBB22_273
; %bb.272:
	s_and_b32 s33, s17, exec_lo
	s_cselect_b32 s33, s23, s19
	s_and_b32 s35, s14, exec_lo
	s_cselect_b32 s33, s22, s33
	s_delay_alu instid0(SALU_CYCLE_1)
	v_or_b32_e32 v2, s33, v12
	global_store_b8 v[6:7], v2, off
.LBB22_273:
	s_mov_b32 s33, 0
.LBB22_274:
	s_delay_alu instid0(SALU_CYCLE_1)
	s_and_not1_b32 vcc_lo, exec_lo, s33
	s_cbranch_vccnz .LBB22_276
; %bb.275:
	s_and_b32 s33, s12, exec_lo
	s_cselect_b32 s33, s16, s13
	s_and_b32 s35, s11, exec_lo
	s_cselect_b32 s33, s15, s33
	s_delay_alu instid0(SALU_CYCLE_1)
	v_or_b32_e32 v2, s33, v12
	global_store_b8 v[6:7], v2, off
.LBB22_276:
	s_mov_b32 s35, 0
	s_mov_b32 s33, -1
.LBB22_277:
	s_and_not1_b32 vcc_lo, exec_lo, s35
	s_cbranch_vccnz .LBB22_285
; %bb.278:
	v_cmp_lt_i16_e32 vcc_lo, 14, v17
	s_mov_b32 s35, -1
	s_cbranch_vccz .LBB22_282
; %bb.279:
	v_cmp_eq_u16_e32 vcc_lo, 15, v17
	s_mov_b32 s1, -1
	s_cbranch_vccz .LBB22_281
; %bb.280:
	s_mov_b32 s33, -1
	s_mov_b32 s1, 0
	global_store_b16 v[6:7], v11, off
.LBB22_281:
	s_mov_b32 s35, 0
.LBB22_282:
	s_delay_alu instid0(SALU_CYCLE_1)
	s_and_b32 vcc_lo, exec_lo, s35
	s_cbranch_vccz .LBB22_285
; %bb.283:
	v_cmp_eq_u16_e32 vcc_lo, 11, v17
	s_mov_b32 s1, -1
	s_cbranch_vccz .LBB22_285
; %bb.284:
	s_mov_b32 s33, -1
	s_mov_b32 s1, 0
	global_store_b8 v[6:7], v10, off
.LBB22_285:
	s_branch .LBB22_220
.LBB22_286:
	v_cmp_gt_i16_e32 vcc_lo, 5, v17
	s_mov_b32 s33, -1
	s_cbranch_vccnz .LBB22_307
; %bb.287:
	v_cmp_gt_i16_e32 vcc_lo, 8, v17
	s_cbranch_vccnz .LBB22_297
; %bb.288:
	v_cmp_gt_i16_e32 vcc_lo, 9, v17
	s_cbranch_vccnz .LBB22_294
; %bb.289:
	v_cmp_lt_i16_e32 vcc_lo, 9, v17
	s_cbranch_vccz .LBB22_291
; %bb.290:
	v_mov_b32_e32 v2, 0
	s_mov_b32 s33, 0
	s_delay_alu instid0(VALU_DEP_1)
	v_mov_b32_e32 v3, v2
	global_store_b128 v[6:7], v[0:3], off
.LBB22_291:
	s_and_not1_b32 vcc_lo, exec_lo, s33
	s_cbranch_vccnz .LBB22_293
; %bb.292:
	v_mov_b32_e32 v5, 0
	global_store_b64 v[6:7], v[4:5], off
.LBB22_293:
	s_mov_b32 s33, 0
.LBB22_294:
	s_delay_alu instid0(SALU_CYCLE_1)
	s_and_not1_b32 vcc_lo, exec_lo, s33
	s_cbranch_vccnz .LBB22_296
; %bb.295:
	global_store_b32 v[6:7], v9, off
.LBB22_296:
	s_mov_b32 s33, 0
.LBB22_297:
	s_delay_alu instid0(SALU_CYCLE_1)
	s_and_not1_b32 vcc_lo, exec_lo, s33
	s_cbranch_vccnz .LBB22_306
; %bb.298:
	v_cmp_gt_i16_e32 vcc_lo, 6, v17
	s_mov_b32 s33, -1
	s_cbranch_vccnz .LBB22_304
; %bb.299:
	v_cmp_lt_i16_e32 vcc_lo, 6, v17
	s_cbranch_vccz .LBB22_301
; %bb.300:
	s_mov_b32 s33, 0
	global_store_b64 v[6:7], v[0:1], off
.LBB22_301:
	s_and_not1_b32 vcc_lo, exec_lo, s33
	s_cbranch_vccnz .LBB22_303
; %bb.302:
	global_store_b32 v[6:7], v4, off
.LBB22_303:
	s_mov_b32 s33, 0
.LBB22_304:
	s_delay_alu instid0(SALU_CYCLE_1)
	s_and_not1_b32 vcc_lo, exec_lo, s33
	s_cbranch_vccnz .LBB22_306
; %bb.305:
	global_store_b16 v[6:7], v8, off
.LBB22_306:
	s_mov_b32 s33, 0
.LBB22_307:
	s_delay_alu instid0(SALU_CYCLE_1)
	s_and_not1_b32 vcc_lo, exec_lo, s33
	s_cbranch_vccnz .LBB22_323
; %bb.308:
	v_cmp_gt_i16_e32 vcc_lo, 2, v17
	s_mov_b32 s33, -1
	s_cbranch_vccnz .LBB22_318
; %bb.309:
	v_cmp_gt_i16_e32 vcc_lo, 3, v17
	s_cbranch_vccnz .LBB22_315
; %bb.310:
	v_cmp_lt_i16_e32 vcc_lo, 3, v17
	s_cbranch_vccz .LBB22_312
; %bb.311:
	v_dual_mov_b32 v2, s2 :: v_dual_mov_b32 v3, s3
	s_mov_b32 s33, 0
	global_store_b64 v[6:7], v[2:3], off
.LBB22_312:
	s_and_not1_b32 vcc_lo, exec_lo, s33
	s_cbranch_vccnz .LBB22_314
; %bb.313:
	v_mov_b32_e32 v2, s7
	global_store_b32 v[6:7], v2, off
.LBB22_314:
	s_mov_b32 s33, 0
.LBB22_315:
	s_delay_alu instid0(SALU_CYCLE_1)
	s_and_not1_b32 vcc_lo, exec_lo, s33
	s_cbranch_vccnz .LBB22_317
; %bb.316:
	v_mov_b32_e32 v2, s7
	global_store_b16 v[6:7], v2, off
.LBB22_317:
	s_mov_b32 s33, 0
.LBB22_318:
	s_delay_alu instid0(SALU_CYCLE_1)
	s_and_not1_b32 vcc_lo, exec_lo, s33
	s_cbranch_vccnz .LBB22_323
; %bb.319:
	v_cmp_lt_i16_e32 vcc_lo, 0, v17
	s_mov_b32 s33, -1
	s_cbranch_vccz .LBB22_321
; %bb.320:
	v_mov_b32_e32 v2, s7
	s_mov_b32 s33, 0
	global_store_b8 v[6:7], v2, off
.LBB22_321:
	s_and_not1_b32 vcc_lo, exec_lo, s33
	s_cbranch_vccnz .LBB22_323
; %bb.322:
	v_mov_b32_e32 v2, s7
	global_store_b8 v[6:7], v2, off
.LBB22_323:
	s_branch .LBB22_221
.LBB22_324:
	s_mov_b32 s35, 0
                                        ; implicit-def: $vgpr15
.LBB22_325:
	s_and_not1_b32 s33, s30, exec_lo
	s_and_b32 s1, s1, exec_lo
	s_delay_alu instid0(SALU_CYCLE_1)
	s_or_b32 s33, s33, s1
	s_or_not1_b32 s1, s35, exec_lo
.LBB22_326:
	s_or_b32 exec_lo, exec_lo, s34
	s_mov_b32 s35, 0
	s_mov_b32 s37, 0
                                        ; implicit-def: $vgpr17
                                        ; implicit-def: $vgpr6_vgpr7
	s_and_saveexec_b32 s34, s1
	s_cbranch_execz .LBB22_790
; %bb.327:
	s_mov_b32 s38, -1
	s_mov_b32 s36, s33
	s_mov_b32 s35, exec_lo
	v_cmpx_gt_i32_e64 s29, v15
	s_cbranch_execz .LBB22_558
; %bb.328:
	v_mul_lo_u32 v2, v15, s6
	v_and_b32_e64 v17, 0xff, s9
	s_delay_alu instid0(VALU_DEP_1) | instskip(NEXT) | instid1(VALU_DEP_3)
	v_cmp_gt_i16_e32 vcc_lo, 11, v17
	v_ashrrev_i32_e32 v3, 31, v2
	v_add_co_u32 v6, s1, s4, v2
	s_delay_alu instid0(VALU_DEP_1)
	v_add_co_ci_u32_e64 v7, s1, s5, v3, s1
	s_cbranch_vccnz .LBB22_335
; %bb.329:
	v_cmp_lt_i16_e32 vcc_lo, 25, v17
	s_cbranch_vccz .LBB22_336
; %bb.330:
	v_cmp_lt_i16_e32 vcc_lo, 28, v17
	s_cbranch_vccz .LBB22_337
	;; [unrolled: 3-line block ×4, first 2 shown]
; %bb.333:
	v_cmp_eq_u16_e32 vcc_lo, 46, v17
	s_mov_b32 s1, -1
	s_mov_b32 s36, 0
	s_cbranch_vccz .LBB22_470
; %bb.334:
	s_mov_b32 s36, -1
	s_mov_b32 s1, 0
	global_store_b32 v[6:7], v11, off
	s_branch .LBB22_470
.LBB22_335:
	s_mov_b32 s37, -1
	s_mov_b32 s36, 0
	s_mov_b32 s1, s33
	s_branch .LBB22_515
.LBB22_336:
	s_mov_b32 s37, -1
	s_mov_b32 s36, 0
	s_mov_b32 s1, s33
	s_branch .LBB22_492
.LBB22_337:
	s_mov_b32 s37, -1
	s_mov_b32 s36, 0
	s_mov_b32 s1, s33
	s_branch .LBB22_478
.LBB22_338:
	s_mov_b32 s37, -1
	s_mov_b32 s36, 0
	s_mov_b32 s1, s33
	s_branch .LBB22_474
.LBB22_339:
	s_mov_b32 s9, -1
	s_mov_b32 s8, 0
                                        ; implicit-def: $sgpr10
.LBB22_340:
	v_mov_b32_e32 v4, s10
	s_and_not1_b32 vcc_lo, exec_lo, s9
                                        ; implicit-def: $sgpr9
	s_cbranch_vccnz .LBB22_342
; %bb.341:
	v_add_f32_e64 v4, 0x42800000, |s3|
	s_mov_b32 s9, 0
	s_delay_alu instid0(VALU_DEP_1) | instskip(NEXT) | instid1(VALU_DEP_1)
	v_and_b32_e32 v4, 0xff, v4
	v_cmp_ne_u32_e64 s8, 0, v4
.LBB22_342:
	v_mov_b32_e32 v5, s9
	s_delay_alu instid0(VALU_DEP_2)
	s_and_not1_b32 vcc_lo, exec_lo, s8
	s_cbranch_vccnz .LBB22_344
; %bb.343:
	s_lshr_b32 s3, s3, 24
	s_delay_alu instid0(SALU_CYCLE_1) | instskip(NEXT) | instid1(SALU_CYCLE_1)
	s_and_b32 s3, s3, 0x80
	v_or_b32_e32 v5, s3, v4
.LBB22_344:
	s_mov_b32 s3, 0
	global_store_b8 v[0:1], v5, off
.LBB22_345:
	s_and_b32 vcc_lo, exec_lo, s3
	s_cbranch_vccz .LBB22_357
; %bb.346:
	v_cvt_f32_i32_e32 v4, s7
	s_delay_alu instid0(VALU_DEP_1) | instskip(NEXT) | instid1(VALU_DEP_1)
	v_readfirstlane_b32 s3, v4
	s_and_b32 s8, s3, 0x7fffffff
	s_delay_alu instid0(SALU_CYCLE_1)
	s_cmp_lt_u32 s8, 0x43f00000
	s_cbranch_scc0 .LBB22_349
; %bb.347:
	s_cmp_gt_u32 s8, 0x3c7fffff
	s_cbranch_scc0 .LBB22_350
; %bb.348:
	s_bfe_u32 s9, s3, 0x10014
	s_delay_alu instid0(SALU_CYCLE_1) | instskip(NEXT) | instid1(SALU_CYCLE_1)
	s_add_i32 s9, s3, s9
	s_add_i32 s9, s9, 0x407ffff
	s_delay_alu instid0(SALU_CYCLE_1)
	s_and_b32 s10, s9, 0xff00000
	s_lshr_b32 s9, s9, 20
	s_cmp_lg_u32 s10, 0x7f00000
	s_cselect_b32 s10, s9, 0x7e
	s_mov_b32 s9, 0
	s_branch .LBB22_351
.LBB22_349:
	s_mov_b32 s9, -1
                                        ; implicit-def: $vgpr5
	s_branch .LBB22_354
.LBB22_350:
	s_mov_b32 s9, -1
                                        ; implicit-def: $sgpr10
.LBB22_351:
	v_mov_b32_e32 v5, s10
	s_and_not1_b32 vcc_lo, exec_lo, s9
	s_cbranch_vccnz .LBB22_353
; %bb.352:
	v_add_f32_e64 v5, 0x46800000, |v4|
.LBB22_353:
	s_mov_b32 s9, 0
.LBB22_354:
	s_delay_alu instid0(SALU_CYCLE_1)
	s_and_not1_b32 vcc_lo, exec_lo, s9
	s_cbranch_vccnz .LBB22_356
; %bb.355:
	s_cmp_gt_u32 s8, 0x7f800000
	s_movk_i32 s8, 0x7f
	s_delay_alu instid0(SALU_CYCLE_1) | instskip(NEXT) | instid1(SALU_CYCLE_1)
	s_cselect_b32 s8, s8, 0x7e
	v_mov_b32_e32 v5, s8
.LBB22_356:
	s_lshr_b32 s3, s3, 24
	s_delay_alu instid0(SALU_CYCLE_1)
	s_and_b32 s3, s3, 0x80
	s_delay_alu instid0(VALU_DEP_1) | instid1(SALU_CYCLE_1)
	v_or_b32_e32 v4, s3, v5
	global_store_b8 v[0:1], v4, off
.LBB22_357:
	s_mov_b32 s3, 0
.LBB22_358:
	s_delay_alu instid0(SALU_CYCLE_1)
	s_and_not1_b32 vcc_lo, exec_lo, s3
	s_cbranch_vccnz .LBB22_370
; %bb.359:
	v_cvt_f32_i32_e32 v4, s7
	s_delay_alu instid0(VALU_DEP_1) | instskip(NEXT) | instid1(VALU_DEP_1)
	v_readfirstlane_b32 s3, v4
	s_and_b32 s8, s3, 0x7fffffff
	s_delay_alu instid0(SALU_CYCLE_1)
	s_cmp_lt_u32 s8, 0x47800000
	s_cbranch_scc0 .LBB22_362
; %bb.360:
	s_cmp_gt_u32 s8, 0x387fffff
	s_cbranch_scc0 .LBB22_363
; %bb.361:
	s_bfe_u32 s9, s3, 0x10015
	s_delay_alu instid0(SALU_CYCLE_1) | instskip(NEXT) | instid1(SALU_CYCLE_1)
	s_add_i32 s9, s3, s9
	s_add_i32 s9, s9, 0x80fffff
	s_delay_alu instid0(SALU_CYCLE_1)
	s_lshr_b32 s10, s9, 21
	s_mov_b32 s9, 0
	s_branch .LBB22_364
.LBB22_362:
	s_mov_b32 s9, -1
                                        ; implicit-def: $vgpr5
	s_branch .LBB22_367
.LBB22_363:
	s_mov_b32 s9, -1
                                        ; implicit-def: $sgpr10
.LBB22_364:
	v_mov_b32_e32 v5, s10
	s_and_not1_b32 vcc_lo, exec_lo, s9
	s_cbranch_vccnz .LBB22_366
; %bb.365:
	v_add_f32_e64 v5, 0x43000000, |v4|
.LBB22_366:
	s_mov_b32 s9, 0
.LBB22_367:
	s_delay_alu instid0(SALU_CYCLE_1)
	s_and_not1_b32 vcc_lo, exec_lo, s9
	s_cbranch_vccnz .LBB22_369
; %bb.368:
	s_cmp_gt_u32 s8, 0x7f800000
	s_movk_i32 s8, 0x7f
	s_delay_alu instid0(SALU_CYCLE_1) | instskip(NEXT) | instid1(SALU_CYCLE_1)
	s_cselect_b32 s8, s8, 0x7c
	v_mov_b32_e32 v5, s8
.LBB22_369:
	s_lshr_b32 s3, s3, 24
	s_delay_alu instid0(SALU_CYCLE_1)
	s_and_b32 s3, s3, 0x80
	s_delay_alu instid0(VALU_DEP_1) | instid1(SALU_CYCLE_1)
	v_or_b32_e32 v4, s3, v5
	global_store_b8 v[0:1], v4, off
.LBB22_370:
	s_mov_b32 s3, 0
	s_mov_b32 s9, -1
.LBB22_371:
	s_and_not1_b32 vcc_lo, exec_lo, s3
	s_mov_b32 s8, 0
	s_cbranch_vccnz .LBB22_378
; %bb.372:
	v_cmp_lt_i16_e32 vcc_lo, 14, v2
	s_mov_b32 s3, -1
	s_cbranch_vccz .LBB22_376
; %bb.373:
	v_cmp_eq_u16_e32 vcc_lo, 15, v2
	s_mov_b32 s0, -1
	s_cbranch_vccz .LBB22_375
; %bb.374:
	v_cvt_f32_i32_e32 v4, s7
	s_mov_b32 s0, 0
	s_mov_b32 s9, -1
	s_delay_alu instid0(VALU_DEP_1) | instskip(NEXT) | instid1(VALU_DEP_1)
	v_bfe_u32 v5, v4, 16, 1
	v_add_nc_u32_e32 v4, v4, v5
	s_delay_alu instid0(VALU_DEP_1)
	v_add_nc_u32_e32 v4, 0x7fff, v4
	global_store_d16_hi_b16 v[0:1], v4, off
.LBB22_375:
	s_mov_b32 s3, 0
.LBB22_376:
	s_delay_alu instid0(SALU_CYCLE_1)
	s_and_b32 vcc_lo, exec_lo, s3
	s_cbranch_vccz .LBB22_378
; %bb.377:
	v_cmp_ne_u16_e64 s0, 11, v2
	s_mov_b32 s8, -1
.LBB22_378:
	s_delay_alu instid0(VALU_DEP_1)
	s_and_b32 vcc_lo, exec_lo, s0
	s_mov_b32 s3, s1
	s_cbranch_vccnz .LBB22_450
; %bb.379:
	s_and_not1_b32 vcc_lo, exec_lo, s8
	s_cbranch_vccnz .LBB22_381
.LBB22_380:
	s_cmp_lg_u32 s7, 0
	s_mov_b32 s9, -1
	s_cselect_b32 s0, -1, 0
	s_delay_alu instid0(SALU_CYCLE_1)
	v_cndmask_b32_e64 v4, 0, 1, s0
	global_store_b8 v[0:1], v4, off
.LBB22_381:
.LBB22_382:
	s_and_not1_b32 vcc_lo, exec_lo, s9
	s_cbranch_vccnz .LBB22_683
.LBB22_383:
	s_lshl_b32 s6, s6, 7
	v_cmp_gt_i16_e32 vcc_lo, 11, v2
	v_add_nc_u32_e32 v3, s6, v3
	s_delay_alu instid0(VALU_DEP_1) | instskip(SKIP_1) | instid1(VALU_DEP_1)
	v_ashrrev_i32_e32 v1, 31, v3
	v_add_co_u32 v0, s0, s4, v3
	v_add_co_ci_u32_e64 v1, s0, s5, v1, s0
	s_cbranch_vccnz .LBB22_411
; %bb.384:
	v_cmp_lt_i16_e32 vcc_lo, 25, v2
	s_mov_b32 s10, -1
	s_mov_b32 s8, 0
	s_mov_b32 s9, 0
	s_mov_b32 s0, 0
	s_cbranch_vccz .LBB22_462
; %bb.385:
	v_cmp_lt_i16_e32 vcc_lo, 28, v2
	s_cbranch_vccz .LBB22_400
; %bb.386:
	v_cmp_lt_i16_e32 vcc_lo, 43, v2
	;; [unrolled: 3-line block ×3, first 2 shown]
	s_cbranch_vccz .LBB22_390
; %bb.388:
	v_cmp_eq_u16_e32 vcc_lo, 46, v2
	s_mov_b32 s0, -1
	s_mov_b32 s10, 0
	s_cbranch_vccz .LBB22_390
; %bb.389:
	v_cvt_f32_i32_e32 v4, s7
	s_mov_b32 s0, 0
	s_mov_b32 s9, -1
	s_delay_alu instid0(VALU_DEP_1) | instskip(NEXT) | instid1(VALU_DEP_1)
	v_bfe_u32 v5, v4, 16, 1
	v_add_nc_u32_e32 v4, v4, v5
	s_delay_alu instid0(VALU_DEP_1) | instskip(NEXT) | instid1(VALU_DEP_1)
	v_add_nc_u32_e32 v4, 0x7fff, v4
	v_lshrrev_b32_e32 v4, 16, v4
	global_store_b32 v[0:1], v4, off
.LBB22_390:
	s_and_b32 vcc_lo, exec_lo, s10
	s_cbranch_vccz .LBB22_395
; %bb.391:
	v_cmp_eq_u16_e32 vcc_lo, 44, v2
	s_mov_b32 s0, -1
	s_cbranch_vccz .LBB22_395
; %bb.392:
	v_cvt_f32_i32_e32 v4, s7
	v_mov_b32_e32 v5, 0xff
	s_delay_alu instid0(VALU_DEP_2) | instskip(NEXT) | instid1(VALU_DEP_1)
	v_readfirstlane_b32 s0, v4
	s_bfe_u32 s9, s0, 0x80017
	s_delay_alu instid0(SALU_CYCLE_1)
	s_cmpk_eq_i32 s9, 0xff
	s_cbranch_scc1 .LBB22_394
; %bb.393:
	s_bitcmp1_b32 s0, 22
	v_lshrrev_b32_e32 v4, 23, v4
	s_cselect_b32 s10, -1, 0
	s_and_b32 s0, s0, 0x3fffff
	s_delay_alu instid0(SALU_CYCLE_1) | instskip(NEXT) | instid1(SALU_CYCLE_1)
	s_or_b32 s0, s9, s0
	s_cmp_lg_u32 s0, 0
	s_cselect_b32 s0, -1, 0
	s_delay_alu instid0(SALU_CYCLE_1) | instskip(NEXT) | instid1(SALU_CYCLE_1)
	s_and_b32 s0, s10, s0
	v_cndmask_b32_e64 v5, 0, 1, s0
	s_delay_alu instid0(VALU_DEP_1)
	v_add_nc_u32_e32 v5, v4, v5
.LBB22_394:
	s_mov_b32 s0, 0
	s_mov_b32 s9, -1
	global_store_b8 v[0:1], v5, off
.LBB22_395:
	s_mov_b32 s10, 0
.LBB22_396:
	s_delay_alu instid0(SALU_CYCLE_1)
	s_and_b32 vcc_lo, exec_lo, s10
	s_cbranch_vccz .LBB22_399
; %bb.397:
	v_cmp_eq_u16_e32 vcc_lo, 29, v2
	s_mov_b32 s0, -1
	s_cbranch_vccz .LBB22_399
; %bb.398:
	s_ashr_i32 s0, s7, 31
	s_delay_alu instid0(SALU_CYCLE_1)
	v_dual_mov_b32 v4, s7 :: v_dual_mov_b32 v5, s0
	s_mov_b32 s0, 0
	s_mov_b32 s9, -1
	global_store_b64 v[0:1], v[4:5], off
.LBB22_399:
	s_mov_b32 s10, 0
.LBB22_400:
	s_delay_alu instid0(SALU_CYCLE_1)
	s_and_b32 vcc_lo, exec_lo, s10
	s_cbranch_vccz .LBB22_461
; %bb.401:
	v_cmp_gt_i16_e32 vcc_lo, 27, v2
	s_mov_b32 s9, -1
	s_cbranch_vccnz .LBB22_407
; %bb.402:
	v_cmp_lt_i16_e32 vcc_lo, 27, v2
	s_cbranch_vccz .LBB22_404
; %bb.403:
	v_mov_b32_e32 v4, s7
	s_mov_b32 s9, 0
	global_store_b32 v[0:1], v4, off
.LBB22_404:
	s_and_not1_b32 vcc_lo, exec_lo, s9
	s_cbranch_vccnz .LBB22_406
; %bb.405:
	v_mov_b32_e32 v4, s7
	global_store_b16 v[0:1], v4, off
.LBB22_406:
	s_mov_b32 s9, 0
.LBB22_407:
	s_delay_alu instid0(SALU_CYCLE_1)
	s_and_not1_b32 vcc_lo, exec_lo, s9
	s_cbranch_vccnz .LBB22_460
; %bb.408:
	v_cvt_f32_i32_e32 v4, s7
	v_mov_b32_e32 v5, 0x80
	s_delay_alu instid0(VALU_DEP_2) | instskip(NEXT) | instid1(VALU_DEP_1)
	v_readfirstlane_b32 s9, v4
	s_and_b32 s10, s9, 0x7fffffff
	s_delay_alu instid0(SALU_CYCLE_1)
	s_cmp_gt_u32 s10, 0x437fffff
	s_cbranch_scc1 .LBB22_459
; %bb.409:
	s_cmp_gt_u32 s10, 0x3bffffff
	s_cbranch_scc0 .LBB22_454
; %bb.410:
	s_bfe_u32 s10, s9, 0x10014
	s_mov_b32 s11, 0
	s_add_i32 s10, s9, s10
	s_delay_alu instid0(SALU_CYCLE_1) | instskip(NEXT) | instid1(SALU_CYCLE_1)
	s_add_i32 s10, s10, 0x487ffff
	s_lshr_b32 s12, s10, 20
	s_mov_b32 s10, -1
	s_branch .LBB22_455
.LBB22_411:
	s_mov_b32 s9, 0
	s_cbranch_execz .LBB22_615
; %bb.412:
	v_cmp_gt_i16_e32 vcc_lo, 5, v2
	s_mov_b32 s0, -1
	s_cbranch_vccnz .LBB22_433
; %bb.413:
	v_cmp_gt_i16_e32 vcc_lo, 8, v2
	s_cbranch_vccnz .LBB22_423
; %bb.414:
	v_cmp_gt_i16_e32 vcc_lo, 9, v2
	s_cbranch_vccnz .LBB22_420
; %bb.415:
	v_cmp_lt_i16_e32 vcc_lo, 9, v2
	s_cbranch_vccz .LBB22_417
; %bb.416:
	v_cvt_f64_i32_e32 v[4:5], s7
	v_mov_b32_e32 v6, 0
	s_mov_b32 s0, 0
	s_delay_alu instid0(VALU_DEP_1)
	v_mov_b32_e32 v7, v6
	global_store_b128 v[0:1], v[4:7], off
.LBB22_417:
	s_and_not1_b32 vcc_lo, exec_lo, s0
	s_cbranch_vccnz .LBB22_419
; %bb.418:
	v_cvt_f32_i32_e32 v4, s7
	v_mov_b32_e32 v5, 0
	global_store_b64 v[0:1], v[4:5], off
.LBB22_419:
	s_mov_b32 s0, 0
.LBB22_420:
	s_delay_alu instid0(SALU_CYCLE_1)
	s_and_not1_b32 vcc_lo, exec_lo, s0
	s_cbranch_vccnz .LBB22_422
; %bb.421:
	v_cvt_f32_i32_e32 v4, s7
	s_delay_alu instid0(VALU_DEP_1) | instskip(NEXT) | instid1(VALU_DEP_1)
	v_cvt_f16_f32_e32 v4, v4
	v_and_b32_e32 v4, 0xffff, v4
	global_store_b32 v[0:1], v4, off
.LBB22_422:
	s_mov_b32 s0, 0
.LBB22_423:
	s_delay_alu instid0(SALU_CYCLE_1)
	s_and_not1_b32 vcc_lo, exec_lo, s0
	s_cbranch_vccnz .LBB22_432
; %bb.424:
	v_cmp_gt_i16_e32 vcc_lo, 6, v2
	s_mov_b32 s0, -1
	s_cbranch_vccnz .LBB22_430
; %bb.425:
	v_cmp_lt_i16_e32 vcc_lo, 6, v2
	s_cbranch_vccz .LBB22_427
; %bb.426:
	v_cvt_f64_i32_e32 v[4:5], s7
	s_mov_b32 s0, 0
	global_store_b64 v[0:1], v[4:5], off
.LBB22_427:
	s_and_not1_b32 vcc_lo, exec_lo, s0
	s_cbranch_vccnz .LBB22_429
; %bb.428:
	v_cvt_f32_i32_e32 v4, s7
	global_store_b32 v[0:1], v4, off
.LBB22_429:
	s_mov_b32 s0, 0
.LBB22_430:
	s_delay_alu instid0(SALU_CYCLE_1)
	s_and_not1_b32 vcc_lo, exec_lo, s0
	s_cbranch_vccnz .LBB22_432
; %bb.431:
	v_cvt_f32_i32_e32 v4, s7
	s_delay_alu instid0(VALU_DEP_1)
	v_cvt_f16_f32_e32 v4, v4
	global_store_b16 v[0:1], v4, off
.LBB22_432:
	s_mov_b32 s0, 0
.LBB22_433:
	s_delay_alu instid0(SALU_CYCLE_1)
	s_and_not1_b32 vcc_lo, exec_lo, s0
	s_cbranch_vccnz .LBB22_449
; %bb.434:
	v_cmp_gt_i16_e32 vcc_lo, 2, v2
	s_mov_b32 s0, -1
	s_cbranch_vccnz .LBB22_444
; %bb.435:
	v_cmp_gt_i16_e32 vcc_lo, 3, v2
	s_cbranch_vccnz .LBB22_441
; %bb.436:
	v_cmp_lt_i16_e32 vcc_lo, 3, v2
	s_cbranch_vccz .LBB22_438
; %bb.437:
	s_ashr_i32 s0, s7, 31
	s_delay_alu instid0(SALU_CYCLE_1)
	v_dual_mov_b32 v4, s7 :: v_dual_mov_b32 v5, s0
	s_mov_b32 s0, 0
	global_store_b64 v[0:1], v[4:5], off
.LBB22_438:
	s_and_not1_b32 vcc_lo, exec_lo, s0
	s_cbranch_vccnz .LBB22_440
; %bb.439:
	v_mov_b32_e32 v4, s7
	global_store_b32 v[0:1], v4, off
.LBB22_440:
	s_mov_b32 s0, 0
.LBB22_441:
	s_delay_alu instid0(SALU_CYCLE_1)
	s_and_not1_b32 vcc_lo, exec_lo, s0
	s_cbranch_vccnz .LBB22_443
; %bb.442:
	v_mov_b32_e32 v4, s7
	global_store_b16 v[0:1], v4, off
.LBB22_443:
	s_mov_b32 s0, 0
.LBB22_444:
	s_delay_alu instid0(SALU_CYCLE_1)
	s_and_not1_b32 vcc_lo, exec_lo, s0
	s_cbranch_vccnz .LBB22_449
; %bb.445:
	v_cmp_lt_i16_e32 vcc_lo, 0, v2
	s_mov_b32 s0, -1
	s_cbranch_vccz .LBB22_447
; %bb.446:
	v_mov_b32_e32 v4, s7
	s_mov_b32 s0, 0
	global_store_b8 v[0:1], v4, off
.LBB22_447:
	s_and_not1_b32 vcc_lo, exec_lo, s0
	s_cbranch_vccnz .LBB22_449
; %bb.448:
	v_mov_b32_e32 v4, s7
	global_store_b8 v[0:1], v4, off
.LBB22_449:
	s_branch .LBB22_616
.LBB22_450:
	s_cbranch_execnz .LBB22_452
; %bb.451:
	s_or_b32 s3, s1, exec_lo
	s_cbranch_execz .LBB22_380
	s_branch .LBB22_381
.LBB22_452:
	s_trap 2
	s_sendmsg_rtn_b32 s0, sendmsg(MSG_RTN_GET_DOORBELL)
	s_mov_b32 ttmp2, m0
	s_waitcnt lgkmcnt(0)
	s_and_b32 s0, s0, 0x3ff
	s_delay_alu instid0(SALU_CYCLE_1) | instskip(NEXT) | instid1(SALU_CYCLE_1)
	s_bitset1_b32 s0, 10
	s_mov_b32 m0, s0
	s_sendmsg sendmsg(MSG_INTERRUPT)
	s_mov_b32 m0, ttmp2
.LBB22_453:                             ; =>This Inner Loop Header: Depth=1
	s_sethalt 5
	s_branch .LBB22_453
.LBB22_454:
	s_mov_b32 s11, -1
	s_mov_b32 s10, 0
                                        ; implicit-def: $sgpr12
.LBB22_455:
	v_mov_b32_e32 v4, s12
	s_and_not1_b32 vcc_lo, exec_lo, s11
                                        ; implicit-def: $sgpr11
	s_cbranch_vccnz .LBB22_457
; %bb.456:
	v_add_f32_e64 v4, 0x46000000, |s9|
	s_mov_b32 s11, 0
	s_delay_alu instid0(VALU_DEP_1) | instskip(NEXT) | instid1(VALU_DEP_1)
	v_and_b32_e32 v4, 0xff, v4
	v_cmp_ne_u32_e64 s10, 0, v4
.LBB22_457:
	v_mov_b32_e32 v5, s11
	s_delay_alu instid0(VALU_DEP_2)
	s_and_not1_b32 vcc_lo, exec_lo, s10
	s_cbranch_vccnz .LBB22_459
; %bb.458:
	s_lshr_b32 s9, s9, 24
	s_delay_alu instid0(SALU_CYCLE_1) | instskip(NEXT) | instid1(SALU_CYCLE_1)
	s_and_b32 s9, s9, 0x80
	v_or_b32_e32 v5, s9, v4
.LBB22_459:
	global_store_b8 v[0:1], v5, off
.LBB22_460:
	s_mov_b32 s9, -1
.LBB22_461:
	s_mov_b32 s10, 0
.LBB22_462:
	s_delay_alu instid0(SALU_CYCLE_1)
	s_and_b32 vcc_lo, exec_lo, s10
	s_cbranch_vccz .LBB22_611
; %bb.463:
	v_cmp_lt_i16_e32 vcc_lo, 22, v2
	s_mov_b32 s8, -1
	s_cbranch_vccz .LBB22_604
; %bb.464:
	v_cmp_gt_i16_e32 vcc_lo, 24, v2
	s_cbranch_vccnz .LBB22_591
; %bb.465:
	v_cmp_lt_i16_e32 vcc_lo, 24, v2
	s_cbranch_vccz .LBB22_578
; %bb.466:
	v_cvt_f32_i32_e32 v4, s7
	v_mov_b32_e32 v5, 0x80
	s_delay_alu instid0(VALU_DEP_2) | instskip(NEXT) | instid1(VALU_DEP_1)
	v_readfirstlane_b32 s8, v4
	s_and_b32 s9, s8, 0x7fffffff
	s_delay_alu instid0(SALU_CYCLE_1)
	s_cmp_gt_u32 s9, 0x477fffff
	s_cbranch_scc1 .LBB22_577
; %bb.467:
	s_cmp_gt_u32 s9, 0x37ffffff
	s_cbranch_scc0 .LBB22_572
; %bb.468:
	s_bfe_u32 s9, s8, 0x10015
	s_mov_b32 s10, 0
	s_add_i32 s9, s8, s9
	s_delay_alu instid0(SALU_CYCLE_1) | instskip(NEXT) | instid1(SALU_CYCLE_1)
	s_add_i32 s9, s9, 0x88fffff
	s_lshr_b32 s11, s9, 21
	s_mov_b32 s9, -1
	s_branch .LBB22_573
.LBB22_469:
	s_mov_b32 s37, -1
	s_mov_b32 s36, 0
	s_mov_b32 s1, s33
.LBB22_470:
	s_and_b32 vcc_lo, exec_lo, s37
	s_cbranch_vccz .LBB22_473
; %bb.471:
	v_cmp_eq_u16_e32 vcc_lo, 44, v17
	s_mov_b32 s1, -1
	s_cbranch_vccz .LBB22_473
; %bb.472:
	v_cndmask_b32_e64 v2, v16, 0xff, s0
	s_mov_b32 s36, -1
	s_mov_b32 s1, 0
	global_store_b8 v[6:7], v2, off
.LBB22_473:
	s_mov_b32 s37, 0
.LBB22_474:
	s_delay_alu instid0(SALU_CYCLE_1)
	s_and_b32 vcc_lo, exec_lo, s37
	s_cbranch_vccz .LBB22_477
; %bb.475:
	v_cmp_eq_u16_e32 vcc_lo, 29, v17
	s_mov_b32 s1, -1
	s_cbranch_vccz .LBB22_477
; %bb.476:
	v_dual_mov_b32 v2, s2 :: v_dual_mov_b32 v3, s3
	s_mov_b32 s36, -1
	s_mov_b32 s1, 0
	s_mov_b32 s37, 0
	global_store_b64 v[6:7], v[2:3], off
	s_branch .LBB22_478
.LBB22_477:
	s_mov_b32 s37, 0
.LBB22_478:
	s_delay_alu instid0(SALU_CYCLE_1)
	s_and_b32 vcc_lo, exec_lo, s37
	s_cbranch_vccz .LBB22_491
; %bb.479:
	v_cmp_gt_i16_e32 vcc_lo, 27, v17
	s_mov_b32 s36, -1
	s_cbranch_vccnz .LBB22_485
; %bb.480:
	v_cmp_lt_i16_e32 vcc_lo, 27, v17
	s_cbranch_vccz .LBB22_482
; %bb.481:
	v_mov_b32_e32 v2, s7
	s_mov_b32 s36, 0
	global_store_b32 v[6:7], v2, off
.LBB22_482:
	s_and_not1_b32 vcc_lo, exec_lo, s36
	s_cbranch_vccnz .LBB22_484
; %bb.483:
	v_mov_b32_e32 v2, s7
	global_store_b16 v[6:7], v2, off
.LBB22_484:
	s_mov_b32 s36, 0
.LBB22_485:
	s_delay_alu instid0(SALU_CYCLE_1)
	s_and_not1_b32 vcc_lo, exec_lo, s36
	s_cbranch_vccnz .LBB22_490
; %bb.486:
	v_mov_b32_e32 v2, 0x80
	s_and_not1_b32 vcc_lo, exec_lo, s26
	s_cbranch_vccnz .LBB22_489
; %bb.487:
	v_mov_b32_e32 v2, 0
	s_or_b32 s36, s21, s28
	s_delay_alu instid0(SALU_CYCLE_1)
	s_and_not1_b32 vcc_lo, exec_lo, s36
	s_cbranch_vccnz .LBB22_489
; %bb.488:
	v_cndmask_b32_e64 v2, v14, s25, s21
	s_delay_alu instid0(VALU_DEP_1)
	v_or_b32_e32 v2, v2, v12
.LBB22_489:
	global_store_b8 v[6:7], v2, off
.LBB22_490:
	s_mov_b32 s36, -1
.LBB22_491:
	s_mov_b32 s37, 0
.LBB22_492:
	s_delay_alu instid0(SALU_CYCLE_1)
	s_and_b32 vcc_lo, exec_lo, s37
	s_cbranch_vccz .LBB22_514
; %bb.493:
	v_cmp_lt_i16_e32 vcc_lo, 22, v17
	s_mov_b32 s37, -1
	s_cbranch_vccz .LBB22_506
; %bb.494:
	v_cmp_gt_i16_e32 vcc_lo, 24, v17
	s_mov_b32 s36, -1
	s_cbranch_vccnz .LBB22_503
; %bb.495:
	v_cmp_lt_i16_e32 vcc_lo, 24, v17
	s_cbranch_vccz .LBB22_500
; %bb.496:
	v_mov_b32_e32 v2, 0x80
	s_and_not1_b32 vcc_lo, exec_lo, s24
	s_cbranch_vccnz .LBB22_499
; %bb.497:
	v_mov_b32_e32 v2, 0
	s_or_b32 s36, s18, s27
	s_delay_alu instid0(SALU_CYCLE_1)
	s_and_not1_b32 vcc_lo, exec_lo, s36
	s_cbranch_vccnz .LBB22_499
; %bb.498:
	v_cndmask_b32_e64 v2, v13, s20, s18
	s_delay_alu instid0(VALU_DEP_1)
	v_or_b32_e32 v2, v2, v12
.LBB22_499:
	s_mov_b32 s36, 0
	global_store_b8 v[6:7], v2, off
.LBB22_500:
	s_and_b32 vcc_lo, exec_lo, s36
	s_cbranch_vccz .LBB22_502
; %bb.501:
	s_and_b32 s36, s17, exec_lo
	s_cselect_b32 s36, s23, s19
	s_and_b32 s37, s14, exec_lo
	s_cselect_b32 s36, s22, s36
	s_delay_alu instid0(SALU_CYCLE_1)
	v_or_b32_e32 v2, s36, v12
	global_store_b8 v[6:7], v2, off
.LBB22_502:
	s_mov_b32 s36, 0
.LBB22_503:
	s_delay_alu instid0(SALU_CYCLE_1)
	s_and_not1_b32 vcc_lo, exec_lo, s36
	s_cbranch_vccnz .LBB22_505
; %bb.504:
	s_and_b32 s36, s12, exec_lo
	s_cselect_b32 s36, s16, s13
	s_and_b32 s37, s11, exec_lo
	s_cselect_b32 s36, s15, s36
	s_delay_alu instid0(SALU_CYCLE_1)
	v_or_b32_e32 v2, s36, v12
	global_store_b8 v[6:7], v2, off
.LBB22_505:
	s_mov_b32 s37, 0
	s_mov_b32 s36, -1
.LBB22_506:
	s_and_not1_b32 vcc_lo, exec_lo, s37
	s_cbranch_vccnz .LBB22_514
; %bb.507:
	v_cmp_lt_i16_e32 vcc_lo, 14, v17
	s_mov_b32 s37, -1
	s_cbranch_vccz .LBB22_511
; %bb.508:
	v_cmp_eq_u16_e32 vcc_lo, 15, v17
	s_mov_b32 s1, -1
	s_cbranch_vccz .LBB22_510
; %bb.509:
	s_mov_b32 s36, -1
	s_mov_b32 s1, 0
	global_store_b16 v[6:7], v11, off
.LBB22_510:
	s_mov_b32 s37, 0
.LBB22_511:
	s_delay_alu instid0(SALU_CYCLE_1)
	s_and_b32 vcc_lo, exec_lo, s37
	s_cbranch_vccz .LBB22_514
; %bb.512:
	v_cmp_eq_u16_e32 vcc_lo, 11, v17
	s_mov_b32 s1, -1
	s_cbranch_vccz .LBB22_514
; %bb.513:
	s_mov_b32 s36, -1
	s_mov_b32 s1, 0
	global_store_b8 v[6:7], v10, off
.LBB22_514:
	s_mov_b32 s37, 0
.LBB22_515:
	s_delay_alu instid0(SALU_CYCLE_1)
	s_and_b32 vcc_lo, exec_lo, s37
	s_cbranch_vccz .LBB22_554
; %bb.516:
	v_cmp_gt_i16_e32 vcc_lo, 5, v17
	s_mov_b32 s36, -1
	s_cbranch_vccnz .LBB22_537
; %bb.517:
	v_cmp_gt_i16_e32 vcc_lo, 8, v17
	s_cbranch_vccnz .LBB22_527
; %bb.518:
	v_cmp_gt_i16_e32 vcc_lo, 9, v17
	s_cbranch_vccnz .LBB22_524
; %bb.519:
	v_cmp_lt_i16_e32 vcc_lo, 9, v17
	s_cbranch_vccz .LBB22_521
; %bb.520:
	v_mov_b32_e32 v2, 0
	s_mov_b32 s36, 0
	s_delay_alu instid0(VALU_DEP_1)
	v_mov_b32_e32 v3, v2
	global_store_b128 v[6:7], v[0:3], off
.LBB22_521:
	s_and_not1_b32 vcc_lo, exec_lo, s36
	s_cbranch_vccnz .LBB22_523
; %bb.522:
	v_mov_b32_e32 v5, 0
	global_store_b64 v[6:7], v[4:5], off
.LBB22_523:
	s_mov_b32 s36, 0
.LBB22_524:
	s_delay_alu instid0(SALU_CYCLE_1)
	s_and_not1_b32 vcc_lo, exec_lo, s36
	s_cbranch_vccnz .LBB22_526
; %bb.525:
	global_store_b32 v[6:7], v9, off
.LBB22_526:
	s_mov_b32 s36, 0
.LBB22_527:
	s_delay_alu instid0(SALU_CYCLE_1)
	s_and_not1_b32 vcc_lo, exec_lo, s36
	s_cbranch_vccnz .LBB22_536
; %bb.528:
	v_cmp_gt_i16_e32 vcc_lo, 6, v17
	s_mov_b32 s36, -1
	s_cbranch_vccnz .LBB22_534
; %bb.529:
	v_cmp_lt_i16_e32 vcc_lo, 6, v17
	s_cbranch_vccz .LBB22_531
; %bb.530:
	s_mov_b32 s36, 0
	global_store_b64 v[6:7], v[0:1], off
.LBB22_531:
	s_and_not1_b32 vcc_lo, exec_lo, s36
	s_cbranch_vccnz .LBB22_533
; %bb.532:
	global_store_b32 v[6:7], v4, off
.LBB22_533:
	s_mov_b32 s36, 0
.LBB22_534:
	s_delay_alu instid0(SALU_CYCLE_1)
	s_and_not1_b32 vcc_lo, exec_lo, s36
	s_cbranch_vccnz .LBB22_536
; %bb.535:
	global_store_b16 v[6:7], v8, off
.LBB22_536:
	s_mov_b32 s36, 0
.LBB22_537:
	s_delay_alu instid0(SALU_CYCLE_1)
	s_and_not1_b32 vcc_lo, exec_lo, s36
	s_cbranch_vccnz .LBB22_553
; %bb.538:
	v_cmp_gt_i16_e32 vcc_lo, 2, v17
	s_mov_b32 s36, -1
	s_cbranch_vccnz .LBB22_548
; %bb.539:
	v_cmp_gt_i16_e32 vcc_lo, 3, v17
	s_cbranch_vccnz .LBB22_545
; %bb.540:
	v_cmp_lt_i16_e32 vcc_lo, 3, v17
	s_cbranch_vccz .LBB22_542
; %bb.541:
	v_dual_mov_b32 v2, s2 :: v_dual_mov_b32 v3, s3
	s_mov_b32 s36, 0
	global_store_b64 v[6:7], v[2:3], off
.LBB22_542:
	s_and_not1_b32 vcc_lo, exec_lo, s36
	s_cbranch_vccnz .LBB22_544
; %bb.543:
	v_mov_b32_e32 v2, s7
	global_store_b32 v[6:7], v2, off
.LBB22_544:
	s_mov_b32 s36, 0
.LBB22_545:
	s_delay_alu instid0(SALU_CYCLE_1)
	s_and_not1_b32 vcc_lo, exec_lo, s36
	s_cbranch_vccnz .LBB22_547
; %bb.546:
	v_mov_b32_e32 v2, s7
	global_store_b16 v[6:7], v2, off
.LBB22_547:
	s_mov_b32 s36, 0
.LBB22_548:
	s_delay_alu instid0(SALU_CYCLE_1)
	s_and_not1_b32 vcc_lo, exec_lo, s36
	s_cbranch_vccnz .LBB22_553
; %bb.549:
	v_cmp_lt_i16_e32 vcc_lo, 0, v17
	s_mov_b32 s36, -1
	s_cbranch_vccz .LBB22_551
; %bb.550:
	v_mov_b32_e32 v2, s7
	s_mov_b32 s36, 0
	global_store_b8 v[6:7], v2, off
.LBB22_551:
	s_and_not1_b32 vcc_lo, exec_lo, s36
	s_cbranch_vccnz .LBB22_553
; %bb.552:
	v_mov_b32_e32 v2, s7
	global_store_b8 v[6:7], v2, off
.LBB22_553:
	s_mov_b32 s36, -1
.LBB22_554:
	s_delay_alu instid0(SALU_CYCLE_1)
	s_and_not1_b32 vcc_lo, exec_lo, s36
	s_cbranch_vccnz .LBB22_556
; %bb.555:
	v_add_nc_u32_e32 v15, 0x80, v15
	s_mov_b32 s37, -1
	s_branch .LBB22_557
.LBB22_556:
	s_mov_b32 s37, 0
                                        ; implicit-def: $vgpr15
.LBB22_557:
	s_and_not1_b32 s36, s33, exec_lo
	s_and_b32 s1, s1, exec_lo
	s_or_not1_b32 s38, s37, exec_lo
	s_or_b32 s36, s36, s1
.LBB22_558:
	s_or_b32 exec_lo, exec_lo, s35
	s_mov_b32 s1, 0
	s_mov_b32 s37, 0
                                        ; implicit-def: $vgpr17
                                        ; implicit-def: $vgpr6_vgpr7
	s_and_saveexec_b32 s35, s38
	s_cbranch_execz .LBB22_789
; %bb.559:
	v_cmp_gt_i32_e32 vcc_lo, s29, v15
	s_mov_b32 s38, s36
                                        ; implicit-def: $vgpr17
                                        ; implicit-def: $vgpr6_vgpr7
	s_and_saveexec_b32 s29, vcc_lo
	s_cbranch_execz .LBB22_788
; %bb.560:
	v_mul_lo_u32 v2, v15, s6
	v_and_b32_e64 v17, 0xff, s9
	s_delay_alu instid0(VALU_DEP_1) | instskip(NEXT) | instid1(VALU_DEP_3)
	v_cmp_gt_i16_e32 vcc_lo, 11, v17
	v_ashrrev_i32_e32 v3, 31, v2
	v_add_co_u32 v6, s1, s4, v2
	s_delay_alu instid0(VALU_DEP_1)
	v_add_co_ci_u32_e64 v7, s1, s5, v3, s1
	s_cbranch_vccnz .LBB22_571
; %bb.561:
	v_cmp_lt_i16_e32 vcc_lo, 25, v17
	s_mov_b32 s37, -1
	s_mov_b32 s1, s36
	s_cbranch_vccz .LBB22_765
; %bb.562:
	v_cmp_lt_i16_e32 vcc_lo, 28, v17
	s_mov_b32 s1, s36
	s_cbranch_vccz .LBB22_752
; %bb.563:
	v_cmp_lt_i16_e32 vcc_lo, 43, v17
	;; [unrolled: 4-line block ×3, first 2 shown]
	s_mov_b32 s1, s36
	s_cbranch_vccz .LBB22_568
; %bb.565:
	v_cmp_eq_u16_e32 vcc_lo, 46, v17
	s_mov_b32 s1, -1
	s_cbranch_vccz .LBB22_567
; %bb.566:
	s_mov_b32 s1, 0
	global_store_b32 v[6:7], v11, off
.LBB22_567:
	s_mov_b32 s37, 0
.LBB22_568:
	s_delay_alu instid0(SALU_CYCLE_1)
	s_and_b32 vcc_lo, exec_lo, s37
	s_cbranch_vccz .LBB22_747
; %bb.569:
	v_cmp_eq_u16_e32 vcc_lo, 44, v17
	s_mov_b32 s1, -1
	s_cbranch_vccz .LBB22_747
; %bb.570:
	v_cndmask_b32_e64 v2, v16, 0xff, s0
	s_mov_b32 s1, 0
	s_mov_b32 s37, 0
	global_store_b8 v[6:7], v2, off
	s_branch .LBB22_748
.LBB22_571:
	s_mov_b32 s11, 0
	s_mov_b32 s0, -1
	s_mov_b32 s1, s36
	s_branch .LBB22_787
.LBB22_572:
	s_mov_b32 s10, -1
	s_mov_b32 s9, 0
                                        ; implicit-def: $sgpr11
.LBB22_573:
	v_mov_b32_e32 v4, s11
	s_and_not1_b32 vcc_lo, exec_lo, s10
                                        ; implicit-def: $sgpr10
	s_cbranch_vccnz .LBB22_575
; %bb.574:
	v_add_f32_e64 v4, 0x42800000, |s8|
	s_mov_b32 s10, 0
	s_delay_alu instid0(VALU_DEP_1) | instskip(NEXT) | instid1(VALU_DEP_1)
	v_and_b32_e32 v4, 0xff, v4
	v_cmp_ne_u32_e64 s9, 0, v4
.LBB22_575:
	v_mov_b32_e32 v5, s10
	s_delay_alu instid0(VALU_DEP_2)
	s_and_not1_b32 vcc_lo, exec_lo, s9
	s_cbranch_vccnz .LBB22_577
; %bb.576:
	s_lshr_b32 s8, s8, 24
	s_delay_alu instid0(SALU_CYCLE_1) | instskip(NEXT) | instid1(SALU_CYCLE_1)
	s_and_b32 s8, s8, 0x80
	v_or_b32_e32 v5, s8, v4
.LBB22_577:
	s_mov_b32 s8, 0
	global_store_b8 v[0:1], v5, off
.LBB22_578:
	s_and_b32 vcc_lo, exec_lo, s8
	s_cbranch_vccz .LBB22_590
; %bb.579:
	v_cvt_f32_i32_e32 v4, s7
	s_delay_alu instid0(VALU_DEP_1) | instskip(NEXT) | instid1(VALU_DEP_1)
	v_readfirstlane_b32 s8, v4
	s_and_b32 s9, s8, 0x7fffffff
	s_delay_alu instid0(SALU_CYCLE_1)
	s_cmp_lt_u32 s9, 0x43f00000
	s_cbranch_scc0 .LBB22_582
; %bb.580:
	s_cmp_gt_u32 s9, 0x3c7fffff
	s_cbranch_scc0 .LBB22_583
; %bb.581:
	s_bfe_u32 s10, s8, 0x10014
	s_delay_alu instid0(SALU_CYCLE_1) | instskip(NEXT) | instid1(SALU_CYCLE_1)
	s_add_i32 s10, s8, s10
	s_add_i32 s10, s10, 0x407ffff
	s_delay_alu instid0(SALU_CYCLE_1)
	s_and_b32 s11, s10, 0xff00000
	s_lshr_b32 s10, s10, 20
	s_cmp_lg_u32 s11, 0x7f00000
	s_cselect_b32 s11, s10, 0x7e
	s_mov_b32 s10, 0
	s_branch .LBB22_584
.LBB22_582:
	s_mov_b32 s10, -1
                                        ; implicit-def: $vgpr5
	s_branch .LBB22_587
.LBB22_583:
	s_mov_b32 s10, -1
                                        ; implicit-def: $sgpr11
.LBB22_584:
	v_mov_b32_e32 v5, s11
	s_and_not1_b32 vcc_lo, exec_lo, s10
	s_cbranch_vccnz .LBB22_586
; %bb.585:
	v_add_f32_e64 v5, 0x46800000, |v4|
.LBB22_586:
	s_mov_b32 s10, 0
.LBB22_587:
	s_delay_alu instid0(SALU_CYCLE_1)
	s_and_not1_b32 vcc_lo, exec_lo, s10
	s_cbranch_vccnz .LBB22_589
; %bb.588:
	s_cmp_gt_u32 s9, 0x7f800000
	s_movk_i32 s9, 0x7f
	s_delay_alu instid0(SALU_CYCLE_1) | instskip(NEXT) | instid1(SALU_CYCLE_1)
	s_cselect_b32 s9, s9, 0x7e
	v_mov_b32_e32 v5, s9
.LBB22_589:
	s_lshr_b32 s8, s8, 24
	s_delay_alu instid0(SALU_CYCLE_1)
	s_and_b32 s8, s8, 0x80
	s_delay_alu instid0(VALU_DEP_1) | instid1(SALU_CYCLE_1)
	v_or_b32_e32 v4, s8, v5
	global_store_b8 v[0:1], v4, off
.LBB22_590:
	s_mov_b32 s8, 0
.LBB22_591:
	s_delay_alu instid0(SALU_CYCLE_1)
	s_and_not1_b32 vcc_lo, exec_lo, s8
	s_cbranch_vccnz .LBB22_603
; %bb.592:
	v_cvt_f32_i32_e32 v4, s7
	s_delay_alu instid0(VALU_DEP_1) | instskip(NEXT) | instid1(VALU_DEP_1)
	v_readfirstlane_b32 s8, v4
	s_and_b32 s9, s8, 0x7fffffff
	s_delay_alu instid0(SALU_CYCLE_1)
	s_cmp_lt_u32 s9, 0x47800000
	s_cbranch_scc0 .LBB22_595
; %bb.593:
	s_cmp_gt_u32 s9, 0x387fffff
	s_cbranch_scc0 .LBB22_596
; %bb.594:
	s_bfe_u32 s10, s8, 0x10015
	s_delay_alu instid0(SALU_CYCLE_1) | instskip(NEXT) | instid1(SALU_CYCLE_1)
	s_add_i32 s10, s8, s10
	s_add_i32 s10, s10, 0x80fffff
	s_delay_alu instid0(SALU_CYCLE_1)
	s_lshr_b32 s11, s10, 21
	s_mov_b32 s10, 0
	s_branch .LBB22_597
.LBB22_595:
	s_mov_b32 s10, -1
                                        ; implicit-def: $vgpr5
	s_branch .LBB22_600
.LBB22_596:
	s_mov_b32 s10, -1
                                        ; implicit-def: $sgpr11
.LBB22_597:
	v_mov_b32_e32 v5, s11
	s_and_not1_b32 vcc_lo, exec_lo, s10
	s_cbranch_vccnz .LBB22_599
; %bb.598:
	v_add_f32_e64 v5, 0x43000000, |v4|
.LBB22_599:
	s_mov_b32 s10, 0
.LBB22_600:
	s_delay_alu instid0(SALU_CYCLE_1)
	s_and_not1_b32 vcc_lo, exec_lo, s10
	s_cbranch_vccnz .LBB22_602
; %bb.601:
	s_cmp_gt_u32 s9, 0x7f800000
	s_movk_i32 s9, 0x7f
	s_delay_alu instid0(SALU_CYCLE_1) | instskip(NEXT) | instid1(SALU_CYCLE_1)
	s_cselect_b32 s9, s9, 0x7c
	v_mov_b32_e32 v5, s9
.LBB22_602:
	s_lshr_b32 s8, s8, 24
	s_delay_alu instid0(SALU_CYCLE_1)
	s_and_b32 s8, s8, 0x80
	s_delay_alu instid0(VALU_DEP_1) | instid1(SALU_CYCLE_1)
	v_or_b32_e32 v4, s8, v5
	global_store_b8 v[0:1], v4, off
.LBB22_603:
	s_mov_b32 s8, 0
	s_mov_b32 s9, -1
.LBB22_604:
	s_and_not1_b32 vcc_lo, exec_lo, s8
	s_mov_b32 s8, 0
	s_cbranch_vccnz .LBB22_611
; %bb.605:
	v_cmp_lt_i16_e32 vcc_lo, 14, v2
	s_mov_b32 s8, -1
	s_cbranch_vccz .LBB22_609
; %bb.606:
	v_cmp_eq_u16_e32 vcc_lo, 15, v2
	s_mov_b32 s0, -1
	s_cbranch_vccz .LBB22_608
; %bb.607:
	v_cvt_f32_i32_e32 v4, s7
	s_mov_b32 s0, 0
	s_mov_b32 s9, -1
	s_delay_alu instid0(VALU_DEP_1) | instskip(NEXT) | instid1(VALU_DEP_1)
	v_bfe_u32 v5, v4, 16, 1
	v_add_nc_u32_e32 v4, v4, v5
	s_delay_alu instid0(VALU_DEP_1)
	v_add_nc_u32_e32 v4, 0x7fff, v4
	global_store_d16_hi_b16 v[0:1], v4, off
.LBB22_608:
	s_mov_b32 s8, 0
.LBB22_609:
	s_delay_alu instid0(SALU_CYCLE_1)
	s_and_b32 vcc_lo, exec_lo, s8
	s_mov_b32 s8, 0
	s_cbranch_vccz .LBB22_611
; %bb.610:
	v_cmp_ne_u16_e64 s0, 11, v2
	s_mov_b32 s8, -1
.LBB22_611:
	s_delay_alu instid0(VALU_DEP_1)
	s_and_b32 vcc_lo, exec_lo, s0
	s_cbranch_vccnz .LBB22_728
; %bb.612:
	s_and_not1_b32 vcc_lo, exec_lo, s8
	s_cbranch_vccnz .LBB22_614
.LBB22_613:
	s_cmp_lg_u32 s7, 0
	s_mov_b32 s9, -1
	s_cselect_b32 s0, -1, 0
	s_delay_alu instid0(SALU_CYCLE_1)
	v_cndmask_b32_e64 v4, 0, 1, s0
	global_store_b8 v[0:1], v4, off
.LBB22_614:
.LBB22_615:
	s_and_not1_b32 vcc_lo, exec_lo, s9
	s_cbranch_vccnz .LBB22_683
.LBB22_616:
	v_add_nc_u32_e32 v3, s6, v3
	v_cmp_gt_i16_e32 vcc_lo, 11, v2
	s_delay_alu instid0(VALU_DEP_2) | instskip(SKIP_1) | instid1(VALU_DEP_1)
	v_ashrrev_i32_e32 v1, 31, v3
	v_add_co_u32 v0, s0, s4, v3
	v_add_co_ci_u32_e64 v1, s0, s5, v1, s0
	s_cbranch_vccnz .LBB22_644
; %bb.617:
	v_cmp_lt_i16_e32 vcc_lo, 25, v2
	s_mov_b32 s10, -1
	s_mov_b32 s8, 0
	s_mov_b32 s9, 0
	;; [unrolled: 1-line block ×3, first 2 shown]
	s_cbranch_vccz .LBB22_740
; %bb.618:
	v_cmp_lt_i16_e32 vcc_lo, 28, v2
	s_cbranch_vccz .LBB22_633
; %bb.619:
	v_cmp_lt_i16_e32 vcc_lo, 43, v2
	;; [unrolled: 3-line block ×3, first 2 shown]
	s_cbranch_vccz .LBB22_623
; %bb.621:
	v_cmp_eq_u16_e32 vcc_lo, 46, v2
	s_mov_b32 s0, -1
	s_mov_b32 s10, 0
	s_cbranch_vccz .LBB22_623
; %bb.622:
	v_cvt_f32_i32_e32 v4, s7
	s_mov_b32 s0, 0
	s_mov_b32 s9, -1
	s_delay_alu instid0(VALU_DEP_1) | instskip(NEXT) | instid1(VALU_DEP_1)
	v_bfe_u32 v5, v4, 16, 1
	v_add_nc_u32_e32 v4, v4, v5
	s_delay_alu instid0(VALU_DEP_1) | instskip(NEXT) | instid1(VALU_DEP_1)
	v_add_nc_u32_e32 v4, 0x7fff, v4
	v_lshrrev_b32_e32 v4, 16, v4
	global_store_b32 v[0:1], v4, off
.LBB22_623:
	s_and_b32 vcc_lo, exec_lo, s10
	s_cbranch_vccz .LBB22_628
; %bb.624:
	v_cmp_eq_u16_e32 vcc_lo, 44, v2
	s_mov_b32 s0, -1
	s_cbranch_vccz .LBB22_628
; %bb.625:
	v_cvt_f32_i32_e32 v4, s7
	v_mov_b32_e32 v5, 0xff
	s_delay_alu instid0(VALU_DEP_2) | instskip(NEXT) | instid1(VALU_DEP_1)
	v_readfirstlane_b32 s0, v4
	s_bfe_u32 s9, s0, 0x80017
	s_delay_alu instid0(SALU_CYCLE_1)
	s_cmpk_eq_i32 s9, 0xff
	s_cbranch_scc1 .LBB22_627
; %bb.626:
	s_bitcmp1_b32 s0, 22
	v_lshrrev_b32_e32 v4, 23, v4
	s_cselect_b32 s10, -1, 0
	s_and_b32 s0, s0, 0x3fffff
	s_delay_alu instid0(SALU_CYCLE_1) | instskip(NEXT) | instid1(SALU_CYCLE_1)
	s_or_b32 s0, s9, s0
	s_cmp_lg_u32 s0, 0
	s_cselect_b32 s0, -1, 0
	s_delay_alu instid0(SALU_CYCLE_1) | instskip(NEXT) | instid1(SALU_CYCLE_1)
	s_and_b32 s0, s10, s0
	v_cndmask_b32_e64 v5, 0, 1, s0
	s_delay_alu instid0(VALU_DEP_1)
	v_add_nc_u32_e32 v5, v4, v5
.LBB22_627:
	s_mov_b32 s0, 0
	s_mov_b32 s9, -1
	global_store_b8 v[0:1], v5, off
.LBB22_628:
	s_mov_b32 s10, 0
.LBB22_629:
	s_delay_alu instid0(SALU_CYCLE_1)
	s_and_b32 vcc_lo, exec_lo, s10
	s_cbranch_vccz .LBB22_632
; %bb.630:
	v_cmp_eq_u16_e32 vcc_lo, 29, v2
	s_mov_b32 s0, -1
	s_cbranch_vccz .LBB22_632
; %bb.631:
	s_ashr_i32 s0, s7, 31
	s_delay_alu instid0(SALU_CYCLE_1)
	v_dual_mov_b32 v4, s7 :: v_dual_mov_b32 v5, s0
	s_mov_b32 s0, 0
	s_mov_b32 s9, -1
	global_store_b64 v[0:1], v[4:5], off
.LBB22_632:
	s_mov_b32 s10, 0
.LBB22_633:
	s_delay_alu instid0(SALU_CYCLE_1)
	s_and_b32 vcc_lo, exec_lo, s10
	s_cbranch_vccz .LBB22_739
; %bb.634:
	v_cmp_gt_i16_e32 vcc_lo, 27, v2
	s_mov_b32 s9, -1
	s_cbranch_vccnz .LBB22_640
; %bb.635:
	v_cmp_lt_i16_e32 vcc_lo, 27, v2
	s_cbranch_vccz .LBB22_637
; %bb.636:
	v_mov_b32_e32 v4, s7
	s_mov_b32 s9, 0
	global_store_b32 v[0:1], v4, off
.LBB22_637:
	s_and_not1_b32 vcc_lo, exec_lo, s9
	s_cbranch_vccnz .LBB22_639
; %bb.638:
	v_mov_b32_e32 v4, s7
	global_store_b16 v[0:1], v4, off
.LBB22_639:
	s_mov_b32 s9, 0
.LBB22_640:
	s_delay_alu instid0(SALU_CYCLE_1)
	s_and_not1_b32 vcc_lo, exec_lo, s9
	s_cbranch_vccnz .LBB22_738
; %bb.641:
	v_cvt_f32_i32_e32 v4, s7
	v_mov_b32_e32 v5, 0x80
	s_delay_alu instid0(VALU_DEP_2) | instskip(NEXT) | instid1(VALU_DEP_1)
	v_readfirstlane_b32 s9, v4
	s_and_b32 s10, s9, 0x7fffffff
	s_delay_alu instid0(SALU_CYCLE_1)
	s_cmp_gt_u32 s10, 0x437fffff
	s_cbranch_scc1 .LBB22_737
; %bb.642:
	s_cmp_gt_u32 s10, 0x3bffffff
	s_cbranch_scc0 .LBB22_732
; %bb.643:
	s_bfe_u32 s10, s9, 0x10014
	s_mov_b32 s11, 0
	s_add_i32 s10, s9, s10
	s_delay_alu instid0(SALU_CYCLE_1) | instskip(NEXT) | instid1(SALU_CYCLE_1)
	s_add_i32 s10, s10, 0x487ffff
	s_lshr_b32 s12, s10, 20
	s_mov_b32 s10, -1
	s_branch .LBB22_733
.LBB22_644:
	s_mov_b32 s9, 0
	s_cbranch_execz .LBB22_838
; %bb.645:
	v_cmp_gt_i16_e32 vcc_lo, 5, v2
	s_mov_b32 s0, -1
	s_cbranch_vccnz .LBB22_666
; %bb.646:
	v_cmp_gt_i16_e32 vcc_lo, 8, v2
	s_cbranch_vccnz .LBB22_656
; %bb.647:
	v_cmp_gt_i16_e32 vcc_lo, 9, v2
	s_cbranch_vccnz .LBB22_653
; %bb.648:
	v_cmp_lt_i16_e32 vcc_lo, 9, v2
	s_cbranch_vccz .LBB22_650
; %bb.649:
	v_cvt_f64_i32_e32 v[4:5], s7
	v_mov_b32_e32 v6, 0
	s_mov_b32 s0, 0
	s_delay_alu instid0(VALU_DEP_1)
	v_mov_b32_e32 v7, v6
	global_store_b128 v[0:1], v[4:7], off
.LBB22_650:
	s_and_not1_b32 vcc_lo, exec_lo, s0
	s_cbranch_vccnz .LBB22_652
; %bb.651:
	v_cvt_f32_i32_e32 v4, s7
	v_mov_b32_e32 v5, 0
	global_store_b64 v[0:1], v[4:5], off
.LBB22_652:
	s_mov_b32 s0, 0
.LBB22_653:
	s_delay_alu instid0(SALU_CYCLE_1)
	s_and_not1_b32 vcc_lo, exec_lo, s0
	s_cbranch_vccnz .LBB22_655
; %bb.654:
	v_cvt_f32_i32_e32 v4, s7
	s_delay_alu instid0(VALU_DEP_1) | instskip(NEXT) | instid1(VALU_DEP_1)
	v_cvt_f16_f32_e32 v4, v4
	v_and_b32_e32 v4, 0xffff, v4
	global_store_b32 v[0:1], v4, off
.LBB22_655:
	s_mov_b32 s0, 0
.LBB22_656:
	s_delay_alu instid0(SALU_CYCLE_1)
	s_and_not1_b32 vcc_lo, exec_lo, s0
	s_cbranch_vccnz .LBB22_665
; %bb.657:
	v_cmp_gt_i16_e32 vcc_lo, 6, v2
	s_mov_b32 s0, -1
	s_cbranch_vccnz .LBB22_663
; %bb.658:
	v_cmp_lt_i16_e32 vcc_lo, 6, v2
	s_cbranch_vccz .LBB22_660
; %bb.659:
	v_cvt_f64_i32_e32 v[4:5], s7
	s_mov_b32 s0, 0
	global_store_b64 v[0:1], v[4:5], off
.LBB22_660:
	s_and_not1_b32 vcc_lo, exec_lo, s0
	s_cbranch_vccnz .LBB22_662
; %bb.661:
	v_cvt_f32_i32_e32 v4, s7
	global_store_b32 v[0:1], v4, off
.LBB22_662:
	s_mov_b32 s0, 0
.LBB22_663:
	s_delay_alu instid0(SALU_CYCLE_1)
	s_and_not1_b32 vcc_lo, exec_lo, s0
	s_cbranch_vccnz .LBB22_665
; %bb.664:
	v_cvt_f32_i32_e32 v4, s7
	s_delay_alu instid0(VALU_DEP_1)
	v_cvt_f16_f32_e32 v4, v4
	global_store_b16 v[0:1], v4, off
.LBB22_665:
	s_mov_b32 s0, 0
.LBB22_666:
	s_delay_alu instid0(SALU_CYCLE_1)
	s_and_not1_b32 vcc_lo, exec_lo, s0
	s_cbranch_vccnz .LBB22_682
; %bb.667:
	v_cmp_gt_i16_e32 vcc_lo, 2, v2
	s_mov_b32 s0, -1
	s_cbranch_vccnz .LBB22_677
; %bb.668:
	v_cmp_gt_i16_e32 vcc_lo, 3, v2
	s_cbranch_vccnz .LBB22_674
; %bb.669:
	v_cmp_lt_i16_e32 vcc_lo, 3, v2
	s_cbranch_vccz .LBB22_671
; %bb.670:
	s_ashr_i32 s0, s7, 31
	s_delay_alu instid0(SALU_CYCLE_1)
	v_dual_mov_b32 v4, s7 :: v_dual_mov_b32 v5, s0
	s_mov_b32 s0, 0
	global_store_b64 v[0:1], v[4:5], off
.LBB22_671:
	s_and_not1_b32 vcc_lo, exec_lo, s0
	s_cbranch_vccnz .LBB22_673
; %bb.672:
	v_mov_b32_e32 v4, s7
	global_store_b32 v[0:1], v4, off
.LBB22_673:
	s_mov_b32 s0, 0
.LBB22_674:
	s_delay_alu instid0(SALU_CYCLE_1)
	s_and_not1_b32 vcc_lo, exec_lo, s0
	s_cbranch_vccnz .LBB22_676
; %bb.675:
	v_mov_b32_e32 v4, s7
	global_store_b16 v[0:1], v4, off
.LBB22_676:
	s_mov_b32 s0, 0
.LBB22_677:
	s_delay_alu instid0(SALU_CYCLE_1)
	s_and_not1_b32 vcc_lo, exec_lo, s0
	s_cbranch_vccnz .LBB22_682
; %bb.678:
	v_cmp_lt_i16_e32 vcc_lo, 0, v2
	s_mov_b32 s0, -1
	s_cbranch_vccz .LBB22_680
; %bb.679:
	v_mov_b32_e32 v4, s7
	s_mov_b32 s0, 0
	global_store_b8 v[0:1], v4, off
.LBB22_680:
	s_and_not1_b32 vcc_lo, exec_lo, s0
	s_cbranch_vccnz .LBB22_682
; %bb.681:
	v_mov_b32_e32 v4, s7
	global_store_b8 v[0:1], v4, off
.LBB22_682:
	s_branch .LBB22_839
.LBB22_683:
	s_mov_b32 s0, 0
	s_mov_b32 s4, 0
                                        ; implicit-def: $vgpr2
                                        ; implicit-def: $vgpr0_vgpr1
.LBB22_684:
	s_and_not1_b32 s1, s1, exec_lo
	s_and_b32 s3, s3, exec_lo
	s_and_b32 s0, s0, exec_lo
	;; [unrolled: 1-line block ×3, first 2 shown]
	s_or_b32 s1, s1, s3
.LBB22_685:
	s_or_b32 exec_lo, exec_lo, s2
	s_and_saveexec_b32 s2, s1
	s_cbranch_execz .LBB22_688
; %bb.686:
	; divergent unreachable
	s_or_b32 exec_lo, exec_lo, s2
	s_and_saveexec_b32 s1, s8
	s_delay_alu instid0(SALU_CYCLE_1)
	s_xor_b32 s1, exec_lo, s1
	s_cbranch_execnz .LBB22_689
.LBB22_687:
	s_or_b32 exec_lo, exec_lo, s1
	s_and_saveexec_b32 s1, s0
	s_cbranch_execnz .LBB22_690
	s_branch .LBB22_727
.LBB22_688:
	s_or_b32 exec_lo, exec_lo, s2
	s_and_saveexec_b32 s1, s8
	s_delay_alu instid0(SALU_CYCLE_1)
	s_xor_b32 s1, exec_lo, s1
	s_cbranch_execz .LBB22_687
.LBB22_689:
	s_cmp_lg_u32 s7, 0
	s_cselect_b32 s2, -1, 0
	s_delay_alu instid0(SALU_CYCLE_1)
	v_cndmask_b32_e64 v3, 0, 1, s2
	global_store_b8 v[0:1], v3, off
	s_or_b32 exec_lo, exec_lo, s1
	s_and_saveexec_b32 s1, s0
	s_cbranch_execz .LBB22_727
.LBB22_690:
	v_cmp_gt_i16_e32 vcc_lo, 5, v2
	s_mov_b32 s0, -1
	s_cbranch_vccnz .LBB22_711
; %bb.691:
	v_cmp_gt_i16_e32 vcc_lo, 8, v2
	s_cbranch_vccnz .LBB22_701
; %bb.692:
	v_cmp_gt_i16_e32 vcc_lo, 9, v2
	s_cbranch_vccnz .LBB22_698
; %bb.693:
	v_cmp_lt_i16_e32 vcc_lo, 9, v2
	s_cbranch_vccz .LBB22_695
; %bb.694:
	v_cvt_f64_i32_e32 v[3:4], s7
	v_mov_b32_e32 v5, 0
	s_mov_b32 s0, 0
	s_delay_alu instid0(VALU_DEP_1)
	v_mov_b32_e32 v6, v5
	global_store_b128 v[0:1], v[3:6], off
.LBB22_695:
	s_and_not1_b32 vcc_lo, exec_lo, s0
	s_cbranch_vccnz .LBB22_697
; %bb.696:
	v_cvt_f32_i32_e32 v3, s7
	v_mov_b32_e32 v4, 0
	global_store_b64 v[0:1], v[3:4], off
.LBB22_697:
	s_mov_b32 s0, 0
.LBB22_698:
	s_delay_alu instid0(SALU_CYCLE_1)
	s_and_not1_b32 vcc_lo, exec_lo, s0
	s_cbranch_vccnz .LBB22_700
; %bb.699:
	v_cvt_f32_i32_e32 v3, s7
	s_delay_alu instid0(VALU_DEP_1) | instskip(NEXT) | instid1(VALU_DEP_1)
	v_cvt_f16_f32_e32 v3, v3
	v_and_b32_e32 v3, 0xffff, v3
	global_store_b32 v[0:1], v3, off
.LBB22_700:
	s_mov_b32 s0, 0
.LBB22_701:
	s_delay_alu instid0(SALU_CYCLE_1)
	s_and_not1_b32 vcc_lo, exec_lo, s0
	s_cbranch_vccnz .LBB22_710
; %bb.702:
	v_cmp_gt_i16_e32 vcc_lo, 6, v2
	s_mov_b32 s0, -1
	s_cbranch_vccnz .LBB22_708
; %bb.703:
	v_cmp_lt_i16_e32 vcc_lo, 6, v2
	s_cbranch_vccz .LBB22_705
; %bb.704:
	v_cvt_f64_i32_e32 v[3:4], s7
	s_mov_b32 s0, 0
	global_store_b64 v[0:1], v[3:4], off
.LBB22_705:
	s_and_not1_b32 vcc_lo, exec_lo, s0
	s_cbranch_vccnz .LBB22_707
; %bb.706:
	v_cvt_f32_i32_e32 v3, s7
	global_store_b32 v[0:1], v3, off
.LBB22_707:
	s_mov_b32 s0, 0
.LBB22_708:
	s_delay_alu instid0(SALU_CYCLE_1)
	s_and_not1_b32 vcc_lo, exec_lo, s0
	s_cbranch_vccnz .LBB22_710
; %bb.709:
	v_cvt_f32_i32_e32 v3, s7
	s_delay_alu instid0(VALU_DEP_1)
	v_cvt_f16_f32_e32 v3, v3
	global_store_b16 v[0:1], v3, off
.LBB22_710:
	s_mov_b32 s0, 0
.LBB22_711:
	s_delay_alu instid0(SALU_CYCLE_1)
	s_and_not1_b32 vcc_lo, exec_lo, s0
	s_cbranch_vccnz .LBB22_727
; %bb.712:
	v_cmp_gt_i16_e32 vcc_lo, 2, v2
	s_mov_b32 s0, -1
	s_cbranch_vccnz .LBB22_722
; %bb.713:
	v_cmp_gt_i16_e32 vcc_lo, 3, v2
	s_cbranch_vccnz .LBB22_719
; %bb.714:
	v_cmp_lt_i16_e32 vcc_lo, 3, v2
	s_cbranch_vccz .LBB22_716
; %bb.715:
	s_ashr_i32 s0, s7, 31
	s_delay_alu instid0(SALU_CYCLE_1)
	v_dual_mov_b32 v3, s7 :: v_dual_mov_b32 v4, s0
	s_mov_b32 s0, 0
	global_store_b64 v[0:1], v[3:4], off
.LBB22_716:
	s_and_not1_b32 vcc_lo, exec_lo, s0
	s_cbranch_vccnz .LBB22_718
; %bb.717:
	v_mov_b32_e32 v3, s7
	global_store_b32 v[0:1], v3, off
.LBB22_718:
	s_mov_b32 s0, 0
.LBB22_719:
	s_delay_alu instid0(SALU_CYCLE_1)
	s_and_not1_b32 vcc_lo, exec_lo, s0
	s_cbranch_vccnz .LBB22_721
; %bb.720:
	v_mov_b32_e32 v3, s7
	global_store_b16 v[0:1], v3, off
.LBB22_721:
	s_mov_b32 s0, 0
.LBB22_722:
	s_delay_alu instid0(SALU_CYCLE_1)
	s_and_not1_b32 vcc_lo, exec_lo, s0
	s_cbranch_vccnz .LBB22_727
; %bb.723:
	v_cmp_lt_i16_e32 vcc_lo, 0, v2
	s_mov_b32 s0, -1
	s_cbranch_vccz .LBB22_725
; %bb.724:
	v_mov_b32_e32 v2, s7
	s_mov_b32 s0, 0
	global_store_b8 v[0:1], v2, off
.LBB22_725:
	s_and_not1_b32 vcc_lo, exec_lo, s0
	s_cbranch_vccnz .LBB22_727
; %bb.726:
	v_mov_b32_e32 v2, s7
	global_store_b8 v[0:1], v2, off
	s_nop 0
	s_sendmsg sendmsg(MSG_DEALLOC_VGPRS)
	s_endpgm
.LBB22_727:
	s_nop 0
	s_sendmsg sendmsg(MSG_DEALLOC_VGPRS)
	s_endpgm
.LBB22_728:
	s_cbranch_execnz .LBB22_730
; %bb.729:
	s_or_b32 s3, s3, exec_lo
	s_cbranch_execz .LBB22_613
	s_branch .LBB22_614
.LBB22_730:
	s_trap 2
	s_sendmsg_rtn_b32 s0, sendmsg(MSG_RTN_GET_DOORBELL)
	s_mov_b32 ttmp2, m0
	s_waitcnt lgkmcnt(0)
	s_and_b32 s0, s0, 0x3ff
	s_delay_alu instid0(SALU_CYCLE_1) | instskip(NEXT) | instid1(SALU_CYCLE_1)
	s_bitset1_b32 s0, 10
	s_mov_b32 m0, s0
	s_sendmsg sendmsg(MSG_INTERRUPT)
	s_mov_b32 m0, ttmp2
.LBB22_731:                             ; =>This Inner Loop Header: Depth=1
	s_sethalt 5
	s_branch .LBB22_731
.LBB22_732:
	s_mov_b32 s11, -1
	s_mov_b32 s10, 0
                                        ; implicit-def: $sgpr12
.LBB22_733:
	v_mov_b32_e32 v4, s12
	s_and_not1_b32 vcc_lo, exec_lo, s11
                                        ; implicit-def: $sgpr11
	s_cbranch_vccnz .LBB22_735
; %bb.734:
	v_add_f32_e64 v4, 0x46000000, |s9|
	s_mov_b32 s11, 0
	s_delay_alu instid0(VALU_DEP_1) | instskip(NEXT) | instid1(VALU_DEP_1)
	v_and_b32_e32 v4, 0xff, v4
	v_cmp_ne_u32_e64 s10, 0, v4
.LBB22_735:
	v_mov_b32_e32 v5, s11
	s_delay_alu instid0(VALU_DEP_2)
	s_and_not1_b32 vcc_lo, exec_lo, s10
	s_cbranch_vccnz .LBB22_737
; %bb.736:
	s_lshr_b32 s9, s9, 24
	s_delay_alu instid0(SALU_CYCLE_1) | instskip(NEXT) | instid1(SALU_CYCLE_1)
	s_and_b32 s9, s9, 0x80
	v_or_b32_e32 v5, s9, v4
.LBB22_737:
	global_store_b8 v[0:1], v5, off
.LBB22_738:
	s_mov_b32 s9, -1
.LBB22_739:
	s_mov_b32 s10, 0
.LBB22_740:
	s_delay_alu instid0(SALU_CYCLE_1)
	s_and_b32 vcc_lo, exec_lo, s10
	s_cbranch_vccz .LBB22_834
; %bb.741:
	v_cmp_lt_i16_e32 vcc_lo, 22, v2
	s_mov_b32 s8, -1
	s_cbranch_vccz .LBB22_827
; %bb.742:
	v_cmp_gt_i16_e32 vcc_lo, 24, v2
	s_cbranch_vccnz .LBB22_814
; %bb.743:
	v_cmp_lt_i16_e32 vcc_lo, 24, v2
	s_cbranch_vccz .LBB22_801
; %bb.744:
	v_cvt_f32_i32_e32 v4, s7
	v_mov_b32_e32 v5, 0x80
	s_delay_alu instid0(VALU_DEP_2) | instskip(NEXT) | instid1(VALU_DEP_1)
	v_readfirstlane_b32 s8, v4
	s_and_b32 s9, s8, 0x7fffffff
	s_delay_alu instid0(SALU_CYCLE_1)
	s_cmp_gt_u32 s9, 0x477fffff
	s_cbranch_scc1 .LBB22_800
; %bb.745:
	s_cmp_gt_u32 s9, 0x37ffffff
	s_cbranch_scc0 .LBB22_795
; %bb.746:
	s_bfe_u32 s9, s8, 0x10015
	s_mov_b32 s10, 0
	s_add_i32 s9, s8, s9
	s_delay_alu instid0(SALU_CYCLE_1) | instskip(NEXT) | instid1(SALU_CYCLE_1)
	s_add_i32 s9, s9, 0x88fffff
	s_lshr_b32 s11, s9, 21
	s_mov_b32 s9, -1
	s_branch .LBB22_796
.LBB22_747:
	s_mov_b32 s37, 0
.LBB22_748:
	s_delay_alu instid0(SALU_CYCLE_1)
	s_and_b32 vcc_lo, exec_lo, s37
	s_cbranch_vccz .LBB22_751
; %bb.749:
	v_cmp_eq_u16_e32 vcc_lo, 29, v17
	s_mov_b32 s1, -1
	s_cbranch_vccz .LBB22_751
; %bb.750:
	v_dual_mov_b32 v2, s2 :: v_dual_mov_b32 v3, s3
	s_mov_b32 s1, 0
	s_mov_b32 s37, 0
	global_store_b64 v[6:7], v[2:3], off
	s_branch .LBB22_752
.LBB22_751:
	s_mov_b32 s37, 0
.LBB22_752:
	s_delay_alu instid0(SALU_CYCLE_1)
	s_and_b32 vcc_lo, exec_lo, s37
	s_cbranch_vccz .LBB22_764
; %bb.753:
	v_cmp_gt_i16_e32 vcc_lo, 27, v17
	s_mov_b32 s0, -1
	s_cbranch_vccnz .LBB22_759
; %bb.754:
	v_cmp_lt_i16_e32 vcc_lo, 27, v17
	s_cbranch_vccz .LBB22_756
; %bb.755:
	v_mov_b32_e32 v2, s7
	s_mov_b32 s0, 0
	global_store_b32 v[6:7], v2, off
.LBB22_756:
	s_and_not1_b32 vcc_lo, exec_lo, s0
	s_cbranch_vccnz .LBB22_758
; %bb.757:
	v_mov_b32_e32 v2, s7
	global_store_b16 v[6:7], v2, off
.LBB22_758:
	s_mov_b32 s0, 0
.LBB22_759:
	s_delay_alu instid0(SALU_CYCLE_1)
	s_and_not1_b32 vcc_lo, exec_lo, s0
	s_cbranch_vccnz .LBB22_764
; %bb.760:
	v_mov_b32_e32 v2, 0x80
	s_and_not1_b32 vcc_lo, exec_lo, s26
	s_cbranch_vccnz .LBB22_763
; %bb.761:
	v_mov_b32_e32 v2, 0
	s_or_b32 s0, s21, s28
	s_delay_alu instid0(SALU_CYCLE_1)
	s_and_not1_b32 vcc_lo, exec_lo, s0
	s_cbranch_vccnz .LBB22_763
; %bb.762:
	v_cndmask_b32_e64 v2, v14, s25, s21
	s_delay_alu instid0(VALU_DEP_1)
	v_or_b32_e32 v2, v2, v12
.LBB22_763:
	global_store_b8 v[6:7], v2, off
.LBB22_764:
	s_mov_b32 s37, 0
.LBB22_765:
	s_delay_alu instid0(SALU_CYCLE_1)
	s_and_b32 vcc_lo, exec_lo, s37
	s_mov_b32 s0, 0
	s_cbranch_vccz .LBB22_786
; %bb.766:
	v_cmp_lt_i16_e32 vcc_lo, 22, v17
	s_mov_b32 s21, -1
	s_cbranch_vccz .LBB22_779
; %bb.767:
	v_cmp_gt_i16_e32 vcc_lo, 24, v17
	s_cbranch_vccnz .LBB22_776
; %bb.768:
	v_cmp_lt_i16_e32 vcc_lo, 24, v17
	s_cbranch_vccz .LBB22_773
; %bb.769:
	v_mov_b32_e32 v2, 0x80
	s_and_not1_b32 vcc_lo, exec_lo, s24
	s_cbranch_vccnz .LBB22_772
; %bb.770:
	v_mov_b32_e32 v2, 0
	s_or_b32 s21, s18, s27
	s_delay_alu instid0(SALU_CYCLE_1)
	s_and_not1_b32 vcc_lo, exec_lo, s21
	s_cbranch_vccnz .LBB22_772
; %bb.771:
	v_cndmask_b32_e64 v2, v13, s20, s18
	s_delay_alu instid0(VALU_DEP_1)
	v_or_b32_e32 v2, v2, v12
.LBB22_772:
	s_mov_b32 s21, 0
	global_store_b8 v[6:7], v2, off
.LBB22_773:
	s_and_b32 vcc_lo, exec_lo, s21
	s_cbranch_vccz .LBB22_775
; %bb.774:
	s_and_b32 s17, s17, exec_lo
	s_cselect_b32 s17, s23, s19
	s_and_b32 s14, s14, exec_lo
	s_cselect_b32 s14, s22, s17
	s_delay_alu instid0(SALU_CYCLE_1)
	v_or_b32_e32 v2, s14, v12
	global_store_b8 v[6:7], v2, off
.LBB22_775:
	s_mov_b32 s21, 0
.LBB22_776:
	s_delay_alu instid0(SALU_CYCLE_1)
	s_and_not1_b32 vcc_lo, exec_lo, s21
	s_cbranch_vccnz .LBB22_778
; %bb.777:
	s_and_b32 s12, s12, exec_lo
	s_cselect_b32 s12, s16, s13
	s_and_b32 s11, s11, exec_lo
	s_cselect_b32 s11, s15, s12
	s_delay_alu instid0(SALU_CYCLE_1)
	v_or_b32_e32 v2, s11, v12
	global_store_b8 v[6:7], v2, off
.LBB22_778:
	s_mov_b32 s21, 0
.LBB22_779:
	s_delay_alu instid0(SALU_CYCLE_1)
	s_and_not1_b32 vcc_lo, exec_lo, s21
	s_mov_b32 s11, 0
	s_cbranch_vccnz .LBB22_787
; %bb.780:
	v_cmp_lt_i16_e32 vcc_lo, 14, v17
	s_mov_b32 s11, -1
	s_cbranch_vccz .LBB22_784
; %bb.781:
	v_cmp_eq_u16_e32 vcc_lo, 15, v17
	s_mov_b32 s1, -1
	s_cbranch_vccz .LBB22_783
; %bb.782:
	s_mov_b32 s1, 0
	global_store_b16 v[6:7], v11, off
.LBB22_783:
	s_mov_b32 s11, 0
.LBB22_784:
	s_delay_alu instid0(SALU_CYCLE_1)
	s_and_b32 vcc_lo, exec_lo, s11
	s_mov_b32 s11, 0
	s_cbranch_vccz .LBB22_787
; %bb.785:
	v_cmp_ne_u16_e32 vcc_lo, 11, v17
	s_and_not1_b32 s1, s1, exec_lo
	s_mov_b32 s11, -1
	s_and_b32 s12, vcc_lo, exec_lo
	s_delay_alu instid0(SALU_CYCLE_1)
	s_or_b32 s1, s1, s12
	s_branch .LBB22_787
.LBB22_786:
	s_mov_b32 s11, 0
.LBB22_787:
	s_and_b32 s37, s0, exec_lo
	s_and_not1_b32 s0, s36, exec_lo
	s_and_b32 s12, s1, exec_lo
	s_and_b32 s1, s11, exec_lo
	s_or_b32 s38, s0, s12
.LBB22_788:
	s_or_b32 exec_lo, exec_lo, s29
	s_delay_alu instid0(SALU_CYCLE_1)
	s_and_not1_b32 s0, s36, exec_lo
	s_and_b32 s11, s38, exec_lo
	s_and_b32 s37, s37, exec_lo
	;; [unrolled: 1-line block ×3, first 2 shown]
	s_or_b32 s36, s0, s11
.LBB22_789:
	s_or_b32 exec_lo, exec_lo, s35
	s_delay_alu instid0(SALU_CYCLE_1)
	s_and_not1_b32 s0, s33, exec_lo
	s_and_b32 s11, s36, exec_lo
	s_and_b32 s37, s37, exec_lo
	;; [unrolled: 1-line block ×3, first 2 shown]
	s_or_b32 s33, s0, s11
.LBB22_790:
	s_or_b32 exec_lo, exec_lo, s34
	s_delay_alu instid0(SALU_CYCLE_1)
	s_and_not1_b32 s0, s30, exec_lo
	s_and_b32 s11, s33, exec_lo
	s_and_b32 s1, s37, exec_lo
	;; [unrolled: 1-line block ×3, first 2 shown]
	s_or_b32 s30, s0, s11
	s_or_b32 exec_lo, exec_lo, s31
	s_mov_b32 s0, 0
	s_and_saveexec_b32 s11, s30
	s_cbranch_execz .LBB22_110
.LBB22_791:
	s_cbranch_execnz .LBB22_793
; %bb.792:
	s_mov_b32 s0, exec_lo
	s_and_not1_b32 s33, s33, exec_lo
	s_or_b32 exec_lo, exec_lo, s11
	s_and_saveexec_b32 s11, s33
	s_delay_alu instid0(SALU_CYCLE_1)
	s_xor_b32 s11, exec_lo, s11
	s_cbranch_execnz .LBB22_111
	s_branch .LBB22_112
.LBB22_793:
	s_trap 2
	s_sendmsg_rtn_b32 s0, sendmsg(MSG_RTN_GET_DOORBELL)
	s_mov_b32 ttmp2, m0
	s_waitcnt lgkmcnt(0)
	s_and_b32 s0, s0, 0x3ff
	s_delay_alu instid0(SALU_CYCLE_1) | instskip(NEXT) | instid1(SALU_CYCLE_1)
	s_bitset1_b32 s0, 10
	s_mov_b32 m0, s0
	s_sendmsg sendmsg(MSG_INTERRUPT)
	s_mov_b32 m0, ttmp2
.LBB22_794:                             ; =>This Inner Loop Header: Depth=1
	s_sethalt 5
	s_branch .LBB22_794
.LBB22_795:
	s_mov_b32 s10, -1
	s_mov_b32 s9, 0
                                        ; implicit-def: $sgpr11
.LBB22_796:
	v_mov_b32_e32 v4, s11
	s_and_not1_b32 vcc_lo, exec_lo, s10
                                        ; implicit-def: $sgpr10
	s_cbranch_vccnz .LBB22_798
; %bb.797:
	v_add_f32_e64 v4, 0x42800000, |s8|
	s_mov_b32 s10, 0
	s_delay_alu instid0(VALU_DEP_1) | instskip(NEXT) | instid1(VALU_DEP_1)
	v_and_b32_e32 v4, 0xff, v4
	v_cmp_ne_u32_e64 s9, 0, v4
.LBB22_798:
	v_mov_b32_e32 v5, s10
	s_delay_alu instid0(VALU_DEP_2)
	s_and_not1_b32 vcc_lo, exec_lo, s9
	s_cbranch_vccnz .LBB22_800
; %bb.799:
	s_lshr_b32 s8, s8, 24
	s_delay_alu instid0(SALU_CYCLE_1) | instskip(NEXT) | instid1(SALU_CYCLE_1)
	s_and_b32 s8, s8, 0x80
	v_or_b32_e32 v5, s8, v4
.LBB22_800:
	s_mov_b32 s8, 0
	global_store_b8 v[0:1], v5, off
.LBB22_801:
	s_and_b32 vcc_lo, exec_lo, s8
	s_cbranch_vccz .LBB22_813
; %bb.802:
	v_cvt_f32_i32_e32 v4, s7
	s_delay_alu instid0(VALU_DEP_1) | instskip(NEXT) | instid1(VALU_DEP_1)
	v_readfirstlane_b32 s8, v4
	s_and_b32 s9, s8, 0x7fffffff
	s_delay_alu instid0(SALU_CYCLE_1)
	s_cmp_lt_u32 s9, 0x43f00000
	s_cbranch_scc0 .LBB22_805
; %bb.803:
	s_cmp_gt_u32 s9, 0x3c7fffff
	s_cbranch_scc0 .LBB22_806
; %bb.804:
	s_bfe_u32 s10, s8, 0x10014
	s_delay_alu instid0(SALU_CYCLE_1) | instskip(NEXT) | instid1(SALU_CYCLE_1)
	s_add_i32 s10, s8, s10
	s_add_i32 s10, s10, 0x407ffff
	s_delay_alu instid0(SALU_CYCLE_1)
	s_and_b32 s11, s10, 0xff00000
	s_lshr_b32 s10, s10, 20
	s_cmp_lg_u32 s11, 0x7f00000
	s_cselect_b32 s11, s10, 0x7e
	s_mov_b32 s10, 0
	s_branch .LBB22_807
.LBB22_805:
	s_mov_b32 s10, -1
                                        ; implicit-def: $vgpr5
	s_branch .LBB22_810
.LBB22_806:
	s_mov_b32 s10, -1
                                        ; implicit-def: $sgpr11
.LBB22_807:
	v_mov_b32_e32 v5, s11
	s_and_not1_b32 vcc_lo, exec_lo, s10
	s_cbranch_vccnz .LBB22_809
; %bb.808:
	v_add_f32_e64 v5, 0x46800000, |v4|
.LBB22_809:
	s_mov_b32 s10, 0
.LBB22_810:
	s_delay_alu instid0(SALU_CYCLE_1)
	s_and_not1_b32 vcc_lo, exec_lo, s10
	s_cbranch_vccnz .LBB22_812
; %bb.811:
	s_cmp_gt_u32 s9, 0x7f800000
	s_movk_i32 s9, 0x7f
	s_delay_alu instid0(SALU_CYCLE_1) | instskip(NEXT) | instid1(SALU_CYCLE_1)
	s_cselect_b32 s9, s9, 0x7e
	v_mov_b32_e32 v5, s9
.LBB22_812:
	s_lshr_b32 s8, s8, 24
	s_delay_alu instid0(SALU_CYCLE_1)
	s_and_b32 s8, s8, 0x80
	s_delay_alu instid0(VALU_DEP_1) | instid1(SALU_CYCLE_1)
	v_or_b32_e32 v4, s8, v5
	global_store_b8 v[0:1], v4, off
.LBB22_813:
	s_mov_b32 s8, 0
.LBB22_814:
	s_delay_alu instid0(SALU_CYCLE_1)
	s_and_not1_b32 vcc_lo, exec_lo, s8
	s_cbranch_vccnz .LBB22_826
; %bb.815:
	v_cvt_f32_i32_e32 v4, s7
	s_delay_alu instid0(VALU_DEP_1) | instskip(NEXT) | instid1(VALU_DEP_1)
	v_readfirstlane_b32 s8, v4
	s_and_b32 s9, s8, 0x7fffffff
	s_delay_alu instid0(SALU_CYCLE_1)
	s_cmp_lt_u32 s9, 0x47800000
	s_cbranch_scc0 .LBB22_818
; %bb.816:
	s_cmp_gt_u32 s9, 0x387fffff
	s_cbranch_scc0 .LBB22_819
; %bb.817:
	s_bfe_u32 s10, s8, 0x10015
	s_delay_alu instid0(SALU_CYCLE_1) | instskip(NEXT) | instid1(SALU_CYCLE_1)
	s_add_i32 s10, s8, s10
	s_add_i32 s10, s10, 0x80fffff
	s_delay_alu instid0(SALU_CYCLE_1)
	s_lshr_b32 s11, s10, 21
	s_mov_b32 s10, 0
	s_branch .LBB22_820
.LBB22_818:
	s_mov_b32 s10, -1
                                        ; implicit-def: $vgpr5
	s_branch .LBB22_823
.LBB22_819:
	s_mov_b32 s10, -1
                                        ; implicit-def: $sgpr11
.LBB22_820:
	v_mov_b32_e32 v5, s11
	s_and_not1_b32 vcc_lo, exec_lo, s10
	s_cbranch_vccnz .LBB22_822
; %bb.821:
	v_add_f32_e64 v5, 0x43000000, |v4|
.LBB22_822:
	s_mov_b32 s10, 0
.LBB22_823:
	s_delay_alu instid0(SALU_CYCLE_1)
	s_and_not1_b32 vcc_lo, exec_lo, s10
	s_cbranch_vccnz .LBB22_825
; %bb.824:
	s_cmp_gt_u32 s9, 0x7f800000
	s_movk_i32 s9, 0x7f
	s_delay_alu instid0(SALU_CYCLE_1) | instskip(NEXT) | instid1(SALU_CYCLE_1)
	s_cselect_b32 s9, s9, 0x7c
	v_mov_b32_e32 v5, s9
.LBB22_825:
	s_lshr_b32 s8, s8, 24
	s_delay_alu instid0(SALU_CYCLE_1)
	s_and_b32 s8, s8, 0x80
	s_delay_alu instid0(VALU_DEP_1) | instid1(SALU_CYCLE_1)
	v_or_b32_e32 v4, s8, v5
	global_store_b8 v[0:1], v4, off
.LBB22_826:
	s_mov_b32 s8, 0
	s_mov_b32 s9, -1
.LBB22_827:
	s_and_not1_b32 vcc_lo, exec_lo, s8
	s_mov_b32 s8, 0
	s_cbranch_vccnz .LBB22_834
; %bb.828:
	v_cmp_lt_i16_e32 vcc_lo, 14, v2
	s_mov_b32 s8, -1
	s_cbranch_vccz .LBB22_832
; %bb.829:
	v_cmp_eq_u16_e32 vcc_lo, 15, v2
	s_mov_b32 s0, -1
	s_cbranch_vccz .LBB22_831
; %bb.830:
	v_cvt_f32_i32_e32 v4, s7
	s_mov_b32 s0, 0
	s_mov_b32 s9, -1
	s_delay_alu instid0(VALU_DEP_1) | instskip(NEXT) | instid1(VALU_DEP_1)
	v_bfe_u32 v5, v4, 16, 1
	v_add_nc_u32_e32 v4, v4, v5
	s_delay_alu instid0(VALU_DEP_1)
	v_add_nc_u32_e32 v4, 0x7fff, v4
	global_store_d16_hi_b16 v[0:1], v4, off
.LBB22_831:
	s_mov_b32 s8, 0
.LBB22_832:
	s_delay_alu instid0(SALU_CYCLE_1)
	s_and_b32 vcc_lo, exec_lo, s8
	s_mov_b32 s8, 0
	s_cbranch_vccz .LBB22_834
; %bb.833:
	v_cmp_ne_u16_e64 s0, 11, v2
	s_mov_b32 s8, -1
.LBB22_834:
	s_delay_alu instid0(VALU_DEP_1)
	s_and_b32 vcc_lo, exec_lo, s0
	s_cbranch_vccnz .LBB22_869
; %bb.835:
	s_and_not1_b32 vcc_lo, exec_lo, s8
	s_cbranch_vccnz .LBB22_837
.LBB22_836:
	s_cmp_lg_u32 s7, 0
	s_mov_b32 s9, -1
	s_cselect_b32 s0, -1, 0
	s_delay_alu instid0(SALU_CYCLE_1)
	v_cndmask_b32_e64 v4, 0, 1, s0
	global_store_b8 v[0:1], v4, off
.LBB22_837:
.LBB22_838:
	s_and_not1_b32 vcc_lo, exec_lo, s9
	s_cbranch_vccnz .LBB22_683
.LBB22_839:
	v_add_nc_u32_e32 v0, s6, v3
	v_cmp_gt_i16_e32 vcc_lo, 11, v2
	s_delay_alu instid0(VALU_DEP_2) | instskip(SKIP_1) | instid1(VALU_DEP_1)
	v_ashrrev_i32_e32 v1, 31, v0
	v_add_co_u32 v0, s0, s4, v0
	v_add_co_ci_u32_e64 v1, s0, s5, v1, s0
	s_cbranch_vccnz .LBB22_868
; %bb.840:
	v_cmp_lt_i16_e32 vcc_lo, 25, v2
	s_mov_b32 s5, -1
	s_mov_b32 s4, 0
	s_mov_b32 s0, 0
	s_cbranch_vccz .LBB22_880
; %bb.841:
	v_cmp_lt_i16_e32 vcc_lo, 28, v2
	s_cbranch_vccz .LBB22_857
; %bb.842:
	v_cmp_lt_i16_e32 vcc_lo, 43, v2
	;; [unrolled: 3-line block ×3, first 2 shown]
	s_cbranch_vccz .LBB22_847
; %bb.844:
	v_cmp_eq_u16_e32 vcc_lo, 46, v2
	s_mov_b32 s0, -1
	s_cbranch_vccz .LBB22_846
; %bb.845:
	v_cvt_f32_i32_e32 v3, s7
	s_mov_b32 s0, 0
	s_delay_alu instid0(VALU_DEP_1) | instskip(NEXT) | instid1(VALU_DEP_1)
	v_bfe_u32 v4, v3, 16, 1
	v_add_nc_u32_e32 v3, v3, v4
	s_delay_alu instid0(VALU_DEP_1) | instskip(NEXT) | instid1(VALU_DEP_1)
	v_add_nc_u32_e32 v3, 0x7fff, v3
	v_lshrrev_b32_e32 v3, 16, v3
	global_store_b32 v[0:1], v3, off
.LBB22_846:
	s_mov_b32 s5, 0
.LBB22_847:
	s_delay_alu instid0(SALU_CYCLE_1)
	s_and_b32 vcc_lo, exec_lo, s5
	s_cbranch_vccz .LBB22_852
; %bb.848:
	v_cmp_eq_u16_e32 vcc_lo, 44, v2
	s_mov_b32 s0, -1
	s_cbranch_vccz .LBB22_852
; %bb.849:
	v_cvt_f32_i32_e32 v3, s7
	v_mov_b32_e32 v4, 0xff
	s_delay_alu instid0(VALU_DEP_2) | instskip(NEXT) | instid1(VALU_DEP_1)
	v_readfirstlane_b32 s0, v3
	s_bfe_u32 s5, s0, 0x80017
	s_delay_alu instid0(SALU_CYCLE_1)
	s_cmpk_eq_i32 s5, 0xff
	s_cbranch_scc1 .LBB22_851
; %bb.850:
	s_bitcmp1_b32 s0, 22
	v_lshrrev_b32_e32 v3, 23, v3
	s_cselect_b32 s6, -1, 0
	s_and_b32 s0, s0, 0x3fffff
	s_delay_alu instid0(SALU_CYCLE_1) | instskip(NEXT) | instid1(SALU_CYCLE_1)
	s_or_b32 s0, s5, s0
	s_cmp_lg_u32 s0, 0
	s_cselect_b32 s0, -1, 0
	s_delay_alu instid0(SALU_CYCLE_1) | instskip(NEXT) | instid1(SALU_CYCLE_1)
	s_and_b32 s0, s6, s0
	v_cndmask_b32_e64 v4, 0, 1, s0
	s_delay_alu instid0(VALU_DEP_1)
	v_add_nc_u32_e32 v4, v3, v4
.LBB22_851:
	s_mov_b32 s0, 0
	global_store_b8 v[0:1], v4, off
.LBB22_852:
	s_mov_b32 s5, 0
.LBB22_853:
	s_delay_alu instid0(SALU_CYCLE_1)
	s_and_b32 vcc_lo, exec_lo, s5
	s_cbranch_vccz .LBB22_856
; %bb.854:
	v_cmp_eq_u16_e32 vcc_lo, 29, v2
	s_mov_b32 s0, -1
	s_cbranch_vccz .LBB22_856
; %bb.855:
	s_ashr_i32 s0, s7, 31
	s_delay_alu instid0(SALU_CYCLE_1)
	v_dual_mov_b32 v3, s7 :: v_dual_mov_b32 v4, s0
	s_mov_b32 s0, 0
	global_store_b64 v[0:1], v[3:4], off
.LBB22_856:
	s_mov_b32 s5, 0
.LBB22_857:
	s_delay_alu instid0(SALU_CYCLE_1)
	s_and_b32 vcc_lo, exec_lo, s5
	s_cbranch_vccz .LBB22_879
; %bb.858:
	v_cmp_gt_i16_e32 vcc_lo, 27, v2
	s_mov_b32 s5, -1
	s_cbranch_vccnz .LBB22_864
; %bb.859:
	v_cmp_lt_i16_e32 vcc_lo, 27, v2
	s_cbranch_vccz .LBB22_861
; %bb.860:
	v_mov_b32_e32 v3, s7
	s_mov_b32 s5, 0
	global_store_b32 v[0:1], v3, off
.LBB22_861:
	s_and_not1_b32 vcc_lo, exec_lo, s5
	s_cbranch_vccnz .LBB22_863
; %bb.862:
	v_mov_b32_e32 v3, s7
	global_store_b16 v[0:1], v3, off
.LBB22_863:
	s_mov_b32 s5, 0
.LBB22_864:
	s_delay_alu instid0(SALU_CYCLE_1)
	s_and_not1_b32 vcc_lo, exec_lo, s5
	s_cbranch_vccnz .LBB22_879
; %bb.865:
	v_cvt_f32_i32_e32 v3, s7
	v_mov_b32_e32 v4, 0x80
	s_delay_alu instid0(VALU_DEP_2) | instskip(NEXT) | instid1(VALU_DEP_1)
	v_readfirstlane_b32 s5, v3
	s_and_b32 s6, s5, 0x7fffffff
	s_delay_alu instid0(SALU_CYCLE_1)
	s_cmp_gt_u32 s6, 0x437fffff
	s_cbranch_scc1 .LBB22_878
; %bb.866:
	s_cmp_gt_u32 s6, 0x3bffffff
	s_cbranch_scc0 .LBB22_873
; %bb.867:
	s_bfe_u32 s6, s5, 0x10014
	s_mov_b32 s8, 0
	s_add_i32 s6, s5, s6
	s_delay_alu instid0(SALU_CYCLE_1) | instskip(NEXT) | instid1(SALU_CYCLE_1)
	s_add_i32 s6, s6, 0x487ffff
	s_lshr_b32 s9, s6, 20
	s_mov_b32 s6, -1
	s_branch .LBB22_874
.LBB22_868:
	s_mov_b32 s4, 0
	s_mov_b32 s0, -1
	s_branch .LBB22_684
.LBB22_869:
	s_cbranch_execnz .LBB22_871
; %bb.870:
	s_or_b32 s3, s3, exec_lo
	s_cbranch_execz .LBB22_836
	s_branch .LBB22_837
.LBB22_871:
	s_trap 2
	s_sendmsg_rtn_b32 s0, sendmsg(MSG_RTN_GET_DOORBELL)
	s_mov_b32 ttmp2, m0
	s_waitcnt lgkmcnt(0)
	s_and_b32 s0, s0, 0x3ff
	s_delay_alu instid0(SALU_CYCLE_1) | instskip(NEXT) | instid1(SALU_CYCLE_1)
	s_bitset1_b32 s0, 10
	s_mov_b32 m0, s0
	s_sendmsg sendmsg(MSG_INTERRUPT)
	s_mov_b32 m0, ttmp2
.LBB22_872:                             ; =>This Inner Loop Header: Depth=1
	s_sethalt 5
	s_branch .LBB22_872
.LBB22_873:
	s_mov_b32 s8, -1
	s_mov_b32 s6, 0
                                        ; implicit-def: $sgpr9
.LBB22_874:
	v_mov_b32_e32 v3, s9
	s_and_not1_b32 vcc_lo, exec_lo, s8
                                        ; implicit-def: $sgpr8
	s_cbranch_vccnz .LBB22_876
; %bb.875:
	v_add_f32_e64 v3, 0x46000000, |s5|
	s_mov_b32 s8, 0
	s_delay_alu instid0(VALU_DEP_1) | instskip(NEXT) | instid1(VALU_DEP_1)
	v_and_b32_e32 v3, 0xff, v3
	v_cmp_ne_u32_e64 s6, 0, v3
.LBB22_876:
	v_mov_b32_e32 v4, s8
	s_delay_alu instid0(VALU_DEP_2)
	s_and_not1_b32 vcc_lo, exec_lo, s6
	s_cbranch_vccnz .LBB22_878
; %bb.877:
	s_lshr_b32 s5, s5, 24
	s_delay_alu instid0(SALU_CYCLE_1) | instskip(NEXT) | instid1(SALU_CYCLE_1)
	s_and_b32 s5, s5, 0x80
	v_or_b32_e32 v4, s5, v3
.LBB22_878:
	global_store_b8 v[0:1], v4, off
.LBB22_879:
	s_mov_b32 s5, 0
.LBB22_880:
	s_delay_alu instid0(SALU_CYCLE_1)
	s_and_b32 vcc_lo, exec_lo, s5
	s_cbranch_vccz .LBB22_926
; %bb.881:
	v_cmp_lt_i16_e32 vcc_lo, 22, v2
	s_mov_b32 s4, -1
	s_cbranch_vccz .LBB22_919
; %bb.882:
	v_cmp_gt_i16_e32 vcc_lo, 24, v2
	s_cbranch_vccnz .LBB22_906
; %bb.883:
	v_cmp_lt_i16_e32 vcc_lo, 24, v2
	s_cbranch_vccz .LBB22_893
; %bb.884:
	v_cvt_f32_i32_e32 v3, s7
	v_mov_b32_e32 v4, 0x80
	s_delay_alu instid0(VALU_DEP_2) | instskip(NEXT) | instid1(VALU_DEP_1)
	v_readfirstlane_b32 s4, v3
	s_and_b32 s5, s4, 0x7fffffff
	s_delay_alu instid0(SALU_CYCLE_1)
	s_cmp_gt_u32 s5, 0x477fffff
	s_cbranch_scc1 .LBB22_892
; %bb.885:
	s_cmp_gt_u32 s5, 0x37ffffff
	s_cbranch_scc0 .LBB22_887
; %bb.886:
	s_bfe_u32 s5, s4, 0x10015
	s_mov_b32 s6, 0
	s_add_i32 s5, s4, s5
	s_delay_alu instid0(SALU_CYCLE_1) | instskip(NEXT) | instid1(SALU_CYCLE_1)
	s_add_i32 s5, s5, 0x88fffff
	s_lshr_b32 s8, s5, 21
	s_mov_b32 s5, -1
	s_branch .LBB22_888
.LBB22_887:
	s_mov_b32 s6, -1
	s_mov_b32 s5, 0
                                        ; implicit-def: $sgpr8
.LBB22_888:
	v_mov_b32_e32 v3, s8
	s_and_not1_b32 vcc_lo, exec_lo, s6
                                        ; implicit-def: $sgpr6
	s_cbranch_vccnz .LBB22_890
; %bb.889:
	v_add_f32_e64 v3, 0x42800000, |s4|
	s_mov_b32 s6, 0
	s_delay_alu instid0(VALU_DEP_1) | instskip(NEXT) | instid1(VALU_DEP_1)
	v_and_b32_e32 v3, 0xff, v3
	v_cmp_ne_u32_e64 s5, 0, v3
.LBB22_890:
	v_mov_b32_e32 v4, s6
	s_delay_alu instid0(VALU_DEP_2)
	s_and_not1_b32 vcc_lo, exec_lo, s5
	s_cbranch_vccnz .LBB22_892
; %bb.891:
	s_lshr_b32 s4, s4, 24
	s_delay_alu instid0(SALU_CYCLE_1) | instskip(NEXT) | instid1(SALU_CYCLE_1)
	s_and_b32 s4, s4, 0x80
	v_or_b32_e32 v4, s4, v3
.LBB22_892:
	s_mov_b32 s4, 0
	global_store_b8 v[0:1], v4, off
.LBB22_893:
	s_and_b32 vcc_lo, exec_lo, s4
	s_cbranch_vccz .LBB22_905
; %bb.894:
	v_cvt_f32_i32_e32 v3, s7
	s_delay_alu instid0(VALU_DEP_1) | instskip(NEXT) | instid1(VALU_DEP_1)
	v_readfirstlane_b32 s4, v3
	s_and_b32 s5, s4, 0x7fffffff
	s_delay_alu instid0(SALU_CYCLE_1)
	s_cmp_lt_u32 s5, 0x43f00000
	s_cbranch_scc0 .LBB22_897
; %bb.895:
	s_cmp_gt_u32 s5, 0x3c7fffff
	s_cbranch_scc0 .LBB22_898
; %bb.896:
	s_bfe_u32 s6, s4, 0x10014
	s_delay_alu instid0(SALU_CYCLE_1) | instskip(NEXT) | instid1(SALU_CYCLE_1)
	s_add_i32 s6, s4, s6
	s_add_i32 s6, s6, 0x407ffff
	s_delay_alu instid0(SALU_CYCLE_1)
	s_and_b32 s8, s6, 0xff00000
	s_lshr_b32 s6, s6, 20
	s_cmp_lg_u32 s8, 0x7f00000
	s_cselect_b32 s8, s6, 0x7e
	s_mov_b32 s6, 0
	s_branch .LBB22_899
.LBB22_897:
	s_mov_b32 s6, -1
                                        ; implicit-def: $vgpr4
	s_branch .LBB22_902
.LBB22_898:
	s_mov_b32 s6, -1
                                        ; implicit-def: $sgpr8
.LBB22_899:
	v_mov_b32_e32 v4, s8
	s_and_not1_b32 vcc_lo, exec_lo, s6
	s_cbranch_vccnz .LBB22_901
; %bb.900:
	v_add_f32_e64 v4, 0x46800000, |v3|
.LBB22_901:
	s_mov_b32 s6, 0
.LBB22_902:
	s_delay_alu instid0(SALU_CYCLE_1)
	s_and_not1_b32 vcc_lo, exec_lo, s6
	s_cbranch_vccnz .LBB22_904
; %bb.903:
	s_cmp_gt_u32 s5, 0x7f800000
	s_movk_i32 s5, 0x7f
	s_delay_alu instid0(SALU_CYCLE_1) | instskip(NEXT) | instid1(SALU_CYCLE_1)
	s_cselect_b32 s5, s5, 0x7e
	v_mov_b32_e32 v4, s5
.LBB22_904:
	s_lshr_b32 s4, s4, 24
	s_delay_alu instid0(SALU_CYCLE_1)
	s_and_b32 s4, s4, 0x80
	s_delay_alu instid0(VALU_DEP_1) | instid1(SALU_CYCLE_1)
	v_or_b32_e32 v3, s4, v4
	global_store_b8 v[0:1], v3, off
.LBB22_905:
	s_mov_b32 s4, 0
.LBB22_906:
	s_delay_alu instid0(SALU_CYCLE_1)
	s_and_not1_b32 vcc_lo, exec_lo, s4
	s_cbranch_vccnz .LBB22_918
; %bb.907:
	v_cvt_f32_i32_e32 v3, s7
	s_delay_alu instid0(VALU_DEP_1) | instskip(NEXT) | instid1(VALU_DEP_1)
	v_readfirstlane_b32 s4, v3
	s_and_b32 s5, s4, 0x7fffffff
	s_delay_alu instid0(SALU_CYCLE_1)
	s_cmp_lt_u32 s5, 0x47800000
	s_cbranch_scc0 .LBB22_910
; %bb.908:
	s_cmp_gt_u32 s5, 0x387fffff
	s_cbranch_scc0 .LBB22_911
; %bb.909:
	s_bfe_u32 s6, s4, 0x10015
	s_delay_alu instid0(SALU_CYCLE_1) | instskip(NEXT) | instid1(SALU_CYCLE_1)
	s_add_i32 s6, s4, s6
	s_add_i32 s6, s6, 0x80fffff
	s_delay_alu instid0(SALU_CYCLE_1)
	s_lshr_b32 s8, s6, 21
	s_mov_b32 s6, 0
	s_branch .LBB22_912
.LBB22_910:
	s_mov_b32 s6, -1
                                        ; implicit-def: $vgpr4
	s_branch .LBB22_915
.LBB22_911:
	s_mov_b32 s6, -1
                                        ; implicit-def: $sgpr8
.LBB22_912:
	v_mov_b32_e32 v4, s8
	s_and_not1_b32 vcc_lo, exec_lo, s6
	s_cbranch_vccnz .LBB22_914
; %bb.913:
	v_add_f32_e64 v4, 0x43000000, |v3|
.LBB22_914:
	s_mov_b32 s6, 0
.LBB22_915:
	s_delay_alu instid0(SALU_CYCLE_1)
	s_and_not1_b32 vcc_lo, exec_lo, s6
	s_cbranch_vccnz .LBB22_917
; %bb.916:
	s_cmp_gt_u32 s5, 0x7f800000
	s_movk_i32 s5, 0x7f
	s_delay_alu instid0(SALU_CYCLE_1) | instskip(NEXT) | instid1(SALU_CYCLE_1)
	s_cselect_b32 s5, s5, 0x7c
	v_mov_b32_e32 v4, s5
.LBB22_917:
	s_lshr_b32 s4, s4, 24
	s_delay_alu instid0(SALU_CYCLE_1)
	s_and_b32 s4, s4, 0x80
	s_delay_alu instid0(VALU_DEP_1) | instid1(SALU_CYCLE_1)
	v_or_b32_e32 v3, s4, v4
	global_store_b8 v[0:1], v3, off
.LBB22_918:
	s_mov_b32 s4, 0
.LBB22_919:
	s_delay_alu instid0(SALU_CYCLE_1)
	s_and_not1_b32 vcc_lo, exec_lo, s4
	s_mov_b32 s4, 0
	s_cbranch_vccnz .LBB22_926
; %bb.920:
	v_cmp_lt_i16_e32 vcc_lo, 14, v2
	s_mov_b32 s4, -1
	s_cbranch_vccz .LBB22_924
; %bb.921:
	v_cmp_eq_u16_e32 vcc_lo, 15, v2
	s_mov_b32 s0, -1
	s_cbranch_vccz .LBB22_923
; %bb.922:
	v_cvt_f32_i32_e32 v3, s7
	s_mov_b32 s0, 0
	s_delay_alu instid0(VALU_DEP_1) | instskip(NEXT) | instid1(VALU_DEP_1)
	v_bfe_u32 v4, v3, 16, 1
	v_add_nc_u32_e32 v3, v3, v4
	s_delay_alu instid0(VALU_DEP_1)
	v_add_nc_u32_e32 v3, 0x7fff, v3
	global_store_d16_hi_b16 v[0:1], v3, off
.LBB22_923:
	s_mov_b32 s4, 0
.LBB22_924:
	s_delay_alu instid0(SALU_CYCLE_1)
	s_and_b32 vcc_lo, exec_lo, s4
	s_mov_b32 s4, 0
	s_cbranch_vccz .LBB22_926
; %bb.925:
	v_cmp_ne_u16_e64 s0, 11, v2
	s_mov_b32 s4, -1
.LBB22_926:
	s_delay_alu instid0(VALU_DEP_1)
	s_and_b32 vcc_lo, exec_lo, s0
	s_cbranch_vccnz .LBB22_928
.LBB22_927:
	s_mov_b32 s0, 0
	s_branch .LBB22_684
.LBB22_928:
	s_cbranch_execnz .LBB22_930
; %bb.929:
	s_mov_b32 s4, 0
	s_or_b32 s3, s3, exec_lo
	s_branch .LBB22_927
.LBB22_930:
	s_trap 2
	s_sendmsg_rtn_b32 s0, sendmsg(MSG_RTN_GET_DOORBELL)
	s_mov_b32 ttmp2, m0
	s_waitcnt lgkmcnt(0)
	s_and_b32 s0, s0, 0x3ff
	s_delay_alu instid0(SALU_CYCLE_1) | instskip(NEXT) | instid1(SALU_CYCLE_1)
	s_bitset1_b32 s0, 10
	s_mov_b32 m0, s0
	s_sendmsg sendmsg(MSG_INTERRUPT)
	s_mov_b32 m0, ttmp2
.LBB22_931:                             ; =>This Inner Loop Header: Depth=1
	s_sethalt 5
	s_branch .LBB22_931
	.section	.rodata,"a",@progbits
	.p2align	6, 0x0
	.amdhsa_kernel _ZN2at6native32elementwise_kernel_manual_unrollILi128ELi4EZNS0_15gpu_kernel_implINS0_11FillFunctorIiEEEEvRNS_18TensorIteratorBaseERKT_EUlibE_EEviT1_
		.amdhsa_group_segment_fixed_size 0
		.amdhsa_private_segment_fixed_size 0
		.amdhsa_kernarg_size 32
		.amdhsa_user_sgpr_count 15
		.amdhsa_user_sgpr_dispatch_ptr 0
		.amdhsa_user_sgpr_queue_ptr 0
		.amdhsa_user_sgpr_kernarg_segment_ptr 1
		.amdhsa_user_sgpr_dispatch_id 0
		.amdhsa_user_sgpr_private_segment_size 0
		.amdhsa_wavefront_size32 1
		.amdhsa_uses_dynamic_stack 0
		.amdhsa_enable_private_segment 0
		.amdhsa_system_sgpr_workgroup_id_x 1
		.amdhsa_system_sgpr_workgroup_id_y 0
		.amdhsa_system_sgpr_workgroup_id_z 0
		.amdhsa_system_sgpr_workgroup_info 0
		.amdhsa_system_vgpr_workitem_id 0
		.amdhsa_next_free_vgpr 18
		.amdhsa_next_free_sgpr 39
		.amdhsa_reserve_vcc 1
		.amdhsa_float_round_mode_32 0
		.amdhsa_float_round_mode_16_64 0
		.amdhsa_float_denorm_mode_32 3
		.amdhsa_float_denorm_mode_16_64 3
		.amdhsa_dx10_clamp 1
		.amdhsa_ieee_mode 1
		.amdhsa_fp16_overflow 0
		.amdhsa_workgroup_processor_mode 1
		.amdhsa_memory_ordered 1
		.amdhsa_forward_progress 0
		.amdhsa_shared_vgpr_count 0
		.amdhsa_exception_fp_ieee_invalid_op 0
		.amdhsa_exception_fp_denorm_src 0
		.amdhsa_exception_fp_ieee_div_zero 0
		.amdhsa_exception_fp_ieee_overflow 0
		.amdhsa_exception_fp_ieee_underflow 0
		.amdhsa_exception_fp_ieee_inexact 0
		.amdhsa_exception_int_div_zero 0
	.end_amdhsa_kernel
	.section	.text._ZN2at6native32elementwise_kernel_manual_unrollILi128ELi4EZNS0_15gpu_kernel_implINS0_11FillFunctorIiEEEEvRNS_18TensorIteratorBaseERKT_EUlibE_EEviT1_,"axG",@progbits,_ZN2at6native32elementwise_kernel_manual_unrollILi128ELi4EZNS0_15gpu_kernel_implINS0_11FillFunctorIiEEEEvRNS_18TensorIteratorBaseERKT_EUlibE_EEviT1_,comdat
.Lfunc_end22:
	.size	_ZN2at6native32elementwise_kernel_manual_unrollILi128ELi4EZNS0_15gpu_kernel_implINS0_11FillFunctorIiEEEEvRNS_18TensorIteratorBaseERKT_EUlibE_EEviT1_, .Lfunc_end22-_ZN2at6native32elementwise_kernel_manual_unrollILi128ELi4EZNS0_15gpu_kernel_implINS0_11FillFunctorIiEEEEvRNS_18TensorIteratorBaseERKT_EUlibE_EEviT1_
                                        ; -- End function
	.section	.AMDGPU.csdata,"",@progbits
; Kernel info:
; codeLenInByte = 13816
; NumSgprs: 41
; NumVgprs: 18
; ScratchSize: 0
; MemoryBound: 0
; FloatMode: 240
; IeeeMode: 1
; LDSByteSize: 0 bytes/workgroup (compile time only)
; SGPRBlocks: 5
; VGPRBlocks: 2
; NumSGPRsForWavesPerEU: 41
; NumVGPRsForWavesPerEU: 18
; Occupancy: 16
; WaveLimiterHint : 0
; COMPUTE_PGM_RSRC2:SCRATCH_EN: 0
; COMPUTE_PGM_RSRC2:USER_SGPR: 15
; COMPUTE_PGM_RSRC2:TRAP_HANDLER: 0
; COMPUTE_PGM_RSRC2:TGID_X_EN: 1
; COMPUTE_PGM_RSRC2:TGID_Y_EN: 0
; COMPUTE_PGM_RSRC2:TGID_Z_EN: 0
; COMPUTE_PGM_RSRC2:TIDIG_COMP_CNT: 0
	.section	.text._ZN2at6native32elementwise_kernel_manual_unrollILi128ELi4EZNS0_15gpu_kernel_implINS0_11FillFunctorIiEEEEvRNS_18TensorIteratorBaseERKT_EUlibE0_EEviT1_,"axG",@progbits,_ZN2at6native32elementwise_kernel_manual_unrollILi128ELi4EZNS0_15gpu_kernel_implINS0_11FillFunctorIiEEEEvRNS_18TensorIteratorBaseERKT_EUlibE0_EEviT1_,comdat
	.protected	_ZN2at6native32elementwise_kernel_manual_unrollILi128ELi4EZNS0_15gpu_kernel_implINS0_11FillFunctorIiEEEEvRNS_18TensorIteratorBaseERKT_EUlibE0_EEviT1_ ; -- Begin function _ZN2at6native32elementwise_kernel_manual_unrollILi128ELi4EZNS0_15gpu_kernel_implINS0_11FillFunctorIiEEEEvRNS_18TensorIteratorBaseERKT_EUlibE0_EEviT1_
	.globl	_ZN2at6native32elementwise_kernel_manual_unrollILi128ELi4EZNS0_15gpu_kernel_implINS0_11FillFunctorIiEEEEvRNS_18TensorIteratorBaseERKT_EUlibE0_EEviT1_
	.p2align	8
	.type	_ZN2at6native32elementwise_kernel_manual_unrollILi128ELi4EZNS0_15gpu_kernel_implINS0_11FillFunctorIiEEEEvRNS_18TensorIteratorBaseERKT_EUlibE0_EEviT1_,@function
_ZN2at6native32elementwise_kernel_manual_unrollILi128ELi4EZNS0_15gpu_kernel_implINS0_11FillFunctorIiEEEEvRNS_18TensorIteratorBaseERKT_EUlibE0_EEviT1_: ; @_ZN2at6native32elementwise_kernel_manual_unrollILi128ELi4EZNS0_15gpu_kernel_implINS0_11FillFunctorIiEEEEvRNS_18TensorIteratorBaseERKT_EUlibE0_EEviT1_
; %bb.0:
	s_clause 0x1
	s_load_b32 s24, s[0:1], 0x8
	s_load_b32 s48, s[0:1], 0x0
	v_lshl_or_b32 v9, s15, 9, v0
	s_or_b32 s0, s0, 8
	s_mov_b32 s20, -1
	s_mov_b32 s3, 0
	s_mov_b32 s6, 0
	v_or_b32_e32 v4, 0x180, v9
	s_mov_b32 s2, exec_lo
	s_waitcnt lgkmcnt(0)
	s_add_i32 s25, s24, -1
	s_delay_alu instid0(SALU_CYCLE_1)
	s_cmp_gt_u32 s25, 1
	s_cselect_b32 s26, -1, 0
	v_cmpx_le_i32_e64 s48, v4
	s_xor_b32 s27, exec_lo, s2
	s_cbranch_execz .LBB23_159
; %bb.1:
	s_clause 0x1
	s_load_b128 s[4:7], s[0:1], 0x108
	s_load_b64 s[14:15], s[0:1], 0xc4
	s_cmp_lg_u32 s24, 0
	s_clause 0x1
	s_load_b128 s[8:11], s[0:1], 0x4
	s_load_b64 s[16:17], s[0:1], 0x14
	s_cselect_b32 s50, -1, 0
	s_add_u32 s18, s0, 0xc4
	s_addc_u32 s19, s1, 0
	s_min_u32 s49, s25, 15
	s_cmp_gt_u32 s24, 1
	s_movk_i32 s21, 0x7f
	s_cselect_b32 s47, -1, 0
	s_movk_i32 s22, 0x7c
	s_mov_b32 s53, 0
	s_mov_b32 s51, 0
	s_mov_b32 s52, exec_lo
	s_waitcnt lgkmcnt(0)
	v_cvt_f32_i32_e32 v4, s6
	s_ashr_i32 s13, s6, 31
	s_mov_b32 s12, s6
	s_delay_alu instid0(SALU_CYCLE_1) | instskip(NEXT) | instid1(VALU_DEP_1)
	s_cmp_lg_u64 s[12:13], 0
	v_bfe_u32 v2, v4, 23, 8
	v_and_b32_e32 v0, 0x3fffff, v4
	v_and_b32_e32 v1, 0x400000, v4
	v_readfirstlane_b32 s23, v4
	s_cselect_b32 s35, -1, 0
	v_add_f32_e64 v15, 0x46000000, |v4|
	v_or_b32_e32 v0, v2, v0
	v_cmp_ne_u32_e32 vcc_lo, 0, v1
	s_and_b32 s40, s23, 0x7fffffff
	v_add_f32_e64 v14, 0x42800000, |v4|
	v_bfe_u32 v10, v4, 16, 1
	v_cmp_ne_u32_e64 s2, 0, v0
	v_cvt_f64_i32_e32 v[0:1], s6
	v_lshrrev_b32_e32 v5, 24, v4
	v_readfirstlane_b32 s29, v14
	v_lshrrev_b32_e32 v3, 23, v4
	s_and_b32 s30, vcc_lo, s2
	s_cmp_lt_u32 s40, 0x43800000
	v_readfirstlane_b32 s2, v15
	s_cselect_b32 s45, -1, 0
	s_cmp_gt_u32 s40, 0x3bffffff
	v_add_f32_e64 v6, 0x46800000, |v4|
	s_cselect_b32 s43, -1, 0
	s_bfe_u32 s28, s23, 0x10014
	s_and_b32 s2, s2, 0xff
	s_add_i32 s31, s23, s28
	v_add_f32_e64 v7, 0x43000000, |v4|
	s_add_i32 s28, s31, 0x487ffff
	v_cvt_f16_f32_e32 v8, v4
	s_lshr_b32 s44, s28, 20
	s_cmp_lg_u32 s2, 0
	v_and_b32_e32 v13, 0x80, v5
	s_cselect_b32 s46, -1, 0
	s_cmp_gt_u32 s40, 0x477fffff
	v_cndmask_b32_e64 v5, 0, 1, s30
	s_cselect_b32 s28, -1, 0
	s_cmp_lt_u32 s40, 0x47800000
	v_cndmask_b32_e64 v11, 0, 1, s35
	s_cselect_b32 s41, -1, 0
	s_cmp_gt_u32 s40, 0x37ffffff
	v_add_nc_u32_e32 v16, v3, v5
	s_cselect_b32 s37, -1, 0
	s_bfe_u32 s2, s23, 0x10015
	s_and_b32 s29, s29, 0xff
	s_add_i32 s23, s23, s2
	v_cmp_eq_u32_e64 s2, 0xff, v2
	s_add_i32 s33, s23, 0x88fffff
	v_add_nc_u32_e32 v2, v4, v10
	s_lshr_b32 s39, s33, 21
	s_cmp_lg_u32 s29, 0
	v_readfirstlane_b32 s33, v6
	s_cselect_b32 s42, -1, 0
	s_cmp_gt_u32 s40, 0x43efffff
	v_add_nc_u32_e32 v2, 0x7fff, v2
	s_cselect_b32 s34, -1, 0
	s_cmp_lt_u32 s40, 0x3c800000
	v_readfirstlane_b32 s29, v7
	s_cselect_b32 s36, -1, 0
	s_add_i32 s31, s31, 0x407ffff
	v_lshrrev_b32_e32 v12, 16, v2
	s_and_b32 s38, s31, 0xff00000
	s_lshr_b32 s31, s31, 20
	s_cmp_lg_u32 s38, 0x7f00000
	v_and_b32_e32 v10, 0xffff, v8
	s_cselect_b32 s38, s31, 0x7e
	s_cmp_lt_u32 s40, 0x38800000
	s_cselect_b32 s30, -1, 0
	s_add_i32 s23, s23, 0x80fffff
	s_delay_alu instid0(SALU_CYCLE_1)
	s_lshr_b32 s31, s23, 21
	s_cmp_gt_u32 s40, 0x7f800000
	s_cselect_b32 s40, s21, 0x7e
	s_cselect_b32 s35, 0x7f, s22
	v_cmpx_gt_i32_e64 s48, v9
	s_cbranch_execz .LBB23_110
; %bb.2:
	s_and_not1_b32 vcc_lo, exec_lo, s26
	s_cbranch_vccnz .LBB23_7
; %bb.3:
	v_mov_b32_e32 v2, 0
	s_and_not1_b32 vcc_lo, exec_lo, s50
	s_cbranch_vccnz .LBB23_12
; %bb.4:
	s_add_i32 s54, s49, 1
	s_cmp_eq_u32 s25, 2
	s_cbranch_scc1 .LBB23_8
; %bb.5:
	v_dual_mov_b32 v2, 0 :: v_dual_mov_b32 v3, v9
	s_and_b32 s51, s54, 28
	s_mov_b32 s55, 0
	s_mov_b64 s[20:21], s[0:1]
	s_mov_b64 s[22:23], s[18:19]
.LBB23_6:                               ; =>This Inner Loop Header: Depth=1
	s_clause 0x1
	s_load_b256 s[56:63], s[20:21], 0x4
	s_load_b128 s[64:67], s[20:21], 0x24
	s_load_b128 s[68:71], s[22:23], 0x0
	s_add_u32 s20, s20, 48
	s_addc_u32 s21, s21, 0
	s_add_i32 s55, s55, 4
	s_add_u32 s22, s22, 16
	s_addc_u32 s23, s23, 0
	s_cmp_lg_u32 s51, s55
	s_waitcnt lgkmcnt(0)
	v_mul_hi_u32 v5, s57, v3
	s_delay_alu instid0(VALU_DEP_1) | instskip(NEXT) | instid1(VALU_DEP_1)
	v_add_nc_u32_e32 v5, v3, v5
	v_lshrrev_b32_e32 v5, s58, v5
	s_delay_alu instid0(VALU_DEP_1) | instskip(SKIP_1) | instid1(VALU_DEP_2)
	v_mul_hi_u32 v6, s60, v5
	v_mul_lo_u32 v18, v5, s56
	v_add_nc_u32_e32 v6, v5, v6
	s_delay_alu instid0(VALU_DEP_2) | instskip(NEXT) | instid1(VALU_DEP_2)
	v_sub_nc_u32_e32 v18, v3, v18
	v_lshrrev_b32_e32 v6, s61, v6
	s_delay_alu instid0(VALU_DEP_2) | instskip(NEXT) | instid1(VALU_DEP_2)
	v_mul_lo_u32 v18, v18, s68
	v_mul_hi_u32 v7, s63, v6
	v_mul_lo_u32 v19, v6, s59
	s_delay_alu instid0(VALU_DEP_2) | instskip(NEXT) | instid1(VALU_DEP_2)
	v_add_nc_u32_e32 v7, v6, v7
	v_sub_nc_u32_e32 v5, v5, v19
	s_delay_alu instid0(VALU_DEP_2) | instskip(NEXT) | instid1(VALU_DEP_2)
	v_lshrrev_b32_e32 v7, s64, v7
	v_mul_lo_u32 v5, v5, s69
	s_delay_alu instid0(VALU_DEP_2) | instskip(NEXT) | instid1(VALU_DEP_2)
	v_mul_hi_u32 v17, s66, v7
	v_add3_u32 v2, v18, v2, v5
	s_delay_alu instid0(VALU_DEP_2) | instskip(NEXT) | instid1(VALU_DEP_1)
	v_add_nc_u32_e32 v17, v7, v17
	v_lshrrev_b32_e32 v3, s67, v17
	v_mul_lo_u32 v17, v7, s62
	s_delay_alu instid0(VALU_DEP_2) | instskip(NEXT) | instid1(VALU_DEP_2)
	v_mul_lo_u32 v20, v3, s65
	v_sub_nc_u32_e32 v6, v6, v17
	s_delay_alu instid0(VALU_DEP_2) | instskip(NEXT) | instid1(VALU_DEP_2)
	v_sub_nc_u32_e32 v7, v7, v20
	v_mul_lo_u32 v6, v6, s70
	s_delay_alu instid0(VALU_DEP_2) | instskip(NEXT) | instid1(VALU_DEP_1)
	v_mul_lo_u32 v7, v7, s71
	v_add3_u32 v2, v6, v2, v7
	s_cbranch_scc1 .LBB23_6
	s_branch .LBB23_9
.LBB23_7:
                                        ; implicit-def: $vgpr2
	s_and_not1_b32 vcc_lo, exec_lo, s20
	s_cbranch_vccz .LBB23_13
	s_branch .LBB23_15
.LBB23_8:
	v_mov_b32_e32 v3, v9
.LBB23_9:
	s_and_b32 s54, s54, 3
	s_delay_alu instid0(SALU_CYCLE_1)
	s_cmp_eq_u32 s54, 0
	s_cbranch_scc1 .LBB23_12
; %bb.10:
	s_lshl_b32 s20, s51, 2
	s_mul_i32 s22, s51, 12
	s_add_u32 s20, s20, s0
	s_addc_u32 s21, s1, 0
	s_add_u32 s20, s20, 0xc4
	s_addc_u32 s21, s21, 0
	;; [unrolled: 2-line block ×3, first 2 shown]
	.p2align	6
.LBB23_11:                              ; =>This Inner Loop Header: Depth=1
	s_clause 0x1
	s_load_b64 s[56:57], s[22:23], 0x4
	s_load_b32 s51, s[22:23], 0xc
	s_load_b32 s55, s[20:21], 0x0
	s_add_u32 s22, s22, 12
	s_addc_u32 s23, s23, 0
	s_add_u32 s20, s20, 4
	s_addc_u32 s21, s21, 0
	s_add_i32 s54, s54, -1
	s_delay_alu instid0(SALU_CYCLE_1) | instskip(SKIP_2) | instid1(VALU_DEP_1)
	s_cmp_lg_u32 s54, 0
	s_waitcnt lgkmcnt(0)
	v_mul_hi_u32 v5, s57, v3
	v_add_nc_u32_e32 v5, v3, v5
	s_delay_alu instid0(VALU_DEP_1) | instskip(NEXT) | instid1(VALU_DEP_1)
	v_lshrrev_b32_e32 v7, s51, v5
	v_mul_lo_u32 v5, v7, s56
	s_delay_alu instid0(VALU_DEP_1) | instskip(NEXT) | instid1(VALU_DEP_1)
	v_sub_nc_u32_e32 v3, v3, v5
	v_mad_u64_u32 v[5:6], null, v3, s55, v[2:3]
	s_delay_alu instid0(VALU_DEP_1)
	v_dual_mov_b32 v3, v7 :: v_dual_mov_b32 v2, v5
	s_cbranch_scc1 .LBB23_11
.LBB23_12:
	s_cbranch_execnz .LBB23_15
.LBB23_13:
	v_mul_hi_u32 v2, s9, v9
	s_and_not1_b32 vcc_lo, exec_lo, s47
	s_delay_alu instid0(VALU_DEP_1) | instskip(NEXT) | instid1(VALU_DEP_1)
	v_add_nc_u32_e32 v2, v9, v2
	v_lshrrev_b32_e32 v3, s10, v2
	s_delay_alu instid0(VALU_DEP_1) | instskip(NEXT) | instid1(VALU_DEP_1)
	v_mul_lo_u32 v2, v3, s8
	v_sub_nc_u32_e32 v2, v9, v2
	s_delay_alu instid0(VALU_DEP_1)
	v_mul_lo_u32 v2, v2, s14
	s_cbranch_vccnz .LBB23_15
; %bb.14:
	v_mul_hi_u32 v5, s16, v3
	s_delay_alu instid0(VALU_DEP_1) | instskip(NEXT) | instid1(VALU_DEP_1)
	v_add_nc_u32_e32 v5, v3, v5
	v_lshrrev_b32_e32 v5, s17, v5
	s_delay_alu instid0(VALU_DEP_1) | instskip(NEXT) | instid1(VALU_DEP_1)
	v_mul_lo_u32 v5, v5, s11
	v_sub_nc_u32_e32 v3, v3, v5
	s_delay_alu instid0(VALU_DEP_1) | instskip(NEXT) | instid1(VALU_DEP_1)
	v_mad_u64_u32 v[5:6], null, v3, s15, v[2:3]
	v_mov_b32_e32 v2, v5
.LBB23_15:
	v_and_b32_e64 v17, 0xff, s7
	s_delay_alu instid0(VALU_DEP_2) | instskip(NEXT) | instid1(VALU_DEP_1)
	v_add_co_u32 v6, s21, s4, v2
	v_add_co_ci_u32_e64 v7, null, s5, 0, s21
	s_delay_alu instid0(VALU_DEP_3)
	v_cmp_gt_i16_e32 vcc_lo, 11, v17
	s_mov_b32 s20, 0
	s_mov_b32 s22, -1
	s_mov_b32 s21, 0
	s_cbranch_vccnz .LBB23_69
; %bb.16:
	v_cmp_lt_i16_e32 vcc_lo, 25, v17
	s_cbranch_vccz .LBB23_44
; %bb.17:
	v_cmp_lt_i16_e32 vcc_lo, 28, v17
	s_cbranch_vccz .LBB23_30
	;; [unrolled: 3-line block ×4, first 2 shown]
; %bb.20:
	v_cmp_eq_u16_e32 vcc_lo, 46, v17
	s_mov_b32 s22, 0
	s_mov_b32 s20, -1
	s_cbranch_vccz .LBB23_22
; %bb.21:
	s_mov_b32 s21, -1
	s_mov_b32 s20, 0
	global_store_b32 v[6:7], v12, off
.LBB23_22:
	s_and_b32 vcc_lo, exec_lo, s22
	s_cbranch_vccz .LBB23_25
; %bb.23:
	v_cmp_eq_u16_e32 vcc_lo, 44, v17
	s_mov_b32 s20, -1
	s_cbranch_vccz .LBB23_25
; %bb.24:
	v_cndmask_b32_e64 v2, v16, 0xff, s2
	s_mov_b32 s21, -1
	s_mov_b32 s20, 0
	global_store_b8 v[6:7], v2, off
.LBB23_25:
	s_mov_b32 s22, 0
.LBB23_26:
	s_delay_alu instid0(SALU_CYCLE_1)
	s_and_b32 vcc_lo, exec_lo, s22
	s_cbranch_vccz .LBB23_29
; %bb.27:
	v_cmp_eq_u16_e32 vcc_lo, 29, v17
	s_mov_b32 s20, -1
	s_cbranch_vccz .LBB23_29
; %bb.28:
	v_dual_mov_b32 v2, s12 :: v_dual_mov_b32 v3, s13
	s_mov_b32 s21, -1
	s_mov_b32 s20, 0
	global_store_b64 v[6:7], v[2:3], off
.LBB23_29:
	s_mov_b32 s22, 0
.LBB23_30:
	s_delay_alu instid0(SALU_CYCLE_1)
	s_and_b32 vcc_lo, exec_lo, s22
	s_cbranch_vccz .LBB23_43
; %bb.31:
	v_cmp_gt_i16_e32 vcc_lo, 27, v17
	s_mov_b32 s21, -1
	s_cbranch_vccnz .LBB23_37
; %bb.32:
	v_cmp_lt_i16_e32 vcc_lo, 27, v17
	s_cbranch_vccz .LBB23_34
; %bb.33:
	v_mov_b32_e32 v2, s6
	s_mov_b32 s21, 0
	global_store_b32 v[6:7], v2, off
.LBB23_34:
	s_and_not1_b32 vcc_lo, exec_lo, s21
	s_cbranch_vccnz .LBB23_36
; %bb.35:
	v_mov_b32_e32 v2, s6
	global_store_b16 v[6:7], v2, off
.LBB23_36:
	s_mov_b32 s21, 0
.LBB23_37:
	s_delay_alu instid0(SALU_CYCLE_1)
	s_and_not1_b32 vcc_lo, exec_lo, s21
	s_cbranch_vccnz .LBB23_42
; %bb.38:
	v_mov_b32_e32 v2, 0x80
	s_and_not1_b32 vcc_lo, exec_lo, s45
	s_cbranch_vccnz .LBB23_41
; %bb.39:
	v_mov_b32_e32 v2, 0
	s_or_b32 s21, s43, s46
	s_delay_alu instid0(SALU_CYCLE_1)
	s_and_not1_b32 vcc_lo, exec_lo, s21
	s_cbranch_vccnz .LBB23_41
; %bb.40:
	v_cndmask_b32_e64 v2, v15, s44, s43
	s_delay_alu instid0(VALU_DEP_1)
	v_or_b32_e32 v2, v2, v13
.LBB23_41:
	global_store_b8 v[6:7], v2, off
.LBB23_42:
	s_mov_b32 s21, -1
.LBB23_43:
	s_mov_b32 s22, 0
.LBB23_44:
	s_delay_alu instid0(SALU_CYCLE_1)
	s_and_b32 vcc_lo, exec_lo, s22
	s_cbranch_vccz .LBB23_66
; %bb.45:
	v_cmp_lt_i16_e32 vcc_lo, 22, v17
	s_mov_b32 s22, -1
	s_cbranch_vccz .LBB23_58
; %bb.46:
	v_cmp_gt_i16_e32 vcc_lo, 24, v17
	s_mov_b32 s21, -1
	s_cbranch_vccnz .LBB23_55
; %bb.47:
	v_cmp_lt_i16_e32 vcc_lo, 24, v17
	s_cbranch_vccz .LBB23_52
; %bb.48:
	v_mov_b32_e32 v2, 0x80
	s_and_not1_b32 vcc_lo, exec_lo, s41
	s_cbranch_vccnz .LBB23_51
; %bb.49:
	v_mov_b32_e32 v2, 0
	s_or_b32 s21, s37, s42
	s_delay_alu instid0(SALU_CYCLE_1)
	s_and_not1_b32 vcc_lo, exec_lo, s21
	s_cbranch_vccnz .LBB23_51
; %bb.50:
	v_cndmask_b32_e64 v2, v14, s39, s37
	s_delay_alu instid0(VALU_DEP_1)
	v_or_b32_e32 v2, v2, v13
.LBB23_51:
	s_mov_b32 s21, 0
	global_store_b8 v[6:7], v2, off
.LBB23_52:
	s_and_b32 vcc_lo, exec_lo, s21
	s_cbranch_vccz .LBB23_54
; %bb.53:
	s_and_b32 s21, s36, exec_lo
	s_cselect_b32 s21, s33, s38
	s_and_b32 s22, s34, exec_lo
	s_cselect_b32 s21, s40, s21
	s_delay_alu instid0(SALU_CYCLE_1)
	v_or_b32_e32 v2, s21, v13
	global_store_b8 v[6:7], v2, off
.LBB23_54:
	s_mov_b32 s21, 0
.LBB23_55:
	s_delay_alu instid0(SALU_CYCLE_1)
	s_and_not1_b32 vcc_lo, exec_lo, s21
	s_cbranch_vccnz .LBB23_57
; %bb.56:
	s_and_b32 s21, s30, exec_lo
	s_cselect_b32 s21, s29, s31
	s_and_b32 s22, s28, exec_lo
	s_cselect_b32 s21, s35, s21
	s_delay_alu instid0(SALU_CYCLE_1)
	v_or_b32_e32 v2, s21, v13
	global_store_b8 v[6:7], v2, off
.LBB23_57:
	s_mov_b32 s22, 0
	s_mov_b32 s21, -1
.LBB23_58:
	s_and_not1_b32 vcc_lo, exec_lo, s22
	s_cbranch_vccnz .LBB23_66
; %bb.59:
	v_cmp_lt_i16_e32 vcc_lo, 14, v17
	s_mov_b32 s22, -1
	s_cbranch_vccz .LBB23_63
; %bb.60:
	v_cmp_eq_u16_e32 vcc_lo, 15, v17
	s_mov_b32 s20, -1
	s_cbranch_vccz .LBB23_62
; %bb.61:
	s_mov_b32 s21, -1
	s_mov_b32 s20, 0
	global_store_b16 v[6:7], v12, off
.LBB23_62:
	s_mov_b32 s22, 0
.LBB23_63:
	s_delay_alu instid0(SALU_CYCLE_1)
	s_and_b32 vcc_lo, exec_lo, s22
	s_cbranch_vccz .LBB23_66
; %bb.64:
	v_cmp_eq_u16_e32 vcc_lo, 11, v17
	s_mov_b32 s20, -1
	s_cbranch_vccz .LBB23_66
; %bb.65:
	s_mov_b32 s21, -1
	s_mov_b32 s20, 0
	global_store_b8 v[6:7], v11, off
.LBB23_66:
.LBB23_67:
	s_and_not1_b32 vcc_lo, exec_lo, s21
	s_cbranch_vccnz .LBB23_108
.LBB23_68:
	v_add_nc_u32_e32 v9, 0x80, v9
	s_mov_b32 s21, -1
	s_branch .LBB23_109
.LBB23_69:
	s_and_b32 vcc_lo, exec_lo, s22
	s_cbranch_vccz .LBB23_67
; %bb.70:
	v_cmp_gt_i16_e32 vcc_lo, 5, v17
	s_mov_b32 s21, -1
	s_cbranch_vccnz .LBB23_91
; %bb.71:
	v_cmp_gt_i16_e32 vcc_lo, 8, v17
	s_cbranch_vccnz .LBB23_81
; %bb.72:
	v_cmp_gt_i16_e32 vcc_lo, 9, v17
	s_cbranch_vccnz .LBB23_78
; %bb.73:
	v_cmp_lt_i16_e32 vcc_lo, 9, v17
	s_cbranch_vccz .LBB23_75
; %bb.74:
	v_mov_b32_e32 v2, 0
	s_mov_b32 s21, 0
	s_delay_alu instid0(VALU_DEP_1)
	v_mov_b32_e32 v3, v2
	global_store_b128 v[6:7], v[0:3], off
.LBB23_75:
	s_and_not1_b32 vcc_lo, exec_lo, s21
	s_cbranch_vccnz .LBB23_77
; %bb.76:
	v_mov_b32_e32 v5, 0
	global_store_b64 v[6:7], v[4:5], off
.LBB23_77:
	s_mov_b32 s21, 0
.LBB23_78:
	s_delay_alu instid0(SALU_CYCLE_1)
	s_and_not1_b32 vcc_lo, exec_lo, s21
	s_cbranch_vccnz .LBB23_80
; %bb.79:
	global_store_b32 v[6:7], v10, off
.LBB23_80:
	s_mov_b32 s21, 0
.LBB23_81:
	s_delay_alu instid0(SALU_CYCLE_1)
	s_and_not1_b32 vcc_lo, exec_lo, s21
	s_cbranch_vccnz .LBB23_90
; %bb.82:
	v_cmp_gt_i16_e32 vcc_lo, 6, v17
	s_mov_b32 s21, -1
	s_cbranch_vccnz .LBB23_88
; %bb.83:
	v_cmp_lt_i16_e32 vcc_lo, 6, v17
	s_cbranch_vccz .LBB23_85
; %bb.84:
	s_mov_b32 s21, 0
	global_store_b64 v[6:7], v[0:1], off
.LBB23_85:
	s_and_not1_b32 vcc_lo, exec_lo, s21
	s_cbranch_vccnz .LBB23_87
; %bb.86:
	global_store_b32 v[6:7], v4, off
.LBB23_87:
	s_mov_b32 s21, 0
.LBB23_88:
	s_delay_alu instid0(SALU_CYCLE_1)
	s_and_not1_b32 vcc_lo, exec_lo, s21
	s_cbranch_vccnz .LBB23_90
; %bb.89:
	global_store_b16 v[6:7], v8, off
.LBB23_90:
	s_mov_b32 s21, 0
.LBB23_91:
	s_delay_alu instid0(SALU_CYCLE_1)
	s_and_not1_b32 vcc_lo, exec_lo, s21
	s_cbranch_vccnz .LBB23_107
; %bb.92:
	v_cmp_gt_i16_e32 vcc_lo, 2, v17
	s_mov_b32 s21, -1
	s_cbranch_vccnz .LBB23_102
; %bb.93:
	v_cmp_gt_i16_e32 vcc_lo, 3, v17
	s_cbranch_vccnz .LBB23_99
; %bb.94:
	v_cmp_lt_i16_e32 vcc_lo, 3, v17
	s_cbranch_vccz .LBB23_96
; %bb.95:
	v_dual_mov_b32 v2, s12 :: v_dual_mov_b32 v3, s13
	s_mov_b32 s21, 0
	global_store_b64 v[6:7], v[2:3], off
.LBB23_96:
	s_and_not1_b32 vcc_lo, exec_lo, s21
	s_cbranch_vccnz .LBB23_98
; %bb.97:
	v_mov_b32_e32 v2, s6
	global_store_b32 v[6:7], v2, off
.LBB23_98:
	s_mov_b32 s21, 0
.LBB23_99:
	s_delay_alu instid0(SALU_CYCLE_1)
	s_and_not1_b32 vcc_lo, exec_lo, s21
	s_cbranch_vccnz .LBB23_101
; %bb.100:
	v_mov_b32_e32 v2, s6
	global_store_b16 v[6:7], v2, off
.LBB23_101:
	s_mov_b32 s21, 0
.LBB23_102:
	s_delay_alu instid0(SALU_CYCLE_1)
	s_and_not1_b32 vcc_lo, exec_lo, s21
	s_cbranch_vccnz .LBB23_107
; %bb.103:
	v_cmp_lt_i16_e32 vcc_lo, 0, v17
	s_mov_b32 s21, -1
	s_cbranch_vccz .LBB23_105
; %bb.104:
	v_mov_b32_e32 v2, s6
	s_mov_b32 s21, 0
	global_store_b8 v[6:7], v2, off
.LBB23_105:
	s_and_not1_b32 vcc_lo, exec_lo, s21
	s_cbranch_vccnz .LBB23_107
; %bb.106:
	v_mov_b32_e32 v2, s6
	global_store_b8 v[6:7], v2, off
.LBB23_107:
	s_branch .LBB23_68
.LBB23_108:
	s_mov_b32 s21, 0
                                        ; implicit-def: $vgpr9
.LBB23_109:
	s_and_b32 s51, s20, exec_lo
	s_or_not1_b32 s20, s21, exec_lo
.LBB23_110:
	s_or_b32 exec_lo, exec_lo, s52
	s_mov_b32 s21, 0
                                        ; implicit-def: $vgpr17
                                        ; implicit-def: $vgpr6_vgpr7
	s_and_saveexec_b32 s52, s20
	s_cbranch_execz .LBB23_117
; %bb.111:
	s_mov_b32 s22, -1
	s_mov_b32 s53, s51
	s_mov_b32 s54, exec_lo
	v_cmpx_gt_i32_e64 s48, v9
	s_cbranch_execz .LBB23_364
; %bb.112:
	s_and_not1_b32 vcc_lo, exec_lo, s26
	s_cbranch_vccnz .LBB23_219
; %bb.113:
	v_mov_b32_e32 v2, 0
	s_and_not1_b32 vcc_lo, exec_lo, s50
	s_cbranch_vccnz .LBB23_226
; %bb.114:
	s_add_i32 s55, s49, 1
	s_cmp_eq_u32 s25, 2
	s_mov_b32 s53, 0
	s_cbranch_scc1 .LBB23_222
; %bb.115:
	v_dual_mov_b32 v2, 0 :: v_dual_mov_b32 v3, v9
	s_and_b32 s53, s55, 28
	s_mov_b32 s56, 0
	s_mov_b64 s[20:21], s[0:1]
	s_mov_b64 s[22:23], s[18:19]
.LBB23_116:                             ; =>This Inner Loop Header: Depth=1
	s_clause 0x1
	s_load_b256 s[60:67], s[20:21], 0x4
	s_load_b128 s[68:71], s[20:21], 0x24
	s_load_b128 s[72:75], s[22:23], 0x0
	s_add_u32 s20, s20, 48
	s_addc_u32 s21, s21, 0
	s_add_i32 s56, s56, 4
	s_add_u32 s22, s22, 16
	s_addc_u32 s23, s23, 0
	s_cmp_eq_u32 s53, s56
	s_waitcnt lgkmcnt(0)
	v_mul_hi_u32 v5, s61, v3
	s_delay_alu instid0(VALU_DEP_1) | instskip(NEXT) | instid1(VALU_DEP_1)
	v_add_nc_u32_e32 v5, v3, v5
	v_lshrrev_b32_e32 v5, s62, v5
	s_delay_alu instid0(VALU_DEP_1) | instskip(SKIP_1) | instid1(VALU_DEP_2)
	v_mul_hi_u32 v6, s64, v5
	v_mul_lo_u32 v18, v5, s60
	v_add_nc_u32_e32 v6, v5, v6
	s_delay_alu instid0(VALU_DEP_2) | instskip(NEXT) | instid1(VALU_DEP_2)
	v_sub_nc_u32_e32 v18, v3, v18
	v_lshrrev_b32_e32 v6, s65, v6
	s_delay_alu instid0(VALU_DEP_2) | instskip(NEXT) | instid1(VALU_DEP_2)
	v_mul_lo_u32 v18, v18, s72
	v_mul_hi_u32 v7, s67, v6
	v_mul_lo_u32 v19, v6, s63
	s_delay_alu instid0(VALU_DEP_2) | instskip(NEXT) | instid1(VALU_DEP_2)
	v_add_nc_u32_e32 v7, v6, v7
	v_sub_nc_u32_e32 v5, v5, v19
	s_delay_alu instid0(VALU_DEP_2) | instskip(NEXT) | instid1(VALU_DEP_2)
	v_lshrrev_b32_e32 v7, s68, v7
	v_mul_lo_u32 v5, v5, s73
	s_delay_alu instid0(VALU_DEP_2) | instskip(NEXT) | instid1(VALU_DEP_2)
	v_mul_hi_u32 v17, s70, v7
	v_add3_u32 v2, v18, v2, v5
	s_delay_alu instid0(VALU_DEP_2) | instskip(NEXT) | instid1(VALU_DEP_1)
	v_add_nc_u32_e32 v17, v7, v17
	v_lshrrev_b32_e32 v3, s71, v17
	v_mul_lo_u32 v17, v7, s66
	s_delay_alu instid0(VALU_DEP_2) | instskip(NEXT) | instid1(VALU_DEP_2)
	v_mul_lo_u32 v20, v3, s69
	v_sub_nc_u32_e32 v6, v6, v17
	s_delay_alu instid0(VALU_DEP_2) | instskip(NEXT) | instid1(VALU_DEP_2)
	v_sub_nc_u32_e32 v7, v7, v20
	v_mul_lo_u32 v6, v6, s74
	s_delay_alu instid0(VALU_DEP_2) | instskip(NEXT) | instid1(VALU_DEP_1)
	v_mul_lo_u32 v7, v7, s75
	v_add3_u32 v2, v6, v2, v7
	s_cbranch_scc0 .LBB23_116
	s_branch .LBB23_223
.LBB23_117:
	s_or_b32 exec_lo, exec_lo, s52
	s_mov_b32 s2, 0
	s_and_saveexec_b32 s4, s51
	s_cbranch_execnz .LBB23_682
.LBB23_118:
	s_or_b32 exec_lo, exec_lo, s4
	s_and_saveexec_b32 s4, s53
	s_delay_alu instid0(SALU_CYCLE_1)
	s_xor_b32 s4, exec_lo, s4
	s_cbranch_execz .LBB23_120
.LBB23_119:
	global_store_b8 v[6:7], v11, off
.LBB23_120:
	s_or_b32 exec_lo, exec_lo, s4
	s_and_saveexec_b32 s4, s21
	s_delay_alu instid0(SALU_CYCLE_1)
	s_xor_b32 s4, exec_lo, s4
	s_cbranch_execz .LBB23_158
; %bb.121:
	v_cmp_gt_i16_e32 vcc_lo, 5, v17
	s_mov_b32 s5, -1
	s_cbranch_vccnz .LBB23_142
; %bb.122:
	v_cmp_gt_i16_e32 vcc_lo, 8, v17
	s_cbranch_vccnz .LBB23_132
; %bb.123:
	v_cmp_gt_i16_e32 vcc_lo, 9, v17
	s_cbranch_vccnz .LBB23_129
; %bb.124:
	v_cmp_lt_i16_e32 vcc_lo, 9, v17
	s_cbranch_vccz .LBB23_126
; %bb.125:
	v_mov_b32_e32 v2, 0
	s_mov_b32 s5, 0
	s_delay_alu instid0(VALU_DEP_1)
	v_mov_b32_e32 v3, v2
	global_store_b128 v[6:7], v[0:3], off
.LBB23_126:
	s_and_not1_b32 vcc_lo, exec_lo, s5
	s_cbranch_vccnz .LBB23_128
; %bb.127:
	v_mov_b32_e32 v5, 0
	global_store_b64 v[6:7], v[4:5], off
.LBB23_128:
	s_mov_b32 s5, 0
.LBB23_129:
	s_delay_alu instid0(SALU_CYCLE_1)
	s_and_not1_b32 vcc_lo, exec_lo, s5
	s_cbranch_vccnz .LBB23_131
; %bb.130:
	global_store_b32 v[6:7], v10, off
.LBB23_131:
	s_mov_b32 s5, 0
.LBB23_132:
	s_delay_alu instid0(SALU_CYCLE_1)
	s_and_not1_b32 vcc_lo, exec_lo, s5
	s_cbranch_vccnz .LBB23_141
; %bb.133:
	v_cmp_gt_i16_e32 vcc_lo, 6, v17
	s_mov_b32 s5, -1
	s_cbranch_vccnz .LBB23_139
; %bb.134:
	v_cmp_lt_i16_e32 vcc_lo, 6, v17
	s_cbranch_vccz .LBB23_136
; %bb.135:
	s_mov_b32 s5, 0
	global_store_b64 v[6:7], v[0:1], off
.LBB23_136:
	s_and_not1_b32 vcc_lo, exec_lo, s5
	s_cbranch_vccnz .LBB23_138
; %bb.137:
	global_store_b32 v[6:7], v4, off
.LBB23_138:
	s_mov_b32 s5, 0
.LBB23_139:
	s_delay_alu instid0(SALU_CYCLE_1)
	s_and_not1_b32 vcc_lo, exec_lo, s5
	s_cbranch_vccnz .LBB23_141
; %bb.140:
	global_store_b16 v[6:7], v8, off
.LBB23_141:
	s_mov_b32 s5, 0
.LBB23_142:
	s_delay_alu instid0(SALU_CYCLE_1)
	s_and_not1_b32 vcc_lo, exec_lo, s5
	s_cbranch_vccnz .LBB23_158
; %bb.143:
	v_cmp_gt_i16_e32 vcc_lo, 2, v17
	s_mov_b32 s5, -1
	s_cbranch_vccnz .LBB23_153
; %bb.144:
	v_cmp_gt_i16_e32 vcc_lo, 3, v17
	s_cbranch_vccnz .LBB23_150
; %bb.145:
	v_cmp_lt_i16_e32 vcc_lo, 3, v17
	s_cbranch_vccz .LBB23_147
; %bb.146:
	v_dual_mov_b32 v0, s12 :: v_dual_mov_b32 v1, s13
	s_mov_b32 s5, 0
	global_store_b64 v[6:7], v[0:1], off
.LBB23_147:
	s_and_not1_b32 vcc_lo, exec_lo, s5
	s_cbranch_vccnz .LBB23_149
; %bb.148:
	v_mov_b32_e32 v0, s6
	global_store_b32 v[6:7], v0, off
.LBB23_149:
	s_mov_b32 s5, 0
.LBB23_150:
	s_delay_alu instid0(SALU_CYCLE_1)
	s_and_not1_b32 vcc_lo, exec_lo, s5
	s_cbranch_vccnz .LBB23_152
; %bb.151:
	v_mov_b32_e32 v0, s6
	global_store_b16 v[6:7], v0, off
.LBB23_152:
	s_mov_b32 s5, 0
.LBB23_153:
	s_delay_alu instid0(SALU_CYCLE_1)
	s_and_not1_b32 vcc_lo, exec_lo, s5
	s_cbranch_vccnz .LBB23_158
; %bb.154:
	v_cmp_lt_i16_e32 vcc_lo, 0, v17
	s_mov_b32 s5, -1
	s_cbranch_vccz .LBB23_156
; %bb.155:
	v_mov_b32_e32 v0, s6
	s_mov_b32 s5, 0
	global_store_b8 v[6:7], v0, off
.LBB23_156:
	s_and_not1_b32 vcc_lo, exec_lo, s5
	s_cbranch_vccnz .LBB23_158
; %bb.157:
	v_mov_b32_e32 v0, s6
	global_store_b8 v[6:7], v0, off
.LBB23_158:
	s_or_b32 exec_lo, exec_lo, s4
	s_delay_alu instid0(SALU_CYCLE_1)
	s_and_b32 s6, s2, exec_lo
                                        ; implicit-def: $vgpr4
                                        ; implicit-def: $vgpr9
.LBB23_159:
	s_or_saveexec_b32 s7, s27
	s_mov_b32 s8, 0
                                        ; implicit-def: $sgpr4
                                        ; implicit-def: $vgpr0_vgpr1
                                        ; implicit-def: $sgpr2
	s_xor_b32 exec_lo, exec_lo, s7
	s_cbranch_execz .LBB23_912
; %bb.160:
	v_cndmask_b32_e64 v0, 0, 1, s26
	s_and_not1_b32 vcc_lo, exec_lo, s26
	s_cbranch_vccnz .LBB23_166
; %bb.161:
	v_mov_b32_e32 v3, 0
	s_cmp_eq_u32 s24, 0
	s_cbranch_scc1 .LBB23_170
; %bb.162:
	s_min_u32 s9, s25, 15
	v_mov_b32_e32 v3, 0
	s_add_i32 s9, s9, 1
	s_cmp_eq_u32 s25, 2
	s_mov_b32 s10, 0
	s_cbranch_scc1 .LBB23_167
; %bb.163:
	v_mov_b32_e32 v3, 0
	v_mov_b32_e32 v1, v9
	s_add_u32 s2, s0, 0xc4
	s_addc_u32 s3, s1, 0
	s_and_b32 s10, s9, 28
	s_mov_b32 s11, 0
	s_mov_b64 s[4:5], s[0:1]
.LBB23_164:                             ; =>This Inner Loop Header: Depth=1
	s_clause 0x1
	s_load_b256 s[12:19], s[4:5], 0x4
	s_load_b128 s[20:23], s[4:5], 0x24
	s_load_b128 s[28:31], s[2:3], 0x0
	s_add_u32 s4, s4, 48
	s_addc_u32 s5, s5, 0
	s_add_i32 s11, s11, 4
	s_add_u32 s2, s2, 16
	s_addc_u32 s3, s3, 0
	s_cmp_lg_u32 s10, s11
	s_waitcnt lgkmcnt(0)
	v_mul_hi_u32 v2, s13, v1
	s_delay_alu instid0(VALU_DEP_1) | instskip(NEXT) | instid1(VALU_DEP_1)
	v_add_nc_u32_e32 v2, v1, v2
	v_lshrrev_b32_e32 v2, s14, v2
	s_delay_alu instid0(VALU_DEP_1) | instskip(SKIP_1) | instid1(VALU_DEP_2)
	v_mul_hi_u32 v5, s16, v2
	v_mul_lo_u32 v8, v2, s12
	v_add_nc_u32_e32 v5, v2, v5
	s_delay_alu instid0(VALU_DEP_2) | instskip(NEXT) | instid1(VALU_DEP_2)
	v_sub_nc_u32_e32 v8, v1, v8
	v_lshrrev_b32_e32 v5, s17, v5
	s_delay_alu instid0(VALU_DEP_2) | instskip(NEXT) | instid1(VALU_DEP_2)
	v_mul_lo_u32 v8, v8, s28
	v_mul_hi_u32 v6, s19, v5
	v_mul_lo_u32 v10, v5, s15
	s_delay_alu instid0(VALU_DEP_2) | instskip(NEXT) | instid1(VALU_DEP_2)
	v_add_nc_u32_e32 v6, v5, v6
	v_sub_nc_u32_e32 v2, v2, v10
	s_delay_alu instid0(VALU_DEP_2) | instskip(NEXT) | instid1(VALU_DEP_2)
	v_lshrrev_b32_e32 v6, s20, v6
	v_mul_lo_u32 v2, v2, s29
	s_delay_alu instid0(VALU_DEP_2) | instskip(NEXT) | instid1(VALU_DEP_2)
	v_mul_hi_u32 v7, s22, v6
	v_add3_u32 v2, v8, v3, v2
	s_delay_alu instid0(VALU_DEP_2) | instskip(NEXT) | instid1(VALU_DEP_1)
	v_add_nc_u32_e32 v7, v6, v7
	v_lshrrev_b32_e32 v1, s23, v7
	v_mul_lo_u32 v7, v6, s18
	s_delay_alu instid0(VALU_DEP_2) | instskip(NEXT) | instid1(VALU_DEP_2)
	v_mul_lo_u32 v11, v1, s21
	v_sub_nc_u32_e32 v5, v5, v7
	s_delay_alu instid0(VALU_DEP_2) | instskip(NEXT) | instid1(VALU_DEP_2)
	v_sub_nc_u32_e32 v6, v6, v11
	v_mul_lo_u32 v5, v5, s30
	s_delay_alu instid0(VALU_DEP_2) | instskip(NEXT) | instid1(VALU_DEP_1)
	v_mul_lo_u32 v6, v6, s31
	v_add3_u32 v3, v5, v2, v6
	s_cbranch_scc1 .LBB23_164
; %bb.165:
	s_and_b32 s9, s9, 3
	s_delay_alu instid0(SALU_CYCLE_1)
	s_cmp_eq_u32 s9, 0
	s_cbranch_scc0 .LBB23_168
	s_branch .LBB23_170
.LBB23_166:
	s_mov_b32 s8, -1
                                        ; implicit-def: $vgpr3
	s_branch .LBB23_170
.LBB23_167:
	v_mov_b32_e32 v1, v9
	s_and_b32 s9, s9, 3
	s_delay_alu instid0(SALU_CYCLE_1)
	s_cmp_eq_u32 s9, 0
	s_cbranch_scc1 .LBB23_170
.LBB23_168:
	s_lshl_b32 s2, s10, 2
	s_mul_i32 s4, s10, 12
	s_add_u32 s2, s2, s0
	s_addc_u32 s3, 0, s1
	s_add_u32 s2, s2, 0xc4
	s_addc_u32 s3, s3, 0
	;; [unrolled: 2-line block ×3, first 2 shown]
	.p2align	6
.LBB23_169:                             ; =>This Inner Loop Header: Depth=1
	s_clause 0x1
	s_load_b64 s[10:11], s[4:5], 0x4
	s_load_b32 s12, s[4:5], 0xc
	s_add_u32 s4, s4, 12
	s_addc_u32 s5, s5, 0
	s_waitcnt lgkmcnt(0)
	v_mul_hi_u32 v2, s11, v1
	s_load_b32 s11, s[2:3], 0x0
	s_add_u32 s2, s2, 4
	s_addc_u32 s3, s3, 0
	s_add_i32 s9, s9, -1
	s_delay_alu instid0(SALU_CYCLE_1) | instskip(NEXT) | instid1(VALU_DEP_1)
	s_cmp_lg_u32 s9, 0
	v_add_nc_u32_e32 v2, v1, v2
	s_delay_alu instid0(VALU_DEP_1) | instskip(NEXT) | instid1(VALU_DEP_1)
	v_lshrrev_b32_e32 v2, s12, v2
	v_mul_lo_u32 v5, v2, s10
	s_delay_alu instid0(VALU_DEP_1) | instskip(SKIP_1) | instid1(VALU_DEP_1)
	v_sub_nc_u32_e32 v1, v1, v5
	s_waitcnt lgkmcnt(0)
	v_mad_u64_u32 v[5:6], null, v1, s11, v[3:4]
	v_mov_b32_e32 v1, v2
	s_delay_alu instid0(VALU_DEP_2)
	v_mov_b32_e32 v3, v5
	s_cbranch_scc1 .LBB23_169
.LBB23_170:
	s_and_not1_b32 vcc_lo, exec_lo, s8
	s_cbranch_vccnz .LBB23_173
; %bb.171:
	s_clause 0x1
	s_load_b128 s[8:11], s[0:1], 0x4
	s_load_b32 s2, s[0:1], 0xc4
	s_cmp_lt_u32 s24, 2
	s_waitcnt lgkmcnt(0)
	v_mul_hi_u32 v1, s9, v9
	s_delay_alu instid0(VALU_DEP_1) | instskip(NEXT) | instid1(VALU_DEP_1)
	v_add_nc_u32_e32 v1, v9, v1
	v_lshrrev_b32_e32 v1, s10, v1
	s_delay_alu instid0(VALU_DEP_1) | instskip(NEXT) | instid1(VALU_DEP_1)
	v_mul_lo_u32 v2, v1, s8
	v_sub_nc_u32_e32 v2, v9, v2
	s_delay_alu instid0(VALU_DEP_1)
	v_mul_lo_u32 v3, v2, s2
	s_cbranch_scc1 .LBB23_173
; %bb.172:
	s_clause 0x1
	s_load_b128 s[8:11], s[0:1], 0x10
	s_load_b32 s2, s[0:1], 0xc8
	s_waitcnt lgkmcnt(0)
	v_mul_hi_u32 v2, s9, v1
	s_delay_alu instid0(VALU_DEP_1) | instskip(NEXT) | instid1(VALU_DEP_1)
	v_add_nc_u32_e32 v2, v1, v2
	v_lshrrev_b32_e32 v2, s10, v2
	s_delay_alu instid0(VALU_DEP_1) | instskip(NEXT) | instid1(VALU_DEP_1)
	v_mul_lo_u32 v2, v2, s8
	v_sub_nc_u32_e32 v5, v1, v2
	s_delay_alu instid0(VALU_DEP_1) | instskip(NEXT) | instid1(VALU_DEP_1)
	v_mad_u64_u32 v[1:2], null, v5, s2, v[3:4]
	v_mov_b32_e32 v3, v1
.LBB23_173:
	v_cmp_ne_u32_e32 vcc_lo, 1, v0
	v_add_nc_u32_e32 v1, 0x80, v9
	s_cbranch_vccnz .LBB23_179
; %bb.174:
	v_mov_b32_e32 v2, 0
	s_cmp_eq_u32 s24, 0
	s_mov_b32 s8, 0
	s_cbranch_scc1 .LBB23_183
; %bb.175:
	s_min_u32 s9, s25, 15
	v_mov_b32_e32 v2, 0
	s_add_i32 s9, s9, 1
	s_cmp_eq_u32 s25, 2
	s_mov_b32 s10, 0
	s_cbranch_scc1 .LBB23_180
; %bb.176:
	v_dual_mov_b32 v2, 0 :: v_dual_mov_b32 v5, v1
	s_add_u32 s2, s0, 0xc4
	s_addc_u32 s3, s1, 0
	s_and_b32 s10, s9, 28
	s_mov_b32 s11, 0
	s_mov_b64 s[4:5], s[0:1]
.LBB23_177:                             ; =>This Inner Loop Header: Depth=1
	s_clause 0x1
	s_load_b256 s[12:19], s[4:5], 0x4
	s_load_b128 s[20:23], s[4:5], 0x24
	s_load_b128 s[28:31], s[2:3], 0x0
	s_add_u32 s4, s4, 48
	s_addc_u32 s5, s5, 0
	s_add_i32 s11, s11, 4
	s_add_u32 s2, s2, 16
	s_addc_u32 s3, s3, 0
	s_cmp_lg_u32 s10, s11
	s_waitcnt lgkmcnt(0)
	v_mul_hi_u32 v6, s13, v5
	s_delay_alu instid0(VALU_DEP_1) | instskip(NEXT) | instid1(VALU_DEP_1)
	v_add_nc_u32_e32 v6, v5, v6
	v_lshrrev_b32_e32 v6, s14, v6
	s_delay_alu instid0(VALU_DEP_1) | instskip(SKIP_1) | instid1(VALU_DEP_2)
	v_mul_hi_u32 v7, s16, v6
	v_mul_lo_u32 v11, v6, s12
	v_add_nc_u32_e32 v7, v6, v7
	s_delay_alu instid0(VALU_DEP_2) | instskip(NEXT) | instid1(VALU_DEP_2)
	v_sub_nc_u32_e32 v11, v5, v11
	v_lshrrev_b32_e32 v7, s17, v7
	s_delay_alu instid0(VALU_DEP_2) | instskip(NEXT) | instid1(VALU_DEP_2)
	v_mul_lo_u32 v11, v11, s28
	v_mul_hi_u32 v8, s19, v7
	v_mul_lo_u32 v12, v7, s15
	s_delay_alu instid0(VALU_DEP_2) | instskip(NEXT) | instid1(VALU_DEP_2)
	v_add_nc_u32_e32 v8, v7, v8
	v_sub_nc_u32_e32 v6, v6, v12
	s_delay_alu instid0(VALU_DEP_2) | instskip(NEXT) | instid1(VALU_DEP_2)
	v_lshrrev_b32_e32 v8, s20, v8
	v_mul_lo_u32 v6, v6, s29
	s_delay_alu instid0(VALU_DEP_2) | instskip(NEXT) | instid1(VALU_DEP_2)
	v_mul_hi_u32 v10, s22, v8
	v_add3_u32 v2, v11, v2, v6
	s_delay_alu instid0(VALU_DEP_2) | instskip(NEXT) | instid1(VALU_DEP_1)
	v_add_nc_u32_e32 v10, v8, v10
	v_lshrrev_b32_e32 v5, s23, v10
	v_mul_lo_u32 v10, v8, s18
	s_delay_alu instid0(VALU_DEP_2) | instskip(NEXT) | instid1(VALU_DEP_2)
	v_mul_lo_u32 v13, v5, s21
	v_sub_nc_u32_e32 v7, v7, v10
	s_delay_alu instid0(VALU_DEP_2) | instskip(NEXT) | instid1(VALU_DEP_2)
	v_sub_nc_u32_e32 v8, v8, v13
	v_mul_lo_u32 v7, v7, s30
	s_delay_alu instid0(VALU_DEP_2) | instskip(NEXT) | instid1(VALU_DEP_1)
	v_mul_lo_u32 v8, v8, s31
	v_add3_u32 v2, v7, v2, v8
	s_cbranch_scc1 .LBB23_177
; %bb.178:
	s_and_b32 s9, s9, 3
	s_delay_alu instid0(SALU_CYCLE_1)
	s_cmp_eq_u32 s9, 0
	s_cbranch_scc0 .LBB23_181
	s_branch .LBB23_183
.LBB23_179:
	s_mov_b32 s8, -1
                                        ; implicit-def: $vgpr2
	s_branch .LBB23_183
.LBB23_180:
	v_mov_b32_e32 v5, v1
	s_and_b32 s9, s9, 3
	s_delay_alu instid0(SALU_CYCLE_1)
	s_cmp_eq_u32 s9, 0
	s_cbranch_scc1 .LBB23_183
.LBB23_181:
	s_lshl_b32 s2, s10, 2
	s_mul_i32 s4, s10, 12
	s_add_u32 s2, s2, s0
	s_addc_u32 s3, 0, s1
	s_add_u32 s2, s2, 0xc4
	s_addc_u32 s3, s3, 0
	;; [unrolled: 2-line block ×3, first 2 shown]
	.p2align	6
.LBB23_182:                             ; =>This Inner Loop Header: Depth=1
	s_clause 0x1
	s_load_b64 s[10:11], s[4:5], 0x4
	s_load_b32 s12, s[4:5], 0xc
	s_add_u32 s4, s4, 12
	s_addc_u32 s5, s5, 0
	s_waitcnt lgkmcnt(0)
	v_mul_hi_u32 v6, s11, v5
	s_load_b32 s11, s[2:3], 0x0
	s_add_u32 s2, s2, 4
	s_addc_u32 s3, s3, 0
	s_add_i32 s9, s9, -1
	s_delay_alu instid0(SALU_CYCLE_1) | instskip(NEXT) | instid1(VALU_DEP_1)
	s_cmp_lg_u32 s9, 0
	v_add_nc_u32_e32 v6, v5, v6
	s_delay_alu instid0(VALU_DEP_1) | instskip(NEXT) | instid1(VALU_DEP_1)
	v_lshrrev_b32_e32 v8, s12, v6
	v_mul_lo_u32 v6, v8, s10
	s_delay_alu instid0(VALU_DEP_1) | instskip(SKIP_1) | instid1(VALU_DEP_1)
	v_sub_nc_u32_e32 v5, v5, v6
	s_waitcnt lgkmcnt(0)
	v_mad_u64_u32 v[6:7], null, v5, s11, v[2:3]
	s_delay_alu instid0(VALU_DEP_1)
	v_dual_mov_b32 v5, v8 :: v_dual_mov_b32 v2, v6
	s_cbranch_scc1 .LBB23_182
.LBB23_183:
	s_and_not1_b32 vcc_lo, exec_lo, s8
	s_cbranch_vccnz .LBB23_186
; %bb.184:
	s_clause 0x1
	s_load_b128 s[8:11], s[0:1], 0x4
	s_load_b32 s2, s[0:1], 0xc4
	s_cmp_lt_u32 s24, 2
	s_waitcnt lgkmcnt(0)
	v_mul_hi_u32 v2, s9, v1
	s_delay_alu instid0(VALU_DEP_1) | instskip(NEXT) | instid1(VALU_DEP_1)
	v_add_nc_u32_e32 v2, v1, v2
	v_lshrrev_b32_e32 v5, s10, v2
	s_delay_alu instid0(VALU_DEP_1) | instskip(NEXT) | instid1(VALU_DEP_1)
	v_mul_lo_u32 v2, v5, s8
	v_sub_nc_u32_e32 v1, v1, v2
	s_delay_alu instid0(VALU_DEP_1)
	v_mul_lo_u32 v2, v1, s2
	s_cbranch_scc1 .LBB23_186
; %bb.185:
	s_clause 0x1
	s_load_b128 s[8:11], s[0:1], 0x10
	s_load_b32 s2, s[0:1], 0xc8
	s_waitcnt lgkmcnt(0)
	v_mul_hi_u32 v1, s9, v5
	s_delay_alu instid0(VALU_DEP_1) | instskip(NEXT) | instid1(VALU_DEP_1)
	v_add_nc_u32_e32 v1, v5, v1
	v_lshrrev_b32_e32 v1, s10, v1
	s_delay_alu instid0(VALU_DEP_1) | instskip(NEXT) | instid1(VALU_DEP_1)
	v_mul_lo_u32 v1, v1, s8
	v_sub_nc_u32_e32 v1, v5, v1
	s_delay_alu instid0(VALU_DEP_1) | instskip(NEXT) | instid1(VALU_DEP_1)
	v_mad_u64_u32 v[5:6], null, v1, s2, v[2:3]
	v_mov_b32_e32 v2, v5
.LBB23_186:
	v_cmp_ne_u32_e32 vcc_lo, 1, v0
	v_add_nc_u32_e32 v5, 0x100, v9
	s_cbranch_vccnz .LBB23_192
; %bb.187:
	v_mov_b32_e32 v1, 0
	s_cmp_eq_u32 s24, 0
	s_mov_b32 s8, 0
	s_cbranch_scc1 .LBB23_196
; %bb.188:
	s_min_u32 s9, s25, 15
	v_mov_b32_e32 v1, 0
	s_add_i32 s9, s9, 1
	s_cmp_eq_u32 s25, 2
	s_mov_b32 s10, 0
	s_cbranch_scc1 .LBB23_193
; %bb.189:
	v_dual_mov_b32 v1, 0 :: v_dual_mov_b32 v6, v5
	s_add_u32 s2, s0, 0xc4
	s_addc_u32 s3, s1, 0
	s_and_b32 s10, s9, 28
	s_mov_b32 s11, 0
	s_mov_b64 s[4:5], s[0:1]
.LBB23_190:                             ; =>This Inner Loop Header: Depth=1
	s_clause 0x1
	s_load_b256 s[12:19], s[4:5], 0x4
	s_load_b128 s[20:23], s[4:5], 0x24
	s_load_b128 s[28:31], s[2:3], 0x0
	s_add_u32 s4, s4, 48
	s_addc_u32 s5, s5, 0
	s_add_i32 s11, s11, 4
	s_add_u32 s2, s2, 16
	s_addc_u32 s3, s3, 0
	s_cmp_lg_u32 s10, s11
	s_waitcnt lgkmcnt(0)
	v_mul_hi_u32 v7, s13, v6
	s_delay_alu instid0(VALU_DEP_1) | instskip(NEXT) | instid1(VALU_DEP_1)
	v_add_nc_u32_e32 v7, v6, v7
	v_lshrrev_b32_e32 v7, s14, v7
	s_delay_alu instid0(VALU_DEP_1) | instskip(SKIP_1) | instid1(VALU_DEP_2)
	v_mul_hi_u32 v8, s16, v7
	v_mul_lo_u32 v11, v7, s12
	v_add_nc_u32_e32 v8, v7, v8
	s_delay_alu instid0(VALU_DEP_2) | instskip(NEXT) | instid1(VALU_DEP_2)
	v_sub_nc_u32_e32 v11, v6, v11
	v_lshrrev_b32_e32 v8, s17, v8
	s_delay_alu instid0(VALU_DEP_2) | instskip(NEXT) | instid1(VALU_DEP_2)
	v_mul_lo_u32 v11, v11, s28
	v_mul_hi_u32 v9, s19, v8
	v_mul_lo_u32 v12, v8, s15
	s_delay_alu instid0(VALU_DEP_2) | instskip(NEXT) | instid1(VALU_DEP_2)
	v_add_nc_u32_e32 v9, v8, v9
	v_sub_nc_u32_e32 v7, v7, v12
	s_delay_alu instid0(VALU_DEP_2) | instskip(NEXT) | instid1(VALU_DEP_2)
	v_lshrrev_b32_e32 v9, s20, v9
	v_mul_lo_u32 v7, v7, s29
	s_delay_alu instid0(VALU_DEP_2) | instskip(NEXT) | instid1(VALU_DEP_2)
	v_mul_hi_u32 v10, s22, v9
	v_add3_u32 v1, v11, v1, v7
	s_delay_alu instid0(VALU_DEP_2) | instskip(NEXT) | instid1(VALU_DEP_1)
	v_add_nc_u32_e32 v10, v9, v10
	v_lshrrev_b32_e32 v6, s23, v10
	v_mul_lo_u32 v10, v9, s18
	s_delay_alu instid0(VALU_DEP_2) | instskip(NEXT) | instid1(VALU_DEP_2)
	v_mul_lo_u32 v13, v6, s21
	v_sub_nc_u32_e32 v8, v8, v10
	s_delay_alu instid0(VALU_DEP_2) | instskip(NEXT) | instid1(VALU_DEP_2)
	v_sub_nc_u32_e32 v9, v9, v13
	v_mul_lo_u32 v8, v8, s30
	s_delay_alu instid0(VALU_DEP_2) | instskip(NEXT) | instid1(VALU_DEP_1)
	v_mul_lo_u32 v9, v9, s31
	v_add3_u32 v1, v8, v1, v9
	s_cbranch_scc1 .LBB23_190
; %bb.191:
	s_and_b32 s9, s9, 3
	s_delay_alu instid0(SALU_CYCLE_1)
	s_cmp_eq_u32 s9, 0
	s_cbranch_scc0 .LBB23_194
	s_branch .LBB23_196
.LBB23_192:
	s_mov_b32 s8, -1
                                        ; implicit-def: $vgpr1
	s_branch .LBB23_196
.LBB23_193:
	v_mov_b32_e32 v6, v5
	s_and_b32 s9, s9, 3
	s_delay_alu instid0(SALU_CYCLE_1)
	s_cmp_eq_u32 s9, 0
	s_cbranch_scc1 .LBB23_196
.LBB23_194:
	s_lshl_b32 s2, s10, 2
	s_mul_i32 s4, s10, 12
	s_add_u32 s2, s2, s0
	s_addc_u32 s3, 0, s1
	s_add_u32 s2, s2, 0xc4
	s_addc_u32 s3, s3, 0
	;; [unrolled: 2-line block ×3, first 2 shown]
	.p2align	6
.LBB23_195:                             ; =>This Inner Loop Header: Depth=1
	s_clause 0x1
	s_load_b64 s[10:11], s[4:5], 0x4
	s_load_b32 s12, s[4:5], 0xc
	s_add_u32 s4, s4, 12
	s_addc_u32 s5, s5, 0
	s_waitcnt lgkmcnt(0)
	v_mul_hi_u32 v7, s11, v6
	s_load_b32 s11, s[2:3], 0x0
	s_add_u32 s2, s2, 4
	s_addc_u32 s3, s3, 0
	s_add_i32 s9, s9, -1
	s_delay_alu instid0(SALU_CYCLE_1) | instskip(NEXT) | instid1(VALU_DEP_1)
	s_cmp_lg_u32 s9, 0
	v_add_nc_u32_e32 v7, v6, v7
	s_delay_alu instid0(VALU_DEP_1) | instskip(NEXT) | instid1(VALU_DEP_1)
	v_lshrrev_b32_e32 v9, s12, v7
	v_mul_lo_u32 v7, v9, s10
	s_delay_alu instid0(VALU_DEP_1) | instskip(SKIP_1) | instid1(VALU_DEP_1)
	v_sub_nc_u32_e32 v6, v6, v7
	s_waitcnt lgkmcnt(0)
	v_mad_u64_u32 v[7:8], null, v6, s11, v[1:2]
	s_delay_alu instid0(VALU_DEP_1)
	v_dual_mov_b32 v6, v9 :: v_dual_mov_b32 v1, v7
	s_cbranch_scc1 .LBB23_195
.LBB23_196:
	s_and_not1_b32 vcc_lo, exec_lo, s8
	s_cbranch_vccnz .LBB23_199
; %bb.197:
	s_clause 0x1
	s_load_b128 s[8:11], s[0:1], 0x4
	s_load_b32 s2, s[0:1], 0xc4
	s_cmp_lt_u32 s24, 2
	s_waitcnt lgkmcnt(0)
	v_mul_hi_u32 v1, s9, v5
	s_delay_alu instid0(VALU_DEP_1) | instskip(NEXT) | instid1(VALU_DEP_1)
	v_add_nc_u32_e32 v1, v5, v1
	v_lshrrev_b32_e32 v6, s10, v1
	s_delay_alu instid0(VALU_DEP_1) | instskip(NEXT) | instid1(VALU_DEP_1)
	v_mul_lo_u32 v1, v6, s8
	v_sub_nc_u32_e32 v1, v5, v1
	s_delay_alu instid0(VALU_DEP_1)
	v_mul_lo_u32 v1, v1, s2
	s_cbranch_scc1 .LBB23_199
; %bb.198:
	s_clause 0x1
	s_load_b128 s[8:11], s[0:1], 0x10
	s_load_b32 s2, s[0:1], 0xc8
	s_waitcnt lgkmcnt(0)
	v_mul_hi_u32 v5, s9, v6
	s_delay_alu instid0(VALU_DEP_1) | instskip(NEXT) | instid1(VALU_DEP_1)
	v_add_nc_u32_e32 v5, v6, v5
	v_lshrrev_b32_e32 v5, s10, v5
	s_delay_alu instid0(VALU_DEP_1) | instskip(NEXT) | instid1(VALU_DEP_1)
	v_mul_lo_u32 v5, v5, s8
	v_sub_nc_u32_e32 v7, v6, v5
	s_delay_alu instid0(VALU_DEP_1) | instskip(NEXT) | instid1(VALU_DEP_1)
	v_mad_u64_u32 v[5:6], null, v7, s2, v[1:2]
	v_mov_b32_e32 v1, v5
.LBB23_199:
	v_cmp_ne_u32_e32 vcc_lo, 1, v0
	s_cbranch_vccnz .LBB23_205
; %bb.200:
	v_mov_b32_e32 v0, 0
	s_cmp_eq_u32 s24, 0
	s_mov_b32 s8, 0
	s_cbranch_scc1 .LBB23_209
; %bb.201:
	s_min_u32 s9, s25, 15
	v_mov_b32_e32 v0, 0
	s_add_i32 s9, s9, 1
	s_cmp_eq_u32 s25, 2
	s_mov_b32 s10, 0
	s_cbranch_scc1 .LBB23_206
; %bb.202:
	v_dual_mov_b32 v0, 0 :: v_dual_mov_b32 v5, v4
	s_add_u32 s2, s0, 0xc4
	s_addc_u32 s3, s1, 0
	s_and_b32 s10, s9, 28
	s_mov_b32 s11, 0
	s_mov_b64 s[4:5], s[0:1]
.LBB23_203:                             ; =>This Inner Loop Header: Depth=1
	s_clause 0x1
	s_load_b256 s[12:19], s[4:5], 0x4
	s_load_b128 s[20:23], s[4:5], 0x24
	s_load_b128 s[28:31], s[2:3], 0x0
	s_add_u32 s4, s4, 48
	s_addc_u32 s5, s5, 0
	s_add_i32 s11, s11, 4
	s_add_u32 s2, s2, 16
	s_addc_u32 s3, s3, 0
	s_cmp_lg_u32 s10, s11
	s_waitcnt lgkmcnt(0)
	v_mul_hi_u32 v6, s13, v5
	s_delay_alu instid0(VALU_DEP_1) | instskip(NEXT) | instid1(VALU_DEP_1)
	v_add_nc_u32_e32 v6, v5, v6
	v_lshrrev_b32_e32 v6, s14, v6
	s_delay_alu instid0(VALU_DEP_1) | instskip(SKIP_1) | instid1(VALU_DEP_2)
	v_mul_hi_u32 v7, s16, v6
	v_mul_lo_u32 v10, v6, s12
	v_add_nc_u32_e32 v7, v6, v7
	s_delay_alu instid0(VALU_DEP_2) | instskip(NEXT) | instid1(VALU_DEP_2)
	v_sub_nc_u32_e32 v10, v5, v10
	v_lshrrev_b32_e32 v7, s17, v7
	s_delay_alu instid0(VALU_DEP_2) | instskip(NEXT) | instid1(VALU_DEP_2)
	v_mul_lo_u32 v10, v10, s28
	v_mul_hi_u32 v8, s19, v7
	v_mul_lo_u32 v11, v7, s15
	s_delay_alu instid0(VALU_DEP_2) | instskip(NEXT) | instid1(VALU_DEP_2)
	v_add_nc_u32_e32 v8, v7, v8
	v_sub_nc_u32_e32 v6, v6, v11
	s_delay_alu instid0(VALU_DEP_2) | instskip(NEXT) | instid1(VALU_DEP_2)
	v_lshrrev_b32_e32 v8, s20, v8
	v_mul_lo_u32 v6, v6, s29
	s_delay_alu instid0(VALU_DEP_2) | instskip(NEXT) | instid1(VALU_DEP_2)
	v_mul_hi_u32 v9, s22, v8
	v_add3_u32 v0, v10, v0, v6
	s_delay_alu instid0(VALU_DEP_2) | instskip(NEXT) | instid1(VALU_DEP_1)
	v_add_nc_u32_e32 v9, v8, v9
	v_lshrrev_b32_e32 v5, s23, v9
	v_mul_lo_u32 v9, v8, s18
	s_delay_alu instid0(VALU_DEP_2) | instskip(NEXT) | instid1(VALU_DEP_2)
	v_mul_lo_u32 v12, v5, s21
	v_sub_nc_u32_e32 v7, v7, v9
	s_delay_alu instid0(VALU_DEP_2) | instskip(NEXT) | instid1(VALU_DEP_2)
	v_sub_nc_u32_e32 v8, v8, v12
	v_mul_lo_u32 v7, v7, s30
	s_delay_alu instid0(VALU_DEP_2) | instskip(NEXT) | instid1(VALU_DEP_1)
	v_mul_lo_u32 v8, v8, s31
	v_add3_u32 v0, v7, v0, v8
	s_cbranch_scc1 .LBB23_203
; %bb.204:
	s_and_b32 s9, s9, 3
	s_delay_alu instid0(SALU_CYCLE_1)
	s_cmp_eq_u32 s9, 0
	s_cbranch_scc0 .LBB23_207
	s_branch .LBB23_209
.LBB23_205:
	s_mov_b32 s8, -1
                                        ; implicit-def: $vgpr0
	s_branch .LBB23_209
.LBB23_206:
	v_mov_b32_e32 v5, v4
	s_and_b32 s9, s9, 3
	s_delay_alu instid0(SALU_CYCLE_1)
	s_cmp_eq_u32 s9, 0
	s_cbranch_scc1 .LBB23_209
.LBB23_207:
	s_lshl_b32 s2, s10, 2
	s_mul_i32 s4, s10, 12
	s_add_u32 s2, s2, s0
	s_addc_u32 s3, 0, s1
	s_add_u32 s2, s2, 0xc4
	s_addc_u32 s3, s3, 0
	;; [unrolled: 2-line block ×3, first 2 shown]
	.p2align	6
.LBB23_208:                             ; =>This Inner Loop Header: Depth=1
	s_clause 0x1
	s_load_b64 s[10:11], s[4:5], 0x4
	s_load_b32 s12, s[4:5], 0xc
	s_add_u32 s4, s4, 12
	s_addc_u32 s5, s5, 0
	s_waitcnt lgkmcnt(0)
	v_mul_hi_u32 v6, s11, v5
	s_load_b32 s11, s[2:3], 0x0
	s_add_u32 s2, s2, 4
	s_addc_u32 s3, s3, 0
	s_add_i32 s9, s9, -1
	s_delay_alu instid0(SALU_CYCLE_1) | instskip(NEXT) | instid1(VALU_DEP_1)
	s_cmp_lg_u32 s9, 0
	v_add_nc_u32_e32 v6, v5, v6
	s_delay_alu instid0(VALU_DEP_1) | instskip(NEXT) | instid1(VALU_DEP_1)
	v_lshrrev_b32_e32 v8, s12, v6
	v_mul_lo_u32 v6, v8, s10
	s_delay_alu instid0(VALU_DEP_1) | instskip(SKIP_1) | instid1(VALU_DEP_1)
	v_sub_nc_u32_e32 v5, v5, v6
	s_waitcnt lgkmcnt(0)
	v_mad_u64_u32 v[6:7], null, v5, s11, v[0:1]
	s_delay_alu instid0(VALU_DEP_1)
	v_dual_mov_b32 v5, v8 :: v_dual_mov_b32 v0, v6
	s_cbranch_scc1 .LBB23_208
.LBB23_209:
	s_and_not1_b32 vcc_lo, exec_lo, s8
	s_cbranch_vccnz .LBB23_212
; %bb.210:
	s_clause 0x1
	s_load_b128 s[8:11], s[0:1], 0x4
	s_load_b32 s2, s[0:1], 0xc4
	s_cmp_lt_u32 s24, 2
	s_waitcnt lgkmcnt(0)
	v_mul_hi_u32 v0, s9, v4
	s_delay_alu instid0(VALU_DEP_1) | instskip(NEXT) | instid1(VALU_DEP_1)
	v_add_nc_u32_e32 v0, v4, v0
	v_lshrrev_b32_e32 v5, s10, v0
	s_delay_alu instid0(VALU_DEP_1) | instskip(NEXT) | instid1(VALU_DEP_1)
	v_mul_lo_u32 v0, v5, s8
	v_sub_nc_u32_e32 v0, v4, v0
	s_delay_alu instid0(VALU_DEP_1)
	v_mul_lo_u32 v0, v0, s2
	s_cbranch_scc1 .LBB23_212
; %bb.211:
	s_clause 0x1
	s_load_b128 s[8:11], s[0:1], 0x10
	s_load_b32 s2, s[0:1], 0xc8
	s_waitcnt lgkmcnt(0)
	v_mul_hi_u32 v4, s9, v5
	s_delay_alu instid0(VALU_DEP_1) | instskip(NEXT) | instid1(VALU_DEP_1)
	v_add_nc_u32_e32 v4, v5, v4
	v_lshrrev_b32_e32 v4, s10, v4
	s_delay_alu instid0(VALU_DEP_1) | instskip(NEXT) | instid1(VALU_DEP_1)
	v_mul_lo_u32 v4, v4, s8
	v_sub_nc_u32_e32 v6, v5, v4
	s_delay_alu instid0(VALU_DEP_1) | instskip(NEXT) | instid1(VALU_DEP_1)
	v_mad_u64_u32 v[4:5], null, v6, s2, v[0:1]
	v_mov_b32_e32 v0, v4
.LBB23_212:
	s_load_b128 s[0:3], s[0:1], 0x108
	s_mov_b32 s8, 0
	s_waitcnt lgkmcnt(0)
	s_and_b32 s4, s3, 0xff
	v_add_co_u32 v3, s5, s0, v3
	v_cmp_lt_i16_e64 s3, s4, 11
	v_add_co_ci_u32_e64 v4, null, s1, 0, s5
	s_mov_b32 s5, -1
	s_delay_alu instid0(VALU_DEP_2)
	s_and_b32 vcc_lo, exec_lo, s3
	s_mov_b32 s3, s6
	s_cbranch_vccnz .LBB23_473
; %bb.213:
	v_cmp_gt_i16_e64 s3, s4, 25
	s_mov_b32 s9, -1
	s_mov_b32 s5, 0
	s_delay_alu instid0(VALU_DEP_1)
	s_and_b32 vcc_lo, exec_lo, s3
	s_mov_b32 s3, 0
	s_cbranch_vccz .LBB23_308
; %bb.214:
	v_cmp_gt_i16_e64 s3, s4, 28
	s_delay_alu instid0(VALU_DEP_1)
	s_and_b32 vcc_lo, exec_lo, s3
	s_cbranch_vccz .LBB23_220
; %bb.215:
	v_cmp_gt_i16_e64 s3, s4, 43
	s_delay_alu instid0(VALU_DEP_1)
	s_and_b32 vcc_lo, exec_lo, s3
	;; [unrolled: 5-line block ×3, first 2 shown]
	s_cbranch_vccz .LBB23_278
; %bb.217:
	v_cmp_eq_u16_e64 s8, s4, 46
	s_mov_b32 s3, -1
	s_mov_b32 s9, 0
	s_delay_alu instid0(VALU_DEP_1)
	s_and_b32 vcc_lo, exec_lo, s8
	s_mov_b32 s8, 0
	s_cbranch_vccz .LBB23_279
; %bb.218:
	v_cvt_f32_i32_e32 v5, s2
	s_mov_b32 s3, 0
	s_mov_b32 s8, -1
	s_delay_alu instid0(VALU_DEP_1) | instskip(NEXT) | instid1(VALU_DEP_1)
	v_bfe_u32 v6, v5, 16, 1
	v_add_nc_u32_e32 v5, v5, v6
	s_delay_alu instid0(VALU_DEP_1) | instskip(NEXT) | instid1(VALU_DEP_1)
	v_add_nc_u32_e32 v5, 0x7fff, v5
	v_lshrrev_b32_e32 v5, 16, v5
	global_store_b32 v[3:4], v5, off
	s_branch .LBB23_279
.LBB23_219:
                                        ; implicit-def: $vgpr2
	s_branch .LBB23_227
.LBB23_220:
	s_mov_b32 s3, 0
	s_branch .LBB23_288
.LBB23_221:
	s_mov_b32 s3, 0
	s_and_b32 vcc_lo, exec_lo, s9
	s_cbranch_vccnz .LBB23_285
	s_branch .LBB23_287
.LBB23_222:
	v_mov_b32_e32 v3, v9
.LBB23_223:
	s_and_b32 s55, s55, 3
	s_delay_alu instid0(SALU_CYCLE_1)
	s_cmp_eq_u32 s55, 0
	s_cbranch_scc1 .LBB23_226
; %bb.224:
	s_lshl_b32 s20, s53, 2
	s_mul_i32 s22, s53, 12
	s_add_u32 s20, s20, s0
	s_addc_u32 s21, s1, 0
	s_add_u32 s20, s20, 0xc4
	s_addc_u32 s21, s21, 0
	;; [unrolled: 2-line block ×3, first 2 shown]
	.p2align	6
.LBB23_225:                             ; =>This Inner Loop Header: Depth=1
	s_clause 0x1
	s_load_b64 s[56:57], s[22:23], 0x4
	s_load_b32 s53, s[22:23], 0xc
	s_add_u32 s22, s22, 12
	s_addc_u32 s23, s23, 0
	s_waitcnt lgkmcnt(0)
	v_mul_hi_u32 v5, s57, v3
	s_load_b32 s57, s[20:21], 0x0
	s_add_u32 s20, s20, 4
	s_addc_u32 s21, s21, 0
	s_add_i32 s55, s55, -1
	s_delay_alu instid0(SALU_CYCLE_1) | instskip(NEXT) | instid1(VALU_DEP_1)
	s_cmp_lg_u32 s55, 0
	v_add_nc_u32_e32 v5, v3, v5
	s_delay_alu instid0(VALU_DEP_1) | instskip(NEXT) | instid1(VALU_DEP_1)
	v_lshrrev_b32_e32 v7, s53, v5
	v_mul_lo_u32 v5, v7, s56
	s_delay_alu instid0(VALU_DEP_1) | instskip(SKIP_1) | instid1(VALU_DEP_1)
	v_sub_nc_u32_e32 v3, v3, v5
	s_waitcnt lgkmcnt(0)
	v_mad_u64_u32 v[5:6], null, v3, s57, v[2:3]
	s_delay_alu instid0(VALU_DEP_1)
	v_dual_mov_b32 v3, v7 :: v_dual_mov_b32 v2, v5
	s_cbranch_scc1 .LBB23_225
.LBB23_226:
	s_cbranch_execnz .LBB23_229
.LBB23_227:
	v_mul_hi_u32 v2, s9, v9
	s_and_not1_b32 vcc_lo, exec_lo, s47
	s_delay_alu instid0(VALU_DEP_1) | instskip(NEXT) | instid1(VALU_DEP_1)
	v_add_nc_u32_e32 v2, v9, v2
	v_lshrrev_b32_e32 v3, s10, v2
	s_delay_alu instid0(VALU_DEP_1) | instskip(NEXT) | instid1(VALU_DEP_1)
	v_mul_lo_u32 v2, v3, s8
	v_sub_nc_u32_e32 v2, v9, v2
	s_delay_alu instid0(VALU_DEP_1)
	v_mul_lo_u32 v2, v2, s14
	s_cbranch_vccnz .LBB23_229
; %bb.228:
	v_mul_hi_u32 v5, s16, v3
	s_delay_alu instid0(VALU_DEP_1) | instskip(NEXT) | instid1(VALU_DEP_1)
	v_add_nc_u32_e32 v5, v3, v5
	v_lshrrev_b32_e32 v5, s17, v5
	s_delay_alu instid0(VALU_DEP_1) | instskip(NEXT) | instid1(VALU_DEP_1)
	v_mul_lo_u32 v5, v5, s11
	v_sub_nc_u32_e32 v3, v3, v5
	s_delay_alu instid0(VALU_DEP_1) | instskip(NEXT) | instid1(VALU_DEP_1)
	v_mad_u64_u32 v[5:6], null, v3, s15, v[2:3]
	v_mov_b32_e32 v2, v5
.LBB23_229:
	v_and_b32_e64 v17, 0xff, s7
	s_delay_alu instid0(VALU_DEP_2) | instskip(NEXT) | instid1(VALU_DEP_1)
	v_add_co_u32 v6, s20, s4, v2
	v_add_co_ci_u32_e64 v7, null, s5, 0, s20
	s_delay_alu instid0(VALU_DEP_3)
	v_cmp_gt_i16_e32 vcc_lo, 11, v17
	s_mov_b32 s21, 0
	s_mov_b32 s22, -1
	s_mov_b32 s20, s51
	s_cbranch_vccnz .LBB23_236
; %bb.230:
	v_cmp_lt_i16_e32 vcc_lo, 25, v17
	s_cbranch_vccz .LBB23_276
; %bb.231:
	v_cmp_lt_i16_e32 vcc_lo, 28, v17
	s_cbranch_vccz .LBB23_277
	;; [unrolled: 3-line block ×4, first 2 shown]
; %bb.234:
	v_cmp_eq_u16_e32 vcc_lo, 46, v17
	s_mov_b32 s22, 0
	s_mov_b32 s20, -1
	s_cbranch_vccz .LBB23_316
; %bb.235:
	s_mov_b32 s21, -1
	s_mov_b32 s20, 0
	global_store_b32 v[6:7], v12, off
	s_branch .LBB23_316
.LBB23_236:
	s_and_b32 vcc_lo, exec_lo, s22
	s_cbranch_vccz .LBB23_361
; %bb.237:
	v_cmp_gt_i16_e32 vcc_lo, 5, v17
	s_mov_b32 s21, -1
	s_cbranch_vccnz .LBB23_258
; %bb.238:
	v_cmp_gt_i16_e32 vcc_lo, 8, v17
	s_cbranch_vccnz .LBB23_248
; %bb.239:
	v_cmp_gt_i16_e32 vcc_lo, 9, v17
	s_cbranch_vccnz .LBB23_245
; %bb.240:
	v_cmp_lt_i16_e32 vcc_lo, 9, v17
	s_cbranch_vccz .LBB23_242
; %bb.241:
	v_mov_b32_e32 v2, 0
	s_mov_b32 s21, 0
	s_delay_alu instid0(VALU_DEP_1)
	v_mov_b32_e32 v3, v2
	global_store_b128 v[6:7], v[0:3], off
.LBB23_242:
	s_and_not1_b32 vcc_lo, exec_lo, s21
	s_cbranch_vccnz .LBB23_244
; %bb.243:
	v_mov_b32_e32 v5, 0
	global_store_b64 v[6:7], v[4:5], off
.LBB23_244:
	s_mov_b32 s21, 0
.LBB23_245:
	s_delay_alu instid0(SALU_CYCLE_1)
	s_and_not1_b32 vcc_lo, exec_lo, s21
	s_cbranch_vccnz .LBB23_247
; %bb.246:
	global_store_b32 v[6:7], v10, off
.LBB23_247:
	s_mov_b32 s21, 0
.LBB23_248:
	s_delay_alu instid0(SALU_CYCLE_1)
	s_and_not1_b32 vcc_lo, exec_lo, s21
	s_cbranch_vccnz .LBB23_257
; %bb.249:
	v_cmp_gt_i16_e32 vcc_lo, 6, v17
	s_mov_b32 s21, -1
	s_cbranch_vccnz .LBB23_255
; %bb.250:
	v_cmp_lt_i16_e32 vcc_lo, 6, v17
	s_cbranch_vccz .LBB23_252
; %bb.251:
	s_mov_b32 s21, 0
	global_store_b64 v[6:7], v[0:1], off
.LBB23_252:
	s_and_not1_b32 vcc_lo, exec_lo, s21
	s_cbranch_vccnz .LBB23_254
; %bb.253:
	global_store_b32 v[6:7], v4, off
.LBB23_254:
	s_mov_b32 s21, 0
.LBB23_255:
	s_delay_alu instid0(SALU_CYCLE_1)
	s_and_not1_b32 vcc_lo, exec_lo, s21
	s_cbranch_vccnz .LBB23_257
; %bb.256:
	global_store_b16 v[6:7], v8, off
.LBB23_257:
	s_mov_b32 s21, 0
.LBB23_258:
	s_delay_alu instid0(SALU_CYCLE_1)
	s_and_not1_b32 vcc_lo, exec_lo, s21
	s_cbranch_vccnz .LBB23_274
; %bb.259:
	v_cmp_gt_i16_e32 vcc_lo, 2, v17
	s_mov_b32 s21, -1
	s_cbranch_vccnz .LBB23_269
; %bb.260:
	v_cmp_gt_i16_e32 vcc_lo, 3, v17
	s_cbranch_vccnz .LBB23_266
; %bb.261:
	v_cmp_lt_i16_e32 vcc_lo, 3, v17
	s_cbranch_vccz .LBB23_263
; %bb.262:
	v_dual_mov_b32 v2, s12 :: v_dual_mov_b32 v3, s13
	s_mov_b32 s21, 0
	global_store_b64 v[6:7], v[2:3], off
.LBB23_263:
	s_and_not1_b32 vcc_lo, exec_lo, s21
	s_cbranch_vccnz .LBB23_265
; %bb.264:
	v_mov_b32_e32 v2, s6
	global_store_b32 v[6:7], v2, off
.LBB23_265:
	s_mov_b32 s21, 0
.LBB23_266:
	s_delay_alu instid0(SALU_CYCLE_1)
	s_and_not1_b32 vcc_lo, exec_lo, s21
	s_cbranch_vccnz .LBB23_268
; %bb.267:
	v_mov_b32_e32 v2, s6
	global_store_b16 v[6:7], v2, off
.LBB23_268:
	s_mov_b32 s21, 0
.LBB23_269:
	s_delay_alu instid0(SALU_CYCLE_1)
	s_and_not1_b32 vcc_lo, exec_lo, s21
	s_cbranch_vccnz .LBB23_274
; %bb.270:
	v_cmp_lt_i16_e32 vcc_lo, 0, v17
	s_mov_b32 s21, -1
	s_cbranch_vccz .LBB23_272
; %bb.271:
	v_mov_b32_e32 v2, s6
	s_mov_b32 s21, 0
	global_store_b8 v[6:7], v2, off
.LBB23_272:
	s_and_not1_b32 vcc_lo, exec_lo, s21
	s_cbranch_vccnz .LBB23_274
; %bb.273:
	v_mov_b32_e32 v2, s6
	global_store_b8 v[6:7], v2, off
.LBB23_274:
	s_branch .LBB23_362
.LBB23_275:
	s_mov_b32 s21, 0
                                        ; implicit-def: $vgpr9
	s_branch .LBB23_363
.LBB23_276:
	s_mov_b32 s20, s51
	s_branch .LBB23_338
.LBB23_277:
	s_mov_b32 s20, s51
	s_branch .LBB23_324
.LBB23_278:
	s_mov_b32 s3, 0
.LBB23_279:
	s_and_b32 vcc_lo, exec_lo, s9
	s_cbranch_vccz .LBB23_284
; %bb.280:
	v_cmp_eq_u16_e64 s3, s4, 44
	s_delay_alu instid0(VALU_DEP_1)
	s_and_b32 vcc_lo, exec_lo, s3
	s_mov_b32 s3, -1
	s_cbranch_vccz .LBB23_284
; %bb.281:
	v_cvt_f32_i32_e32 v5, s2
	v_mov_b32_e32 v6, 0xff
	s_delay_alu instid0(VALU_DEP_2) | instskip(NEXT) | instid1(VALU_DEP_1)
	v_readfirstlane_b32 s3, v5
	s_bfe_u32 s8, s3, 0x80017
	s_delay_alu instid0(SALU_CYCLE_1)
	s_cmpk_eq_i32 s8, 0xff
	s_cbranch_scc1 .LBB23_283
; %bb.282:
	s_bitcmp1_b32 s3, 22
	v_lshrrev_b32_e32 v5, 23, v5
	s_cselect_b32 s9, -1, 0
	s_and_b32 s3, s3, 0x3fffff
	s_delay_alu instid0(SALU_CYCLE_1) | instskip(NEXT) | instid1(SALU_CYCLE_1)
	s_or_b32 s3, s8, s3
	s_cmp_lg_u32 s3, 0
	s_cselect_b32 s3, -1, 0
	s_delay_alu instid0(SALU_CYCLE_1) | instskip(NEXT) | instid1(SALU_CYCLE_1)
	s_and_b32 s3, s9, s3
	v_cndmask_b32_e64 v6, 0, 1, s3
	s_delay_alu instid0(VALU_DEP_1)
	v_add_nc_u32_e32 v6, v5, v6
.LBB23_283:
	s_mov_b32 s3, 0
	s_mov_b32 s8, -1
	global_store_b8 v[3:4], v6, off
.LBB23_284:
	s_branch .LBB23_287
.LBB23_285:
	v_cmp_eq_u16_e64 s3, s4, 29
	s_delay_alu instid0(VALU_DEP_1)
	s_and_b32 vcc_lo, exec_lo, s3
	s_mov_b32 s3, -1
	s_cbranch_vccz .LBB23_287
; %bb.286:
	s_ashr_i32 s3, s2, 31
	s_delay_alu instid0(SALU_CYCLE_1)
	v_dual_mov_b32 v5, s2 :: v_dual_mov_b32 v6, s3
	s_mov_b32 s3, 0
	s_mov_b32 s8, -1
	s_mov_b32 s9, 0
	global_store_b64 v[3:4], v[5:6], off
	s_branch .LBB23_288
.LBB23_287:
	s_mov_b32 s9, 0
.LBB23_288:
	s_delay_alu instid0(SALU_CYCLE_1)
	s_and_b32 vcc_lo, exec_lo, s9
	s_cbranch_vccz .LBB23_307
; %bb.289:
	v_cmp_lt_i16_e64 s8, s4, 27
	s_delay_alu instid0(VALU_DEP_1)
	s_and_b32 vcc_lo, exec_lo, s8
	s_mov_b32 s8, -1
	s_cbranch_vccnz .LBB23_295
; %bb.290:
	v_cmp_gt_i16_e64 s8, s4, 27
	s_delay_alu instid0(VALU_DEP_1)
	s_and_b32 vcc_lo, exec_lo, s8
	s_mov_b32 s8, -1
	s_cbranch_vccz .LBB23_292
; %bb.291:
	v_mov_b32_e32 v5, s2
	s_mov_b32 s8, 0
	global_store_b32 v[3:4], v5, off
.LBB23_292:
	s_and_not1_b32 vcc_lo, exec_lo, s8
	s_cbranch_vccnz .LBB23_294
; %bb.293:
	v_mov_b32_e32 v5, s2
	global_store_b16 v[3:4], v5, off
.LBB23_294:
	s_mov_b32 s8, 0
.LBB23_295:
	s_delay_alu instid0(SALU_CYCLE_1)
	s_and_not1_b32 vcc_lo, exec_lo, s8
	s_cbranch_vccnz .LBB23_306
; %bb.296:
	v_cvt_f32_i32_e32 v5, s2
	v_mov_b32_e32 v6, 0x80
	s_delay_alu instid0(VALU_DEP_2) | instskip(NEXT) | instid1(VALU_DEP_1)
	v_readfirstlane_b32 s8, v5
	s_and_b32 s9, s8, 0x7fffffff
	s_delay_alu instid0(SALU_CYCLE_1)
	s_cmp_gt_u32 s9, 0x437fffff
	s_cbranch_scc1 .LBB23_305
; %bb.297:
	s_cmp_gt_u32 s9, 0x3bffffff
	s_cbranch_scc0 .LBB23_300
; %bb.298:
	s_bfe_u32 s9, s8, 0x10014
	s_mov_b32 s10, 0
	s_add_i32 s9, s8, s9
	s_delay_alu instid0(SALU_CYCLE_1) | instskip(NEXT) | instid1(SALU_CYCLE_1)
	s_add_i32 s9, s9, 0x487ffff
	s_lshr_b32 s11, s9, 20
	s_mov_b32 s9, -1
	s_branch .LBB23_301
.LBB23_299:
	s_mov_b32 s20, s51
	s_branch .LBB23_320
.LBB23_300:
	s_mov_b32 s10, -1
	s_mov_b32 s9, 0
                                        ; implicit-def: $sgpr11
.LBB23_301:
	v_mov_b32_e32 v5, s11
	s_and_not1_b32 vcc_lo, exec_lo, s10
                                        ; implicit-def: $sgpr10
	s_cbranch_vccnz .LBB23_303
; %bb.302:
	v_add_f32_e64 v5, 0x46000000, |s8|
	s_mov_b32 s10, 0
	s_delay_alu instid0(VALU_DEP_1) | instskip(NEXT) | instid1(VALU_DEP_1)
	v_and_b32_e32 v5, 0xff, v5
	v_cmp_ne_u32_e64 s9, 0, v5
.LBB23_303:
	v_mov_b32_e32 v6, s10
	s_delay_alu instid0(VALU_DEP_2)
	s_and_not1_b32 vcc_lo, exec_lo, s9
	s_cbranch_vccnz .LBB23_305
; %bb.304:
	s_lshr_b32 s8, s8, 24
	s_delay_alu instid0(SALU_CYCLE_1) | instskip(NEXT) | instid1(SALU_CYCLE_1)
	s_and_b32 s8, s8, 0x80
	v_or_b32_e32 v6, s8, v5
.LBB23_305:
	global_store_b8 v[3:4], v6, off
.LBB23_306:
	s_mov_b32 s8, -1
.LBB23_307:
	s_mov_b32 s9, 0
.LBB23_308:
	s_delay_alu instid0(SALU_CYCLE_1)
	s_and_b32 vcc_lo, exec_lo, s9
	s_cbranch_vccz .LBB23_469
; %bb.309:
	v_cmp_gt_i16_e64 s5, s4, 22
	s_delay_alu instid0(VALU_DEP_1)
	s_and_b32 vcc_lo, exec_lo, s5
	s_mov_b32 s5, -1
	s_cbranch_vccz .LBB23_462
; %bb.310:
	v_cmp_lt_i16_e64 s5, s4, 24
	s_delay_alu instid0(VALU_DEP_1)
	s_and_b32 vcc_lo, exec_lo, s5
	s_mov_b32 s5, -1
	s_cbranch_vccnz .LBB23_449
; %bb.311:
	v_cmp_gt_i16_e64 s5, s4, 24
	s_delay_alu instid0(VALU_DEP_1)
	s_and_b32 vcc_lo, exec_lo, s5
	s_mov_b32 s5, -1
	s_cbranch_vccz .LBB23_436
; %bb.312:
	v_cvt_f32_i32_e32 v5, s2
	v_mov_b32_e32 v6, 0x80
	s_delay_alu instid0(VALU_DEP_2) | instskip(NEXT) | instid1(VALU_DEP_1)
	v_readfirstlane_b32 s5, v5
	s_and_b32 s8, s5, 0x7fffffff
	s_delay_alu instid0(SALU_CYCLE_1)
	s_cmp_gt_u32 s8, 0x477fffff
	s_cbranch_scc1 .LBB23_435
; %bb.313:
	s_cmp_gt_u32 s8, 0x37ffffff
	s_cbranch_scc0 .LBB23_430
; %bb.314:
	s_bfe_u32 s8, s5, 0x10015
	s_mov_b32 s9, 0
	s_add_i32 s8, s5, s8
	s_delay_alu instid0(SALU_CYCLE_1) | instskip(NEXT) | instid1(SALU_CYCLE_1)
	s_add_i32 s8, s8, 0x88fffff
	s_lshr_b32 s10, s8, 21
	s_mov_b32 s8, -1
	s_branch .LBB23_431
.LBB23_315:
	s_mov_b32 s20, s51
.LBB23_316:
	s_and_b32 vcc_lo, exec_lo, s22
	s_cbranch_vccz .LBB23_319
; %bb.317:
	v_cmp_eq_u16_e32 vcc_lo, 44, v17
	s_mov_b32 s20, -1
	s_cbranch_vccz .LBB23_319
; %bb.318:
	v_cndmask_b32_e64 v2, v16, 0xff, s2
	s_mov_b32 s21, -1
	s_mov_b32 s20, 0
	global_store_b8 v[6:7], v2, off
.LBB23_319:
	s_mov_b32 s22, 0
.LBB23_320:
	s_delay_alu instid0(SALU_CYCLE_1)
	s_and_b32 vcc_lo, exec_lo, s22
	s_cbranch_vccz .LBB23_323
; %bb.321:
	v_cmp_eq_u16_e32 vcc_lo, 29, v17
	s_mov_b32 s20, -1
	s_cbranch_vccz .LBB23_323
; %bb.322:
	v_dual_mov_b32 v2, s12 :: v_dual_mov_b32 v3, s13
	s_mov_b32 s21, -1
	s_mov_b32 s20, 0
	s_mov_b32 s22, 0
	global_store_b64 v[6:7], v[2:3], off
	s_branch .LBB23_324
.LBB23_323:
	s_mov_b32 s22, 0
.LBB23_324:
	s_delay_alu instid0(SALU_CYCLE_1)
	s_and_b32 vcc_lo, exec_lo, s22
	s_cbranch_vccz .LBB23_337
; %bb.325:
	v_cmp_gt_i16_e32 vcc_lo, 27, v17
	s_mov_b32 s21, -1
	s_cbranch_vccnz .LBB23_331
; %bb.326:
	v_cmp_lt_i16_e32 vcc_lo, 27, v17
	s_cbranch_vccz .LBB23_328
; %bb.327:
	v_mov_b32_e32 v2, s6
	s_mov_b32 s21, 0
	global_store_b32 v[6:7], v2, off
.LBB23_328:
	s_and_not1_b32 vcc_lo, exec_lo, s21
	s_cbranch_vccnz .LBB23_330
; %bb.329:
	v_mov_b32_e32 v2, s6
	global_store_b16 v[6:7], v2, off
.LBB23_330:
	s_mov_b32 s21, 0
.LBB23_331:
	s_delay_alu instid0(SALU_CYCLE_1)
	s_and_not1_b32 vcc_lo, exec_lo, s21
	s_cbranch_vccnz .LBB23_336
; %bb.332:
	v_mov_b32_e32 v2, 0x80
	s_and_not1_b32 vcc_lo, exec_lo, s45
	s_cbranch_vccnz .LBB23_335
; %bb.333:
	v_mov_b32_e32 v2, 0
	s_or_b32 s21, s43, s46
	s_delay_alu instid0(SALU_CYCLE_1)
	s_and_not1_b32 vcc_lo, exec_lo, s21
	s_cbranch_vccnz .LBB23_335
; %bb.334:
	v_cndmask_b32_e64 v2, v15, s44, s43
	s_delay_alu instid0(VALU_DEP_1)
	v_or_b32_e32 v2, v2, v13
.LBB23_335:
	global_store_b8 v[6:7], v2, off
.LBB23_336:
	s_mov_b32 s21, -1
.LBB23_337:
	s_mov_b32 s22, 0
.LBB23_338:
	s_delay_alu instid0(SALU_CYCLE_1)
	s_and_b32 vcc_lo, exec_lo, s22
	s_cbranch_vccz .LBB23_360
; %bb.339:
	v_cmp_lt_i16_e32 vcc_lo, 22, v17
	s_mov_b32 s22, -1
	s_cbranch_vccz .LBB23_352
; %bb.340:
	v_cmp_gt_i16_e32 vcc_lo, 24, v17
	s_mov_b32 s21, -1
	s_cbranch_vccnz .LBB23_349
; %bb.341:
	v_cmp_lt_i16_e32 vcc_lo, 24, v17
	s_cbranch_vccz .LBB23_346
; %bb.342:
	v_mov_b32_e32 v2, 0x80
	s_and_not1_b32 vcc_lo, exec_lo, s41
	s_cbranch_vccnz .LBB23_345
; %bb.343:
	v_mov_b32_e32 v2, 0
	s_or_b32 s21, s37, s42
	s_delay_alu instid0(SALU_CYCLE_1)
	s_and_not1_b32 vcc_lo, exec_lo, s21
	s_cbranch_vccnz .LBB23_345
; %bb.344:
	v_cndmask_b32_e64 v2, v14, s39, s37
	s_delay_alu instid0(VALU_DEP_1)
	v_or_b32_e32 v2, v2, v13
.LBB23_345:
	s_mov_b32 s21, 0
	global_store_b8 v[6:7], v2, off
.LBB23_346:
	s_and_b32 vcc_lo, exec_lo, s21
	s_cbranch_vccz .LBB23_348
; %bb.347:
	s_and_b32 s21, s36, exec_lo
	s_cselect_b32 s21, s33, s38
	s_and_b32 s22, s34, exec_lo
	s_cselect_b32 s21, s40, s21
	s_delay_alu instid0(SALU_CYCLE_1)
	v_or_b32_e32 v2, s21, v13
	global_store_b8 v[6:7], v2, off
.LBB23_348:
	s_mov_b32 s21, 0
.LBB23_349:
	s_delay_alu instid0(SALU_CYCLE_1)
	s_and_not1_b32 vcc_lo, exec_lo, s21
	s_cbranch_vccnz .LBB23_351
; %bb.350:
	s_and_b32 s21, s30, exec_lo
	s_cselect_b32 s21, s29, s31
	s_and_b32 s22, s28, exec_lo
	s_cselect_b32 s21, s35, s21
	s_delay_alu instid0(SALU_CYCLE_1)
	v_or_b32_e32 v2, s21, v13
	global_store_b8 v[6:7], v2, off
.LBB23_351:
	s_mov_b32 s22, 0
	s_mov_b32 s21, -1
.LBB23_352:
	s_and_not1_b32 vcc_lo, exec_lo, s22
	s_cbranch_vccnz .LBB23_360
; %bb.353:
	v_cmp_lt_i16_e32 vcc_lo, 14, v17
	s_mov_b32 s22, -1
	s_cbranch_vccz .LBB23_357
; %bb.354:
	v_cmp_eq_u16_e32 vcc_lo, 15, v17
	s_mov_b32 s20, -1
	s_cbranch_vccz .LBB23_356
; %bb.355:
	s_mov_b32 s21, -1
	s_mov_b32 s20, 0
	global_store_b16 v[6:7], v12, off
.LBB23_356:
	s_mov_b32 s22, 0
.LBB23_357:
	s_delay_alu instid0(SALU_CYCLE_1)
	s_and_b32 vcc_lo, exec_lo, s22
	s_cbranch_vccz .LBB23_360
; %bb.358:
	v_cmp_eq_u16_e32 vcc_lo, 11, v17
	s_mov_b32 s20, -1
	s_cbranch_vccz .LBB23_360
; %bb.359:
	s_mov_b32 s21, -1
	s_mov_b32 s20, 0
	global_store_b8 v[6:7], v11, off
.LBB23_360:
.LBB23_361:
	s_and_not1_b32 vcc_lo, exec_lo, s21
	s_cbranch_vccnz .LBB23_275
.LBB23_362:
	v_add_nc_u32_e32 v9, 0x80, v9
	s_mov_b32 s21, -1
.LBB23_363:
	s_and_not1_b32 s22, s51, exec_lo
	s_and_b32 s20, s20, exec_lo
	s_delay_alu instid0(SALU_CYCLE_1)
	s_or_b32 s53, s22, s20
	s_or_not1_b32 s22, s21, exec_lo
.LBB23_364:
	s_or_b32 exec_lo, exec_lo, s54
	s_mov_b32 s20, 0
	s_mov_b32 s21, 0
                                        ; implicit-def: $vgpr17
                                        ; implicit-def: $vgpr6_vgpr7
	s_and_saveexec_b32 s54, s22
	s_cbranch_execz .LBB23_681
; %bb.365:
	s_mov_b32 s56, -1
	s_mov_b32 s22, s53
	s_mov_b32 s55, exec_lo
	v_cmpx_gt_i32_e64 s48, v9
	s_cbranch_execz .LBB23_612
; %bb.366:
	s_and_not1_b32 vcc_lo, exec_lo, s26
	s_cbranch_vccnz .LBB23_371
; %bb.367:
	v_mov_b32_e32 v2, 0
	s_and_not1_b32 vcc_lo, exec_lo, s50
	s_cbranch_vccnz .LBB23_376
; %bb.368:
	s_add_i32 s57, s49, 1
	s_cmp_eq_u32 s25, 2
	s_mov_b32 s56, 0
	s_cbranch_scc1 .LBB23_372
; %bb.369:
	v_dual_mov_b32 v2, 0 :: v_dual_mov_b32 v3, v9
	s_and_b32 s56, s57, 28
	s_mov_b32 s58, 0
	s_mov_b64 s[20:21], s[0:1]
	s_mov_b64 s[22:23], s[18:19]
.LBB23_370:                             ; =>This Inner Loop Header: Depth=1
	s_clause 0x1
	s_load_b256 s[60:67], s[20:21], 0x4
	s_load_b128 s[68:71], s[20:21], 0x24
	s_load_b128 s[72:75], s[22:23], 0x0
	s_add_u32 s20, s20, 48
	s_addc_u32 s21, s21, 0
	s_add_i32 s58, s58, 4
	s_add_u32 s22, s22, 16
	s_addc_u32 s23, s23, 0
	s_cmp_eq_u32 s56, s58
	s_waitcnt lgkmcnt(0)
	v_mul_hi_u32 v5, s61, v3
	s_delay_alu instid0(VALU_DEP_1) | instskip(NEXT) | instid1(VALU_DEP_1)
	v_add_nc_u32_e32 v5, v3, v5
	v_lshrrev_b32_e32 v5, s62, v5
	s_delay_alu instid0(VALU_DEP_1) | instskip(SKIP_1) | instid1(VALU_DEP_2)
	v_mul_hi_u32 v6, s64, v5
	v_mul_lo_u32 v18, v5, s60
	v_add_nc_u32_e32 v6, v5, v6
	s_delay_alu instid0(VALU_DEP_2) | instskip(NEXT) | instid1(VALU_DEP_2)
	v_sub_nc_u32_e32 v18, v3, v18
	v_lshrrev_b32_e32 v6, s65, v6
	s_delay_alu instid0(VALU_DEP_2) | instskip(NEXT) | instid1(VALU_DEP_2)
	v_mul_lo_u32 v18, v18, s72
	v_mul_hi_u32 v7, s67, v6
	v_mul_lo_u32 v19, v6, s63
	s_delay_alu instid0(VALU_DEP_2) | instskip(NEXT) | instid1(VALU_DEP_2)
	v_add_nc_u32_e32 v7, v6, v7
	v_sub_nc_u32_e32 v5, v5, v19
	s_delay_alu instid0(VALU_DEP_2) | instskip(NEXT) | instid1(VALU_DEP_2)
	v_lshrrev_b32_e32 v7, s68, v7
	v_mul_lo_u32 v5, v5, s73
	s_delay_alu instid0(VALU_DEP_2) | instskip(NEXT) | instid1(VALU_DEP_2)
	v_mul_hi_u32 v17, s70, v7
	v_add3_u32 v2, v18, v2, v5
	s_delay_alu instid0(VALU_DEP_2) | instskip(NEXT) | instid1(VALU_DEP_1)
	v_add_nc_u32_e32 v17, v7, v17
	v_lshrrev_b32_e32 v3, s71, v17
	v_mul_lo_u32 v17, v7, s66
	s_delay_alu instid0(VALU_DEP_2) | instskip(NEXT) | instid1(VALU_DEP_2)
	v_mul_lo_u32 v20, v3, s69
	v_sub_nc_u32_e32 v6, v6, v17
	s_delay_alu instid0(VALU_DEP_2) | instskip(NEXT) | instid1(VALU_DEP_2)
	v_sub_nc_u32_e32 v7, v7, v20
	v_mul_lo_u32 v6, v6, s74
	s_delay_alu instid0(VALU_DEP_2) | instskip(NEXT) | instid1(VALU_DEP_1)
	v_mul_lo_u32 v7, v7, s75
	v_add3_u32 v2, v6, v2, v7
	s_cbranch_scc0 .LBB23_370
	s_branch .LBB23_373
.LBB23_371:
	s_mov_b32 s20, -1
                                        ; implicit-def: $vgpr2
	s_branch .LBB23_377
.LBB23_372:
	v_mov_b32_e32 v3, v9
.LBB23_373:
	s_and_b32 s57, s57, 3
	s_delay_alu instid0(SALU_CYCLE_1)
	s_cmp_eq_u32 s57, 0
	s_cbranch_scc1 .LBB23_376
; %bb.374:
	s_lshl_b32 s20, s56, 2
	s_mul_i32 s22, s56, 12
	s_add_u32 s20, s20, s0
	s_addc_u32 s21, s1, 0
	s_add_u32 s20, s20, 0xc4
	s_addc_u32 s21, s21, 0
	;; [unrolled: 2-line block ×3, first 2 shown]
	.p2align	6
.LBB23_375:                             ; =>This Inner Loop Header: Depth=1
	s_clause 0x1
	s_load_b64 s[58:59], s[22:23], 0x4
	s_load_b32 s56, s[22:23], 0xc
	s_add_u32 s22, s22, 12
	s_addc_u32 s23, s23, 0
	s_waitcnt lgkmcnt(0)
	v_mul_hi_u32 v5, s59, v3
	s_load_b32 s59, s[20:21], 0x0
	s_add_u32 s20, s20, 4
	s_addc_u32 s21, s21, 0
	s_add_i32 s57, s57, -1
	s_delay_alu instid0(SALU_CYCLE_1) | instskip(NEXT) | instid1(VALU_DEP_1)
	s_cmp_lg_u32 s57, 0
	v_add_nc_u32_e32 v5, v3, v5
	s_delay_alu instid0(VALU_DEP_1) | instskip(NEXT) | instid1(VALU_DEP_1)
	v_lshrrev_b32_e32 v7, s56, v5
	v_mul_lo_u32 v5, v7, s58
	s_delay_alu instid0(VALU_DEP_1) | instskip(SKIP_1) | instid1(VALU_DEP_1)
	v_sub_nc_u32_e32 v3, v3, v5
	s_waitcnt lgkmcnt(0)
	v_mad_u64_u32 v[5:6], null, v3, s59, v[2:3]
	s_delay_alu instid0(VALU_DEP_1)
	v_dual_mov_b32 v3, v7 :: v_dual_mov_b32 v2, v5
	s_cbranch_scc1 .LBB23_375
.LBB23_376:
	s_mov_b32 s20, 0
.LBB23_377:
	s_delay_alu instid0(SALU_CYCLE_1)
	s_and_not1_b32 vcc_lo, exec_lo, s20
	s_cbranch_vccnz .LBB23_380
; %bb.378:
	v_mul_hi_u32 v2, s9, v9
	s_and_not1_b32 vcc_lo, exec_lo, s47
	s_delay_alu instid0(VALU_DEP_1) | instskip(NEXT) | instid1(VALU_DEP_1)
	v_add_nc_u32_e32 v2, v9, v2
	v_lshrrev_b32_e32 v3, s10, v2
	s_delay_alu instid0(VALU_DEP_1) | instskip(NEXT) | instid1(VALU_DEP_1)
	v_mul_lo_u32 v2, v3, s8
	v_sub_nc_u32_e32 v2, v9, v2
	s_delay_alu instid0(VALU_DEP_1)
	v_mul_lo_u32 v2, v2, s14
	s_cbranch_vccnz .LBB23_380
; %bb.379:
	v_mul_hi_u32 v5, s16, v3
	s_delay_alu instid0(VALU_DEP_1) | instskip(NEXT) | instid1(VALU_DEP_1)
	v_add_nc_u32_e32 v5, v3, v5
	v_lshrrev_b32_e32 v5, s17, v5
	s_delay_alu instid0(VALU_DEP_1) | instskip(NEXT) | instid1(VALU_DEP_1)
	v_mul_lo_u32 v5, v5, s11
	v_sub_nc_u32_e32 v3, v3, v5
	s_delay_alu instid0(VALU_DEP_1) | instskip(NEXT) | instid1(VALU_DEP_1)
	v_mad_u64_u32 v[5:6], null, v3, s15, v[2:3]
	v_mov_b32_e32 v2, v5
.LBB23_380:
	v_and_b32_e64 v17, 0xff, s7
	s_delay_alu instid0(VALU_DEP_2) | instskip(NEXT) | instid1(VALU_DEP_1)
	v_add_co_u32 v6, s20, s4, v2
	v_add_co_ci_u32_e64 v7, null, s5, 0, s20
	s_delay_alu instid0(VALU_DEP_3)
	v_cmp_gt_i16_e32 vcc_lo, 11, v17
	s_mov_b32 s21, 0
	s_mov_b32 s22, -1
	s_mov_b32 s20, s53
	s_cbranch_vccnz .LBB23_387
; %bb.381:
	v_cmp_lt_i16_e32 vcc_lo, 25, v17
	s_cbranch_vccz .LBB23_427
; %bb.382:
	v_cmp_lt_i16_e32 vcc_lo, 28, v17
	s_cbranch_vccz .LBB23_428
	;; [unrolled: 3-line block ×4, first 2 shown]
; %bb.385:
	v_cmp_eq_u16_e32 vcc_lo, 46, v17
	s_mov_b32 s22, 0
	s_mov_b32 s20, -1
	s_cbranch_vccz .LBB23_564
; %bb.386:
	s_mov_b32 s21, -1
	s_mov_b32 s20, 0
	global_store_b32 v[6:7], v12, off
	s_branch .LBB23_564
.LBB23_387:
	s_and_b32 vcc_lo, exec_lo, s22
	s_cbranch_vccz .LBB23_609
; %bb.388:
	v_cmp_gt_i16_e32 vcc_lo, 5, v17
	s_mov_b32 s21, -1
	s_cbranch_vccnz .LBB23_409
; %bb.389:
	v_cmp_gt_i16_e32 vcc_lo, 8, v17
	s_cbranch_vccnz .LBB23_399
; %bb.390:
	v_cmp_gt_i16_e32 vcc_lo, 9, v17
	s_cbranch_vccnz .LBB23_396
; %bb.391:
	v_cmp_lt_i16_e32 vcc_lo, 9, v17
	s_cbranch_vccz .LBB23_393
; %bb.392:
	v_mov_b32_e32 v2, 0
	s_mov_b32 s21, 0
	s_delay_alu instid0(VALU_DEP_1)
	v_mov_b32_e32 v3, v2
	global_store_b128 v[6:7], v[0:3], off
.LBB23_393:
	s_and_not1_b32 vcc_lo, exec_lo, s21
	s_cbranch_vccnz .LBB23_395
; %bb.394:
	v_mov_b32_e32 v5, 0
	global_store_b64 v[6:7], v[4:5], off
.LBB23_395:
	s_mov_b32 s21, 0
.LBB23_396:
	s_delay_alu instid0(SALU_CYCLE_1)
	s_and_not1_b32 vcc_lo, exec_lo, s21
	s_cbranch_vccnz .LBB23_398
; %bb.397:
	global_store_b32 v[6:7], v10, off
.LBB23_398:
	s_mov_b32 s21, 0
.LBB23_399:
	s_delay_alu instid0(SALU_CYCLE_1)
	s_and_not1_b32 vcc_lo, exec_lo, s21
	s_cbranch_vccnz .LBB23_408
; %bb.400:
	v_cmp_gt_i16_e32 vcc_lo, 6, v17
	s_mov_b32 s21, -1
	s_cbranch_vccnz .LBB23_406
; %bb.401:
	v_cmp_lt_i16_e32 vcc_lo, 6, v17
	s_cbranch_vccz .LBB23_403
; %bb.402:
	s_mov_b32 s21, 0
	global_store_b64 v[6:7], v[0:1], off
.LBB23_403:
	s_and_not1_b32 vcc_lo, exec_lo, s21
	s_cbranch_vccnz .LBB23_405
; %bb.404:
	global_store_b32 v[6:7], v4, off
.LBB23_405:
	s_mov_b32 s21, 0
.LBB23_406:
	s_delay_alu instid0(SALU_CYCLE_1)
	s_and_not1_b32 vcc_lo, exec_lo, s21
	s_cbranch_vccnz .LBB23_408
; %bb.407:
	global_store_b16 v[6:7], v8, off
.LBB23_408:
	s_mov_b32 s21, 0
.LBB23_409:
	s_delay_alu instid0(SALU_CYCLE_1)
	s_and_not1_b32 vcc_lo, exec_lo, s21
	s_cbranch_vccnz .LBB23_425
; %bb.410:
	v_cmp_gt_i16_e32 vcc_lo, 2, v17
	s_mov_b32 s21, -1
	s_cbranch_vccnz .LBB23_420
; %bb.411:
	v_cmp_gt_i16_e32 vcc_lo, 3, v17
	s_cbranch_vccnz .LBB23_417
; %bb.412:
	v_cmp_lt_i16_e32 vcc_lo, 3, v17
	s_cbranch_vccz .LBB23_414
; %bb.413:
	v_dual_mov_b32 v2, s12 :: v_dual_mov_b32 v3, s13
	s_mov_b32 s21, 0
	global_store_b64 v[6:7], v[2:3], off
.LBB23_414:
	s_and_not1_b32 vcc_lo, exec_lo, s21
	s_cbranch_vccnz .LBB23_416
; %bb.415:
	v_mov_b32_e32 v2, s6
	global_store_b32 v[6:7], v2, off
.LBB23_416:
	s_mov_b32 s21, 0
.LBB23_417:
	s_delay_alu instid0(SALU_CYCLE_1)
	s_and_not1_b32 vcc_lo, exec_lo, s21
	s_cbranch_vccnz .LBB23_419
; %bb.418:
	v_mov_b32_e32 v2, s6
	global_store_b16 v[6:7], v2, off
.LBB23_419:
	s_mov_b32 s21, 0
.LBB23_420:
	s_delay_alu instid0(SALU_CYCLE_1)
	s_and_not1_b32 vcc_lo, exec_lo, s21
	s_cbranch_vccnz .LBB23_425
; %bb.421:
	v_cmp_lt_i16_e32 vcc_lo, 0, v17
	s_mov_b32 s21, -1
	s_cbranch_vccz .LBB23_423
; %bb.422:
	v_mov_b32_e32 v2, s6
	s_mov_b32 s21, 0
	global_store_b8 v[6:7], v2, off
.LBB23_423:
	s_and_not1_b32 vcc_lo, exec_lo, s21
	s_cbranch_vccnz .LBB23_425
; %bb.424:
	v_mov_b32_e32 v2, s6
	global_store_b8 v[6:7], v2, off
.LBB23_425:
	s_branch .LBB23_610
.LBB23_426:
	s_mov_b32 s21, 0
                                        ; implicit-def: $vgpr9
	s_branch .LBB23_611
.LBB23_427:
	s_mov_b32 s20, s53
	s_branch .LBB23_586
.LBB23_428:
	s_mov_b32 s20, s53
	s_branch .LBB23_572
.LBB23_429:
	s_mov_b32 s20, s53
	s_branch .LBB23_568
.LBB23_430:
	s_mov_b32 s9, -1
	s_mov_b32 s8, 0
                                        ; implicit-def: $sgpr10
.LBB23_431:
	v_mov_b32_e32 v5, s10
	s_and_not1_b32 vcc_lo, exec_lo, s9
                                        ; implicit-def: $sgpr9
	s_cbranch_vccnz .LBB23_433
; %bb.432:
	v_add_f32_e64 v5, 0x42800000, |s5|
	s_mov_b32 s9, 0
	s_delay_alu instid0(VALU_DEP_1) | instskip(NEXT) | instid1(VALU_DEP_1)
	v_and_b32_e32 v5, 0xff, v5
	v_cmp_ne_u32_e64 s8, 0, v5
.LBB23_433:
	v_mov_b32_e32 v6, s9
	s_delay_alu instid0(VALU_DEP_2)
	s_and_not1_b32 vcc_lo, exec_lo, s8
	s_cbranch_vccnz .LBB23_435
; %bb.434:
	s_lshr_b32 s5, s5, 24
	s_delay_alu instid0(SALU_CYCLE_1) | instskip(NEXT) | instid1(SALU_CYCLE_1)
	s_and_b32 s5, s5, 0x80
	v_or_b32_e32 v6, s5, v5
.LBB23_435:
	s_mov_b32 s5, 0
	global_store_b8 v[3:4], v6, off
.LBB23_436:
	s_and_b32 vcc_lo, exec_lo, s5
	s_cbranch_vccz .LBB23_448
; %bb.437:
	v_cvt_f32_i32_e32 v5, s2
	s_delay_alu instid0(VALU_DEP_1) | instskip(NEXT) | instid1(VALU_DEP_1)
	v_readfirstlane_b32 s5, v5
	s_and_b32 s8, s5, 0x7fffffff
	s_delay_alu instid0(SALU_CYCLE_1)
	s_cmp_lt_u32 s8, 0x43f00000
	s_cbranch_scc0 .LBB23_440
; %bb.438:
	s_cmp_gt_u32 s8, 0x3c7fffff
	s_cbranch_scc0 .LBB23_441
; %bb.439:
	s_bfe_u32 s9, s5, 0x10014
	s_delay_alu instid0(SALU_CYCLE_1) | instskip(NEXT) | instid1(SALU_CYCLE_1)
	s_add_i32 s9, s5, s9
	s_add_i32 s9, s9, 0x407ffff
	s_delay_alu instid0(SALU_CYCLE_1)
	s_and_b32 s10, s9, 0xff00000
	s_lshr_b32 s9, s9, 20
	s_cmp_lg_u32 s10, 0x7f00000
	s_cselect_b32 s10, s9, 0x7e
	s_mov_b32 s9, 0
	s_branch .LBB23_442
.LBB23_440:
	s_mov_b32 s9, -1
                                        ; implicit-def: $vgpr6
	s_branch .LBB23_445
.LBB23_441:
	s_mov_b32 s9, -1
                                        ; implicit-def: $sgpr10
.LBB23_442:
	v_mov_b32_e32 v6, s10
	s_and_not1_b32 vcc_lo, exec_lo, s9
	s_cbranch_vccnz .LBB23_444
; %bb.443:
	v_add_f32_e64 v6, 0x46800000, |v5|
.LBB23_444:
	s_mov_b32 s9, 0
.LBB23_445:
	s_delay_alu instid0(SALU_CYCLE_1)
	s_and_not1_b32 vcc_lo, exec_lo, s9
	s_cbranch_vccnz .LBB23_447
; %bb.446:
	s_cmp_gt_u32 s8, 0x7f800000
	s_movk_i32 s8, 0x7f
	s_delay_alu instid0(SALU_CYCLE_1) | instskip(NEXT) | instid1(SALU_CYCLE_1)
	s_cselect_b32 s8, s8, 0x7e
	v_mov_b32_e32 v6, s8
.LBB23_447:
	s_lshr_b32 s5, s5, 24
	s_delay_alu instid0(SALU_CYCLE_1)
	s_and_b32 s5, s5, 0x80
	s_delay_alu instid0(VALU_DEP_1) | instid1(SALU_CYCLE_1)
	v_or_b32_e32 v5, s5, v6
	global_store_b8 v[3:4], v5, off
.LBB23_448:
	s_mov_b32 s5, 0
.LBB23_449:
	s_delay_alu instid0(SALU_CYCLE_1)
	s_and_not1_b32 vcc_lo, exec_lo, s5
	s_cbranch_vccnz .LBB23_461
; %bb.450:
	v_cvt_f32_i32_e32 v5, s2
	s_delay_alu instid0(VALU_DEP_1) | instskip(NEXT) | instid1(VALU_DEP_1)
	v_readfirstlane_b32 s5, v5
	s_and_b32 s8, s5, 0x7fffffff
	s_delay_alu instid0(SALU_CYCLE_1)
	s_cmp_lt_u32 s8, 0x47800000
	s_cbranch_scc0 .LBB23_453
; %bb.451:
	s_cmp_gt_u32 s8, 0x387fffff
	s_cbranch_scc0 .LBB23_454
; %bb.452:
	s_bfe_u32 s9, s5, 0x10015
	s_delay_alu instid0(SALU_CYCLE_1) | instskip(NEXT) | instid1(SALU_CYCLE_1)
	s_add_i32 s9, s5, s9
	s_add_i32 s9, s9, 0x80fffff
	s_delay_alu instid0(SALU_CYCLE_1)
	s_lshr_b32 s10, s9, 21
	s_mov_b32 s9, 0
	s_branch .LBB23_455
.LBB23_453:
	s_mov_b32 s9, -1
                                        ; implicit-def: $vgpr6
	s_branch .LBB23_458
.LBB23_454:
	s_mov_b32 s9, -1
                                        ; implicit-def: $sgpr10
.LBB23_455:
	v_mov_b32_e32 v6, s10
	s_and_not1_b32 vcc_lo, exec_lo, s9
	s_cbranch_vccnz .LBB23_457
; %bb.456:
	v_add_f32_e64 v6, 0x43000000, |v5|
.LBB23_457:
	s_mov_b32 s9, 0
.LBB23_458:
	s_delay_alu instid0(SALU_CYCLE_1)
	s_and_not1_b32 vcc_lo, exec_lo, s9
	s_cbranch_vccnz .LBB23_460
; %bb.459:
	s_cmp_gt_u32 s8, 0x7f800000
	s_movk_i32 s8, 0x7f
	s_delay_alu instid0(SALU_CYCLE_1) | instskip(NEXT) | instid1(SALU_CYCLE_1)
	s_cselect_b32 s8, s8, 0x7c
	v_mov_b32_e32 v6, s8
.LBB23_460:
	s_lshr_b32 s5, s5, 24
	s_delay_alu instid0(SALU_CYCLE_1)
	s_and_b32 s5, s5, 0x80
	s_delay_alu instid0(VALU_DEP_1) | instid1(SALU_CYCLE_1)
	v_or_b32_e32 v5, s5, v6
	global_store_b8 v[3:4], v5, off
.LBB23_461:
	s_mov_b32 s5, 0
	s_mov_b32 s8, -1
.LBB23_462:
	s_and_not1_b32 vcc_lo, exec_lo, s5
	s_mov_b32 s5, 0
	s_cbranch_vccnz .LBB23_469
; %bb.463:
	v_cmp_gt_i16_e64 s5, s4, 14
	s_delay_alu instid0(VALU_DEP_1)
	s_and_b32 vcc_lo, exec_lo, s5
	s_mov_b32 s5, -1
	s_cbranch_vccz .LBB23_467
; %bb.464:
	v_cmp_eq_u16_e64 s3, s4, 15
	s_delay_alu instid0(VALU_DEP_1)
	s_and_b32 vcc_lo, exec_lo, s3
	s_mov_b32 s3, -1
	s_cbranch_vccz .LBB23_466
; %bb.465:
	v_cvt_f32_i32_e32 v5, s2
	s_mov_b32 s3, 0
	s_mov_b32 s8, -1
	s_delay_alu instid0(VALU_DEP_1) | instskip(NEXT) | instid1(VALU_DEP_1)
	v_bfe_u32 v6, v5, 16, 1
	v_add_nc_u32_e32 v5, v5, v6
	s_delay_alu instid0(VALU_DEP_1)
	v_add_nc_u32_e32 v5, 0x7fff, v5
	global_store_d16_hi_b16 v[3:4], v5, off
.LBB23_466:
	s_mov_b32 s5, 0
.LBB23_467:
	s_delay_alu instid0(SALU_CYCLE_1)
	s_and_b32 vcc_lo, exec_lo, s5
	s_mov_b32 s5, 0
	s_cbranch_vccz .LBB23_469
; %bb.468:
	v_cmp_ne_u16_e64 s3, s4, 11
	s_mov_b32 s5, -1
.LBB23_469:
	s_delay_alu instid0(VALU_DEP_1)
	s_and_b32 vcc_lo, exec_lo, s3
	s_mov_b32 s3, s6
	s_cbranch_vccnz .LBB23_522
; %bb.470:
	s_and_not1_b32 vcc_lo, exec_lo, s5
	s_cbranch_vccnz .LBB23_472
.LBB23_471:
	s_cmp_lg_u32 s2, 0
	s_mov_b32 s8, -1
	s_cselect_b32 s5, -1, 0
	s_delay_alu instid0(SALU_CYCLE_1)
	v_cndmask_b32_e64 v5, 0, 1, s5
	global_store_b8 v[3:4], v5, off
.LBB23_472:
	s_mov_b32 s5, 0
.LBB23_473:
	s_delay_alu instid0(SALU_CYCLE_1)
	s_and_b32 vcc_lo, exec_lo, s5
	s_cbranch_vccz .LBB23_512
; %bb.474:
	v_cmp_lt_i16_e64 s5, s4, 5
	s_delay_alu instid0(VALU_DEP_1)
	s_and_b32 vcc_lo, exec_lo, s5
	s_mov_b32 s5, -1
	s_cbranch_vccnz .LBB23_495
; %bb.475:
	v_cmp_lt_i16_e64 s5, s4, 8
	s_delay_alu instid0(VALU_DEP_1)
	s_and_b32 vcc_lo, exec_lo, s5
	s_mov_b32 s5, -1
	s_cbranch_vccnz .LBB23_485
	;; [unrolled: 6-line block ×3, first 2 shown]
; %bb.477:
	v_cmp_gt_i16_e64 s5, s4, 9
	s_delay_alu instid0(VALU_DEP_1)
	s_and_b32 vcc_lo, exec_lo, s5
	s_mov_b32 s5, -1
	s_cbranch_vccz .LBB23_479
; %bb.478:
	v_cvt_f64_i32_e32 v[5:6], s2
	v_mov_b32_e32 v7, 0
	s_mov_b32 s5, 0
	s_delay_alu instid0(VALU_DEP_1)
	v_mov_b32_e32 v8, v7
	global_store_b128 v[3:4], v[5:8], off
.LBB23_479:
	s_and_not1_b32 vcc_lo, exec_lo, s5
	s_cbranch_vccnz .LBB23_481
; %bb.480:
	v_cvt_f32_i32_e32 v5, s2
	v_mov_b32_e32 v6, 0
	global_store_b64 v[3:4], v[5:6], off
.LBB23_481:
	s_mov_b32 s5, 0
.LBB23_482:
	s_delay_alu instid0(SALU_CYCLE_1)
	s_and_not1_b32 vcc_lo, exec_lo, s5
	s_cbranch_vccnz .LBB23_484
; %bb.483:
	v_cvt_f32_i32_e32 v5, s2
	s_delay_alu instid0(VALU_DEP_1) | instskip(NEXT) | instid1(VALU_DEP_1)
	v_cvt_f16_f32_e32 v5, v5
	v_and_b32_e32 v5, 0xffff, v5
	global_store_b32 v[3:4], v5, off
.LBB23_484:
	s_mov_b32 s5, 0
.LBB23_485:
	s_delay_alu instid0(SALU_CYCLE_1)
	s_and_not1_b32 vcc_lo, exec_lo, s5
	s_cbranch_vccnz .LBB23_494
; %bb.486:
	v_cmp_lt_i16_e64 s5, s4, 6
	s_delay_alu instid0(VALU_DEP_1)
	s_and_b32 vcc_lo, exec_lo, s5
	s_mov_b32 s5, -1
	s_cbranch_vccnz .LBB23_492
; %bb.487:
	v_cmp_gt_i16_e64 s5, s4, 6
	s_delay_alu instid0(VALU_DEP_1)
	s_and_b32 vcc_lo, exec_lo, s5
	s_mov_b32 s5, -1
	s_cbranch_vccz .LBB23_489
; %bb.488:
	v_cvt_f64_i32_e32 v[5:6], s2
	s_mov_b32 s5, 0
	global_store_b64 v[3:4], v[5:6], off
.LBB23_489:
	s_and_not1_b32 vcc_lo, exec_lo, s5
	s_cbranch_vccnz .LBB23_491
; %bb.490:
	v_cvt_f32_i32_e32 v5, s2
	global_store_b32 v[3:4], v5, off
.LBB23_491:
	s_mov_b32 s5, 0
.LBB23_492:
	s_delay_alu instid0(SALU_CYCLE_1)
	s_and_not1_b32 vcc_lo, exec_lo, s5
	s_cbranch_vccnz .LBB23_494
; %bb.493:
	v_cvt_f32_i32_e32 v5, s2
	s_delay_alu instid0(VALU_DEP_1)
	v_cvt_f16_f32_e32 v5, v5
	global_store_b16 v[3:4], v5, off
.LBB23_494:
	s_mov_b32 s5, 0
.LBB23_495:
	s_delay_alu instid0(SALU_CYCLE_1)
	s_and_not1_b32 vcc_lo, exec_lo, s5
	s_cbranch_vccnz .LBB23_511
; %bb.496:
	v_cmp_lt_i16_e64 s5, s4, 2
	s_delay_alu instid0(VALU_DEP_1)
	s_and_b32 vcc_lo, exec_lo, s5
	s_mov_b32 s5, -1
	s_cbranch_vccnz .LBB23_506
; %bb.497:
	v_cmp_lt_i16_e64 s5, s4, 3
	s_delay_alu instid0(VALU_DEP_1)
	s_and_b32 vcc_lo, exec_lo, s5
	s_mov_b32 s5, -1
	s_cbranch_vccnz .LBB23_503
; %bb.498:
	v_cmp_gt_i16_e64 s5, s4, 3
	s_delay_alu instid0(VALU_DEP_1)
	s_and_b32 vcc_lo, exec_lo, s5
	s_mov_b32 s5, -1
	s_cbranch_vccz .LBB23_500
; %bb.499:
	s_ashr_i32 s5, s2, 31
	s_delay_alu instid0(SALU_CYCLE_1)
	v_dual_mov_b32 v5, s2 :: v_dual_mov_b32 v6, s5
	s_mov_b32 s5, 0
	global_store_b64 v[3:4], v[5:6], off
.LBB23_500:
	s_and_not1_b32 vcc_lo, exec_lo, s5
	s_cbranch_vccnz .LBB23_502
; %bb.501:
	v_mov_b32_e32 v5, s2
	global_store_b32 v[3:4], v5, off
.LBB23_502:
	s_mov_b32 s5, 0
.LBB23_503:
	s_delay_alu instid0(SALU_CYCLE_1)
	s_and_not1_b32 vcc_lo, exec_lo, s5
	s_cbranch_vccnz .LBB23_505
; %bb.504:
	v_mov_b32_e32 v5, s2
	global_store_b16 v[3:4], v5, off
.LBB23_505:
	s_mov_b32 s5, 0
.LBB23_506:
	s_delay_alu instid0(SALU_CYCLE_1)
	s_and_not1_b32 vcc_lo, exec_lo, s5
	s_cbranch_vccnz .LBB23_511
; %bb.507:
	v_cmp_gt_i16_e64 s5, s4, 0
	s_delay_alu instid0(VALU_DEP_1)
	s_and_b32 vcc_lo, exec_lo, s5
	s_mov_b32 s5, -1
	s_cbranch_vccz .LBB23_509
; %bb.508:
	v_mov_b32_e32 v5, s2
	s_mov_b32 s5, 0
	global_store_b8 v[3:4], v5, off
.LBB23_509:
	s_and_not1_b32 vcc_lo, exec_lo, s5
	s_cbranch_vccnz .LBB23_511
; %bb.510:
	v_mov_b32_e32 v5, s2
	global_store_b8 v[3:4], v5, off
.LBB23_511:
	s_mov_b32 s8, -1
.LBB23_512:
	s_delay_alu instid0(SALU_CYCLE_1)
	s_and_not1_b32 vcc_lo, exec_lo, s8
	s_cbranch_vccnz .LBB23_910
; %bb.513:
	v_cmp_lt_i16_e64 s5, s4, 11
	v_add_co_u32 v2, s8, s0, v2
	s_delay_alu instid0(VALU_DEP_1) | instskip(SKIP_1) | instid1(VALU_DEP_3)
	v_add_co_ci_u32_e64 v3, null, s1, 0, s8
	s_mov_b32 s9, 0
	s_and_b32 vcc_lo, exec_lo, s5
	s_mov_b32 s5, -1
	s_cbranch_vccnz .LBB23_729
; %bb.514:
	v_cmp_gt_i16_e64 s5, s4, 25
	s_mov_b32 s10, -1
	s_mov_b32 s8, 0
	s_delay_alu instid0(VALU_DEP_1)
	s_and_b32 vcc_lo, exec_lo, s5
	s_mov_b32 s5, 0
	s_cbranch_vccz .LBB23_556
; %bb.515:
	v_cmp_gt_i16_e64 s5, s4, 28
	s_delay_alu instid0(VALU_DEP_1)
	s_and_b32 vcc_lo, exec_lo, s5
	s_cbranch_vccz .LBB23_520
; %bb.516:
	v_cmp_gt_i16_e64 s5, s4, 43
	s_delay_alu instid0(VALU_DEP_1)
	s_and_b32 vcc_lo, exec_lo, s5
	;; [unrolled: 5-line block ×3, first 2 shown]
	s_cbranch_vccz .LBB23_524
; %bb.518:
	v_cmp_eq_u16_e64 s9, s4, 46
	s_mov_b32 s5, -1
	s_mov_b32 s10, 0
	s_delay_alu instid0(VALU_DEP_1)
	s_and_b32 vcc_lo, exec_lo, s9
	s_mov_b32 s9, 0
	s_cbranch_vccz .LBB23_525
; %bb.519:
	v_cvt_f32_i32_e32 v4, s2
	s_mov_b32 s5, 0
	s_mov_b32 s9, -1
	s_delay_alu instid0(VALU_DEP_1) | instskip(NEXT) | instid1(VALU_DEP_1)
	v_bfe_u32 v5, v4, 16, 1
	v_add_nc_u32_e32 v4, v4, v5
	s_delay_alu instid0(VALU_DEP_1) | instskip(NEXT) | instid1(VALU_DEP_1)
	v_add_nc_u32_e32 v4, 0x7fff, v4
	v_lshrrev_b32_e32 v4, 16, v4
	global_store_b32 v[2:3], v4, off
	s_branch .LBB23_525
.LBB23_520:
	s_mov_b32 s5, 0
	s_branch .LBB23_535
.LBB23_521:
	s_mov_b32 s5, 0
	s_branch .LBB23_531
.LBB23_522:
	s_cbranch_execnz .LBB23_546
; %bb.523:
	s_or_b32 s3, s6, exec_lo
	s_cbranch_execz .LBB23_471
	s_branch .LBB23_472
.LBB23_524:
	s_mov_b32 s5, 0
.LBB23_525:
	s_and_b32 vcc_lo, exec_lo, s10
	s_cbranch_vccz .LBB23_530
; %bb.526:
	v_cmp_eq_u16_e64 s5, s4, 44
	s_delay_alu instid0(VALU_DEP_1)
	s_and_b32 vcc_lo, exec_lo, s5
	s_mov_b32 s5, -1
	s_cbranch_vccz .LBB23_530
; %bb.527:
	v_cvt_f32_i32_e32 v4, s2
	v_mov_b32_e32 v5, 0xff
	s_delay_alu instid0(VALU_DEP_2) | instskip(NEXT) | instid1(VALU_DEP_1)
	v_readfirstlane_b32 s5, v4
	s_bfe_u32 s9, s5, 0x80017
	s_delay_alu instid0(SALU_CYCLE_1)
	s_cmpk_eq_i32 s9, 0xff
	s_cbranch_scc1 .LBB23_529
; %bb.528:
	s_bitcmp1_b32 s5, 22
	v_lshrrev_b32_e32 v4, 23, v4
	s_cselect_b32 s10, -1, 0
	s_and_b32 s5, s5, 0x3fffff
	s_delay_alu instid0(SALU_CYCLE_1) | instskip(NEXT) | instid1(SALU_CYCLE_1)
	s_or_b32 s5, s9, s5
	s_cmp_lg_u32 s5, 0
	s_cselect_b32 s5, -1, 0
	s_delay_alu instid0(SALU_CYCLE_1) | instskip(NEXT) | instid1(SALU_CYCLE_1)
	s_and_b32 s5, s10, s5
	v_cndmask_b32_e64 v5, 0, 1, s5
	s_delay_alu instid0(VALU_DEP_1)
	v_add_nc_u32_e32 v5, v4, v5
.LBB23_529:
	s_mov_b32 s5, 0
	s_mov_b32 s9, -1
	global_store_b8 v[2:3], v5, off
.LBB23_530:
	s_mov_b32 s10, 0
.LBB23_531:
	s_delay_alu instid0(SALU_CYCLE_1)
	s_and_b32 vcc_lo, exec_lo, s10
	s_cbranch_vccz .LBB23_534
; %bb.532:
	v_cmp_eq_u16_e64 s5, s4, 29
	s_delay_alu instid0(VALU_DEP_1)
	s_and_b32 vcc_lo, exec_lo, s5
	s_mov_b32 s5, -1
	s_cbranch_vccz .LBB23_534
; %bb.533:
	s_ashr_i32 s5, s2, 31
	s_delay_alu instid0(SALU_CYCLE_1)
	v_dual_mov_b32 v4, s2 :: v_dual_mov_b32 v5, s5
	s_mov_b32 s5, 0
	s_mov_b32 s9, -1
	s_mov_b32 s10, 0
	global_store_b64 v[2:3], v[4:5], off
	s_branch .LBB23_535
.LBB23_534:
	s_mov_b32 s10, 0
.LBB23_535:
	s_delay_alu instid0(SALU_CYCLE_1)
	s_and_b32 vcc_lo, exec_lo, s10
	s_cbranch_vccz .LBB23_555
; %bb.536:
	v_cmp_lt_i16_e64 s9, s4, 27
	s_delay_alu instid0(VALU_DEP_1)
	s_and_b32 vcc_lo, exec_lo, s9
	s_mov_b32 s9, -1
	s_cbranch_vccnz .LBB23_542
; %bb.537:
	v_cmp_gt_i16_e64 s9, s4, 27
	s_delay_alu instid0(VALU_DEP_1)
	s_and_b32 vcc_lo, exec_lo, s9
	s_mov_b32 s9, -1
	s_cbranch_vccz .LBB23_539
; %bb.538:
	v_mov_b32_e32 v4, s2
	s_mov_b32 s9, 0
	global_store_b32 v[2:3], v4, off
.LBB23_539:
	s_and_not1_b32 vcc_lo, exec_lo, s9
	s_cbranch_vccnz .LBB23_541
; %bb.540:
	v_mov_b32_e32 v4, s2
	global_store_b16 v[2:3], v4, off
.LBB23_541:
	s_mov_b32 s9, 0
.LBB23_542:
	s_delay_alu instid0(SALU_CYCLE_1)
	s_and_not1_b32 vcc_lo, exec_lo, s9
	s_cbranch_vccnz .LBB23_554
; %bb.543:
	v_cvt_f32_i32_e32 v4, s2
	v_mov_b32_e32 v5, 0x80
	s_delay_alu instid0(VALU_DEP_2) | instskip(NEXT) | instid1(VALU_DEP_1)
	v_readfirstlane_b32 s9, v4
	s_and_b32 s10, s9, 0x7fffffff
	s_delay_alu instid0(SALU_CYCLE_1)
	s_cmp_gt_u32 s10, 0x437fffff
	s_cbranch_scc1 .LBB23_553
; %bb.544:
	s_cmp_gt_u32 s10, 0x3bffffff
	s_cbranch_scc0 .LBB23_548
; %bb.545:
	s_bfe_u32 s10, s9, 0x10014
	s_mov_b32 s11, 0
	s_add_i32 s10, s9, s10
	s_delay_alu instid0(SALU_CYCLE_1) | instskip(NEXT) | instid1(SALU_CYCLE_1)
	s_add_i32 s10, s10, 0x487ffff
	s_lshr_b32 s12, s10, 20
	s_mov_b32 s10, -1
	s_branch .LBB23_549
.LBB23_546:
	s_trap 2
	s_sendmsg_rtn_b32 s0, sendmsg(MSG_RTN_GET_DOORBELL)
	s_mov_b32 ttmp2, m0
	s_waitcnt lgkmcnt(0)
	s_and_b32 s0, s0, 0x3ff
	s_delay_alu instid0(SALU_CYCLE_1) | instskip(NEXT) | instid1(SALU_CYCLE_1)
	s_bitset1_b32 s0, 10
	s_mov_b32 m0, s0
	s_sendmsg sendmsg(MSG_INTERRUPT)
	s_mov_b32 m0, ttmp2
.LBB23_547:                             ; =>This Inner Loop Header: Depth=1
	s_sethalt 5
	s_branch .LBB23_547
.LBB23_548:
	s_mov_b32 s11, -1
	s_mov_b32 s10, 0
                                        ; implicit-def: $sgpr12
.LBB23_549:
	v_mov_b32_e32 v4, s12
	s_and_not1_b32 vcc_lo, exec_lo, s11
                                        ; implicit-def: $sgpr11
	s_cbranch_vccnz .LBB23_551
; %bb.550:
	v_add_f32_e64 v4, 0x46000000, |s9|
	s_mov_b32 s11, 0
	s_delay_alu instid0(VALU_DEP_1) | instskip(NEXT) | instid1(VALU_DEP_1)
	v_and_b32_e32 v4, 0xff, v4
	v_cmp_ne_u32_e64 s10, 0, v4
.LBB23_551:
	v_mov_b32_e32 v5, s11
	s_delay_alu instid0(VALU_DEP_2)
	s_and_not1_b32 vcc_lo, exec_lo, s10
	s_cbranch_vccnz .LBB23_553
; %bb.552:
	s_lshr_b32 s9, s9, 24
	s_delay_alu instid0(SALU_CYCLE_1) | instskip(NEXT) | instid1(SALU_CYCLE_1)
	s_and_b32 s9, s9, 0x80
	v_or_b32_e32 v5, s9, v4
.LBB23_553:
	global_store_b8 v[2:3], v5, off
.LBB23_554:
	s_mov_b32 s9, -1
.LBB23_555:
	s_mov_b32 s10, 0
.LBB23_556:
	s_delay_alu instid0(SALU_CYCLE_1)
	s_and_b32 vcc_lo, exec_lo, s10
	s_cbranch_vccz .LBB23_725
; %bb.557:
	v_cmp_gt_i16_e64 s8, s4, 22
	s_delay_alu instid0(VALU_DEP_1)
	s_and_b32 vcc_lo, exec_lo, s8
	s_mov_b32 s8, -1
	s_cbranch_vccz .LBB23_718
; %bb.558:
	v_cmp_lt_i16_e64 s8, s4, 24
	s_delay_alu instid0(VALU_DEP_1)
	s_and_b32 vcc_lo, exec_lo, s8
	s_mov_b32 s8, -1
	s_cbranch_vccnz .LBB23_705
; %bb.559:
	v_cmp_gt_i16_e64 s8, s4, 24
	s_delay_alu instid0(VALU_DEP_1)
	s_and_b32 vcc_lo, exec_lo, s8
	s_mov_b32 s8, -1
	s_cbranch_vccz .LBB23_692
; %bb.560:
	v_cvt_f32_i32_e32 v4, s2
	v_mov_b32_e32 v5, 0x80
	s_delay_alu instid0(VALU_DEP_2) | instskip(NEXT) | instid1(VALU_DEP_1)
	v_readfirstlane_b32 s8, v4
	s_and_b32 s9, s8, 0x7fffffff
	s_delay_alu instid0(SALU_CYCLE_1)
	s_cmp_gt_u32 s9, 0x477fffff
	s_cbranch_scc1 .LBB23_691
; %bb.561:
	s_cmp_gt_u32 s9, 0x37ffffff
	s_cbranch_scc0 .LBB23_686
; %bb.562:
	s_bfe_u32 s9, s8, 0x10015
	s_mov_b32 s10, 0
	s_add_i32 s9, s8, s9
	s_delay_alu instid0(SALU_CYCLE_1) | instskip(NEXT) | instid1(SALU_CYCLE_1)
	s_add_i32 s9, s9, 0x88fffff
	s_lshr_b32 s11, s9, 21
	s_mov_b32 s9, -1
	s_branch .LBB23_687
.LBB23_563:
	s_mov_b32 s20, s53
.LBB23_564:
	s_and_b32 vcc_lo, exec_lo, s22
	s_cbranch_vccz .LBB23_567
; %bb.565:
	v_cmp_eq_u16_e32 vcc_lo, 44, v17
	s_mov_b32 s20, -1
	s_cbranch_vccz .LBB23_567
; %bb.566:
	v_cndmask_b32_e64 v2, v16, 0xff, s2
	s_mov_b32 s21, -1
	s_mov_b32 s20, 0
	global_store_b8 v[6:7], v2, off
.LBB23_567:
	s_mov_b32 s22, 0
.LBB23_568:
	s_delay_alu instid0(SALU_CYCLE_1)
	s_and_b32 vcc_lo, exec_lo, s22
	s_cbranch_vccz .LBB23_571
; %bb.569:
	v_cmp_eq_u16_e32 vcc_lo, 29, v17
	s_mov_b32 s20, -1
	s_cbranch_vccz .LBB23_571
; %bb.570:
	v_dual_mov_b32 v2, s12 :: v_dual_mov_b32 v3, s13
	s_mov_b32 s21, -1
	s_mov_b32 s20, 0
	s_mov_b32 s22, 0
	global_store_b64 v[6:7], v[2:3], off
	s_branch .LBB23_572
.LBB23_571:
	s_mov_b32 s22, 0
.LBB23_572:
	s_delay_alu instid0(SALU_CYCLE_1)
	s_and_b32 vcc_lo, exec_lo, s22
	s_cbranch_vccz .LBB23_585
; %bb.573:
	v_cmp_gt_i16_e32 vcc_lo, 27, v17
	s_mov_b32 s21, -1
	s_cbranch_vccnz .LBB23_579
; %bb.574:
	v_cmp_lt_i16_e32 vcc_lo, 27, v17
	s_cbranch_vccz .LBB23_576
; %bb.575:
	v_mov_b32_e32 v2, s6
	s_mov_b32 s21, 0
	global_store_b32 v[6:7], v2, off
.LBB23_576:
	s_and_not1_b32 vcc_lo, exec_lo, s21
	s_cbranch_vccnz .LBB23_578
; %bb.577:
	v_mov_b32_e32 v2, s6
	global_store_b16 v[6:7], v2, off
.LBB23_578:
	s_mov_b32 s21, 0
.LBB23_579:
	s_delay_alu instid0(SALU_CYCLE_1)
	s_and_not1_b32 vcc_lo, exec_lo, s21
	s_cbranch_vccnz .LBB23_584
; %bb.580:
	v_mov_b32_e32 v2, 0x80
	s_and_not1_b32 vcc_lo, exec_lo, s45
	s_cbranch_vccnz .LBB23_583
; %bb.581:
	v_mov_b32_e32 v2, 0
	s_or_b32 s21, s43, s46
	s_delay_alu instid0(SALU_CYCLE_1)
	s_and_not1_b32 vcc_lo, exec_lo, s21
	s_cbranch_vccnz .LBB23_583
; %bb.582:
	v_cndmask_b32_e64 v2, v15, s44, s43
	s_delay_alu instid0(VALU_DEP_1)
	v_or_b32_e32 v2, v2, v13
.LBB23_583:
	global_store_b8 v[6:7], v2, off
.LBB23_584:
	s_mov_b32 s21, -1
.LBB23_585:
	s_mov_b32 s22, 0
.LBB23_586:
	s_delay_alu instid0(SALU_CYCLE_1)
	s_and_b32 vcc_lo, exec_lo, s22
	s_cbranch_vccz .LBB23_608
; %bb.587:
	v_cmp_lt_i16_e32 vcc_lo, 22, v17
	s_mov_b32 s22, -1
	s_cbranch_vccz .LBB23_600
; %bb.588:
	v_cmp_gt_i16_e32 vcc_lo, 24, v17
	s_mov_b32 s21, -1
	s_cbranch_vccnz .LBB23_597
; %bb.589:
	v_cmp_lt_i16_e32 vcc_lo, 24, v17
	s_cbranch_vccz .LBB23_594
; %bb.590:
	v_mov_b32_e32 v2, 0x80
	s_and_not1_b32 vcc_lo, exec_lo, s41
	s_cbranch_vccnz .LBB23_593
; %bb.591:
	v_mov_b32_e32 v2, 0
	s_or_b32 s21, s37, s42
	s_delay_alu instid0(SALU_CYCLE_1)
	s_and_not1_b32 vcc_lo, exec_lo, s21
	s_cbranch_vccnz .LBB23_593
; %bb.592:
	v_cndmask_b32_e64 v2, v14, s39, s37
	s_delay_alu instid0(VALU_DEP_1)
	v_or_b32_e32 v2, v2, v13
.LBB23_593:
	s_mov_b32 s21, 0
	global_store_b8 v[6:7], v2, off
.LBB23_594:
	s_and_b32 vcc_lo, exec_lo, s21
	s_cbranch_vccz .LBB23_596
; %bb.595:
	s_and_b32 s21, s36, exec_lo
	s_cselect_b32 s21, s33, s38
	s_and_b32 s22, s34, exec_lo
	s_cselect_b32 s21, s40, s21
	s_delay_alu instid0(SALU_CYCLE_1)
	v_or_b32_e32 v2, s21, v13
	global_store_b8 v[6:7], v2, off
.LBB23_596:
	s_mov_b32 s21, 0
.LBB23_597:
	s_delay_alu instid0(SALU_CYCLE_1)
	s_and_not1_b32 vcc_lo, exec_lo, s21
	s_cbranch_vccnz .LBB23_599
; %bb.598:
	s_and_b32 s21, s30, exec_lo
	s_cselect_b32 s21, s29, s31
	s_and_b32 s22, s28, exec_lo
	s_cselect_b32 s21, s35, s21
	s_delay_alu instid0(SALU_CYCLE_1)
	v_or_b32_e32 v2, s21, v13
	global_store_b8 v[6:7], v2, off
.LBB23_599:
	s_mov_b32 s22, 0
	s_mov_b32 s21, -1
.LBB23_600:
	s_and_not1_b32 vcc_lo, exec_lo, s22
	s_cbranch_vccnz .LBB23_608
; %bb.601:
	v_cmp_lt_i16_e32 vcc_lo, 14, v17
	s_mov_b32 s22, -1
	s_cbranch_vccz .LBB23_605
; %bb.602:
	v_cmp_eq_u16_e32 vcc_lo, 15, v17
	s_mov_b32 s20, -1
	s_cbranch_vccz .LBB23_604
; %bb.603:
	s_mov_b32 s21, -1
	s_mov_b32 s20, 0
	global_store_b16 v[6:7], v12, off
.LBB23_604:
	s_mov_b32 s22, 0
.LBB23_605:
	s_delay_alu instid0(SALU_CYCLE_1)
	s_and_b32 vcc_lo, exec_lo, s22
	s_cbranch_vccz .LBB23_608
; %bb.606:
	v_cmp_eq_u16_e32 vcc_lo, 11, v17
	s_mov_b32 s20, -1
	s_cbranch_vccz .LBB23_608
; %bb.607:
	s_mov_b32 s21, -1
	s_mov_b32 s20, 0
	global_store_b8 v[6:7], v11, off
.LBB23_608:
.LBB23_609:
	s_and_not1_b32 vcc_lo, exec_lo, s21
	s_cbranch_vccnz .LBB23_426
.LBB23_610:
	v_add_nc_u32_e32 v9, 0x80, v9
	s_mov_b32 s21, -1
.LBB23_611:
	s_and_not1_b32 s22, s53, exec_lo
	s_and_b32 s20, s20, exec_lo
	s_or_not1_b32 s56, s21, exec_lo
	s_or_b32 s22, s22, s20
.LBB23_612:
	s_or_b32 exec_lo, exec_lo, s55
	s_mov_b32 s20, 0
	s_mov_b32 s21, 0
                                        ; implicit-def: $vgpr17
                                        ; implicit-def: $vgpr6_vgpr7
	s_and_saveexec_b32 s23, s56
	s_cbranch_execz .LBB23_680
; %bb.613:
	v_cmp_gt_i32_e32 vcc_lo, s48, v9
	s_mov_b32 s55, s22
                                        ; implicit-def: $vgpr17
                                        ; implicit-def: $vgpr6_vgpr7
	s_and_saveexec_b32 s48, vcc_lo
	s_cbranch_execz .LBB23_679
; %bb.614:
	s_and_not1_b32 vcc_lo, exec_lo, s26
	s_cbranch_vccnz .LBB23_619
; %bb.615:
	v_mov_b32_e32 v2, 0
	s_and_not1_b32 vcc_lo, exec_lo, s50
	s_cbranch_vccnz .LBB23_624
; %bb.616:
	s_add_i32 s50, s49, 1
	s_cmp_eq_u32 s25, 2
	s_mov_b32 s49, 0
	s_cbranch_scc1 .LBB23_620
; %bb.617:
	v_dual_mov_b32 v2, 0 :: v_dual_mov_b32 v3, v9
	s_and_b32 s49, s50, 28
	s_mov_b32 s55, 0
	s_mov_b64 s[20:21], s[0:1]
.LBB23_618:                             ; =>This Inner Loop Header: Depth=1
	s_clause 0x1
	s_load_b256 s[56:63], s[20:21], 0x4
	s_load_b128 s[64:67], s[20:21], 0x24
	s_load_b128 s[68:71], s[18:19], 0x0
	s_add_u32 s20, s20, 48
	s_addc_u32 s21, s21, 0
	s_add_i32 s55, s55, 4
	s_add_u32 s18, s18, 16
	s_addc_u32 s19, s19, 0
	s_cmp_eq_u32 s49, s55
	s_waitcnt lgkmcnt(0)
	v_mul_hi_u32 v5, s57, v3
	s_delay_alu instid0(VALU_DEP_1) | instskip(NEXT) | instid1(VALU_DEP_1)
	v_add_nc_u32_e32 v5, v3, v5
	v_lshrrev_b32_e32 v5, s58, v5
	s_delay_alu instid0(VALU_DEP_1) | instskip(SKIP_1) | instid1(VALU_DEP_2)
	v_mul_hi_u32 v6, s60, v5
	v_mul_lo_u32 v18, v5, s56
	v_add_nc_u32_e32 v6, v5, v6
	s_delay_alu instid0(VALU_DEP_2) | instskip(NEXT) | instid1(VALU_DEP_2)
	v_sub_nc_u32_e32 v18, v3, v18
	v_lshrrev_b32_e32 v6, s61, v6
	s_delay_alu instid0(VALU_DEP_2) | instskip(NEXT) | instid1(VALU_DEP_2)
	v_mul_lo_u32 v18, v18, s68
	v_mul_hi_u32 v7, s63, v6
	v_mul_lo_u32 v19, v6, s59
	s_delay_alu instid0(VALU_DEP_2) | instskip(NEXT) | instid1(VALU_DEP_2)
	v_add_nc_u32_e32 v7, v6, v7
	v_sub_nc_u32_e32 v5, v5, v19
	s_delay_alu instid0(VALU_DEP_2) | instskip(NEXT) | instid1(VALU_DEP_2)
	v_lshrrev_b32_e32 v7, s64, v7
	v_mul_lo_u32 v5, v5, s69
	s_delay_alu instid0(VALU_DEP_2) | instskip(NEXT) | instid1(VALU_DEP_2)
	v_mul_hi_u32 v17, s66, v7
	v_add3_u32 v2, v18, v2, v5
	s_delay_alu instid0(VALU_DEP_2) | instskip(NEXT) | instid1(VALU_DEP_1)
	v_add_nc_u32_e32 v17, v7, v17
	v_lshrrev_b32_e32 v3, s67, v17
	v_mul_lo_u32 v17, v7, s62
	s_delay_alu instid0(VALU_DEP_2) | instskip(NEXT) | instid1(VALU_DEP_2)
	v_mul_lo_u32 v20, v3, s65
	v_sub_nc_u32_e32 v6, v6, v17
	s_delay_alu instid0(VALU_DEP_2) | instskip(NEXT) | instid1(VALU_DEP_2)
	v_sub_nc_u32_e32 v7, v7, v20
	v_mul_lo_u32 v6, v6, s70
	s_delay_alu instid0(VALU_DEP_2) | instskip(NEXT) | instid1(VALU_DEP_1)
	v_mul_lo_u32 v7, v7, s71
	v_add3_u32 v2, v6, v2, v7
	s_cbranch_scc0 .LBB23_618
	s_branch .LBB23_621
.LBB23_619:
	s_mov_b32 s18, -1
                                        ; implicit-def: $vgpr2
	s_branch .LBB23_625
.LBB23_620:
	v_mov_b32_e32 v3, v9
.LBB23_621:
	s_and_b32 s50, s50, 3
	s_delay_alu instid0(SALU_CYCLE_1)
	s_cmp_eq_u32 s50, 0
	s_cbranch_scc1 .LBB23_624
; %bb.622:
	s_lshl_b32 s18, s49, 2
	s_mul_i32 s20, s49, 12
	s_add_u32 s18, s18, s0
	s_addc_u32 s19, s1, 0
	s_add_u32 s18, s18, 0xc4
	s_addc_u32 s19, s19, 0
	s_add_u32 s20, s0, s20
	s_addc_u32 s21, s1, 0
.LBB23_623:                             ; =>This Inner Loop Header: Depth=1
	s_clause 0x1
	s_load_b64 s[56:57], s[20:21], 0x4
	s_load_b32 s49, s[20:21], 0xc
	s_load_b32 s55, s[18:19], 0x0
	s_add_u32 s20, s20, 12
	s_addc_u32 s21, s21, 0
	s_add_u32 s18, s18, 4
	s_addc_u32 s19, s19, 0
	s_add_i32 s50, s50, -1
	s_delay_alu instid0(SALU_CYCLE_1) | instskip(SKIP_2) | instid1(VALU_DEP_1)
	s_cmp_lg_u32 s50, 0
	s_waitcnt lgkmcnt(0)
	v_mul_hi_u32 v5, s57, v3
	v_add_nc_u32_e32 v5, v3, v5
	s_delay_alu instid0(VALU_DEP_1) | instskip(NEXT) | instid1(VALU_DEP_1)
	v_lshrrev_b32_e32 v7, s49, v5
	v_mul_lo_u32 v5, v7, s56
	s_delay_alu instid0(VALU_DEP_1) | instskip(NEXT) | instid1(VALU_DEP_1)
	v_sub_nc_u32_e32 v3, v3, v5
	v_mad_u64_u32 v[5:6], null, v3, s55, v[2:3]
	s_delay_alu instid0(VALU_DEP_1)
	v_dual_mov_b32 v3, v7 :: v_dual_mov_b32 v2, v5
	s_cbranch_scc1 .LBB23_623
.LBB23_624:
	s_mov_b32 s18, 0
.LBB23_625:
	s_delay_alu instid0(SALU_CYCLE_1)
	s_and_not1_b32 vcc_lo, exec_lo, s18
	s_cbranch_vccnz .LBB23_628
; %bb.626:
	v_mul_hi_u32 v2, s9, v9
	s_and_not1_b32 vcc_lo, exec_lo, s47
	s_delay_alu instid0(VALU_DEP_1) | instskip(NEXT) | instid1(VALU_DEP_1)
	v_add_nc_u32_e32 v2, v9, v2
	v_lshrrev_b32_e32 v3, s10, v2
	s_delay_alu instid0(VALU_DEP_1) | instskip(NEXT) | instid1(VALU_DEP_1)
	v_mul_lo_u32 v2, v3, s8
	v_sub_nc_u32_e32 v2, v9, v2
	s_delay_alu instid0(VALU_DEP_1)
	v_mul_lo_u32 v2, v2, s14
	s_cbranch_vccnz .LBB23_628
; %bb.627:
	v_mul_hi_u32 v5, s16, v3
	s_delay_alu instid0(VALU_DEP_1) | instskip(NEXT) | instid1(VALU_DEP_1)
	v_add_nc_u32_e32 v5, v3, v5
	v_lshrrev_b32_e32 v5, s17, v5
	s_delay_alu instid0(VALU_DEP_1) | instskip(NEXT) | instid1(VALU_DEP_1)
	v_mul_lo_u32 v5, v5, s11
	v_sub_nc_u32_e32 v3, v3, v5
	s_delay_alu instid0(VALU_DEP_1) | instskip(NEXT) | instid1(VALU_DEP_1)
	v_mad_u64_u32 v[5:6], null, v3, s15, v[2:3]
	v_mov_b32_e32 v2, v5
.LBB23_628:
	v_and_b32_e64 v17, 0xff, s7
	s_delay_alu instid0(VALU_DEP_2) | instskip(NEXT) | instid1(VALU_DEP_1)
	v_add_co_u32 v6, s4, s4, v2
	v_add_co_ci_u32_e64 v7, null, s5, 0, s4
	s_delay_alu instid0(VALU_DEP_3)
	v_cmp_gt_i16_e32 vcc_lo, 11, v17
	s_mov_b32 s7, 0
	s_mov_b32 s5, -1
	s_mov_b32 s4, s22
	s_cbranch_vccnz .LBB23_678
; %bb.629:
	v_cmp_lt_i16_e32 vcc_lo, 25, v17
	s_mov_b32 s4, s22
	s_cbranch_vccz .LBB23_657
; %bb.630:
	v_cmp_lt_i16_e32 vcc_lo, 28, v17
	s_mov_b32 s4, s22
	s_cbranch_vccz .LBB23_644
	;; [unrolled: 4-line block ×4, first 2 shown]
; %bb.633:
	v_cmp_eq_u16_e32 vcc_lo, 46, v17
	s_mov_b32 s4, -1
	s_cbranch_vccz .LBB23_635
; %bb.634:
	s_mov_b32 s4, 0
	global_store_b32 v[6:7], v12, off
.LBB23_635:
	s_mov_b32 s5, 0
.LBB23_636:
	s_delay_alu instid0(SALU_CYCLE_1)
	s_and_b32 vcc_lo, exec_lo, s5
	s_cbranch_vccz .LBB23_639
; %bb.637:
	v_cmp_eq_u16_e32 vcc_lo, 44, v17
	s_mov_b32 s4, -1
	s_cbranch_vccz .LBB23_639
; %bb.638:
	v_cndmask_b32_e64 v2, v16, 0xff, s2
	s_mov_b32 s4, 0
	global_store_b8 v[6:7], v2, off
.LBB23_639:
	s_mov_b32 s5, 0
.LBB23_640:
	s_delay_alu instid0(SALU_CYCLE_1)
	s_and_b32 vcc_lo, exec_lo, s5
	s_cbranch_vccz .LBB23_643
; %bb.641:
	v_cmp_eq_u16_e32 vcc_lo, 29, v17
	s_mov_b32 s4, -1
	s_cbranch_vccz .LBB23_643
; %bb.642:
	v_dual_mov_b32 v2, s12 :: v_dual_mov_b32 v3, s13
	s_mov_b32 s4, 0
	global_store_b64 v[6:7], v[2:3], off
.LBB23_643:
	s_mov_b32 s5, 0
.LBB23_644:
	s_delay_alu instid0(SALU_CYCLE_1)
	s_and_b32 vcc_lo, exec_lo, s5
	s_cbranch_vccz .LBB23_656
; %bb.645:
	v_cmp_gt_i16_e32 vcc_lo, 27, v17
	s_mov_b32 s2, -1
	s_cbranch_vccnz .LBB23_651
; %bb.646:
	v_cmp_lt_i16_e32 vcc_lo, 27, v17
	s_cbranch_vccz .LBB23_648
; %bb.647:
	v_mov_b32_e32 v2, s6
	s_mov_b32 s2, 0
	global_store_b32 v[6:7], v2, off
.LBB23_648:
	s_and_not1_b32 vcc_lo, exec_lo, s2
	s_cbranch_vccnz .LBB23_650
; %bb.649:
	v_mov_b32_e32 v2, s6
	global_store_b16 v[6:7], v2, off
.LBB23_650:
	s_mov_b32 s2, 0
.LBB23_651:
	s_delay_alu instid0(SALU_CYCLE_1)
	s_and_not1_b32 vcc_lo, exec_lo, s2
	s_cbranch_vccnz .LBB23_656
; %bb.652:
	v_mov_b32_e32 v2, 0x80
	s_and_not1_b32 vcc_lo, exec_lo, s45
	s_cbranch_vccnz .LBB23_655
; %bb.653:
	v_mov_b32_e32 v2, 0
	s_or_b32 s2, s43, s46
	s_delay_alu instid0(SALU_CYCLE_1)
	s_and_not1_b32 vcc_lo, exec_lo, s2
	s_cbranch_vccnz .LBB23_655
; %bb.654:
	v_cndmask_b32_e64 v2, v15, s44, s43
	s_delay_alu instid0(VALU_DEP_1)
	v_or_b32_e32 v2, v2, v13
.LBB23_655:
	global_store_b8 v[6:7], v2, off
.LBB23_656:
	s_mov_b32 s5, 0
.LBB23_657:
	s_delay_alu instid0(SALU_CYCLE_1)
	s_and_b32 vcc_lo, exec_lo, s5
	s_mov_b32 s5, 0
	s_cbranch_vccz .LBB23_678
; %bb.658:
	v_cmp_lt_i16_e32 vcc_lo, 22, v17
	s_mov_b32 s2, -1
	s_cbranch_vccz .LBB23_671
; %bb.659:
	v_cmp_gt_i16_e32 vcc_lo, 24, v17
	s_cbranch_vccnz .LBB23_668
; %bb.660:
	v_cmp_lt_i16_e32 vcc_lo, 24, v17
	s_cbranch_vccz .LBB23_665
; %bb.661:
	v_mov_b32_e32 v2, 0x80
	s_and_not1_b32 vcc_lo, exec_lo, s41
	s_cbranch_vccnz .LBB23_664
; %bb.662:
	v_mov_b32_e32 v2, 0
	s_or_b32 s2, s37, s42
	s_delay_alu instid0(SALU_CYCLE_1)
	s_and_not1_b32 vcc_lo, exec_lo, s2
	s_cbranch_vccnz .LBB23_664
; %bb.663:
	v_cndmask_b32_e64 v2, v14, s39, s37
	s_delay_alu instid0(VALU_DEP_1)
	v_or_b32_e32 v2, v2, v13
.LBB23_664:
	s_mov_b32 s2, 0
	global_store_b8 v[6:7], v2, off
.LBB23_665:
	s_and_b32 vcc_lo, exec_lo, s2
	s_cbranch_vccz .LBB23_667
; %bb.666:
	s_and_b32 s2, s36, exec_lo
	s_cselect_b32 s2, s33, s38
	s_and_b32 s7, s34, exec_lo
	s_cselect_b32 s2, s40, s2
	s_delay_alu instid0(SALU_CYCLE_1)
	v_or_b32_e32 v2, s2, v13
	global_store_b8 v[6:7], v2, off
.LBB23_667:
	s_mov_b32 s2, 0
.LBB23_668:
	s_delay_alu instid0(SALU_CYCLE_1)
	s_and_not1_b32 vcc_lo, exec_lo, s2
	s_cbranch_vccnz .LBB23_670
; %bb.669:
	s_and_b32 s2, s30, exec_lo
	s_cselect_b32 s2, s29, s31
	s_and_b32 s7, s28, exec_lo
	s_cselect_b32 s2, s35, s2
	s_delay_alu instid0(SALU_CYCLE_1)
	v_or_b32_e32 v2, s2, v13
	global_store_b8 v[6:7], v2, off
.LBB23_670:
	s_mov_b32 s2, 0
.LBB23_671:
	s_delay_alu instid0(SALU_CYCLE_1)
	s_and_not1_b32 vcc_lo, exec_lo, s2
	s_mov_b32 s7, 0
	s_cbranch_vccnz .LBB23_678
; %bb.672:
	v_cmp_lt_i16_e32 vcc_lo, 14, v17
	s_mov_b32 s2, -1
	s_cbranch_vccz .LBB23_676
; %bb.673:
	v_cmp_eq_u16_e32 vcc_lo, 15, v17
	s_mov_b32 s4, -1
	s_cbranch_vccz .LBB23_675
; %bb.674:
	s_mov_b32 s4, 0
	global_store_b16 v[6:7], v12, off
.LBB23_675:
	s_mov_b32 s2, 0
.LBB23_676:
	s_delay_alu instid0(SALU_CYCLE_1)
	s_and_b32 vcc_lo, exec_lo, s2
	s_cbranch_vccz .LBB23_678
; %bb.677:
	v_cmp_ne_u16_e32 vcc_lo, 11, v17
	s_and_not1_b32 s2, s4, exec_lo
	s_mov_b32 s7, -1
	s_and_b32 s4, vcc_lo, exec_lo
	s_delay_alu instid0(SALU_CYCLE_1)
	s_or_b32 s4, s2, s4
.LBB23_678:
	s_and_not1_b32 s2, s22, exec_lo
	s_and_b32 s4, s4, exec_lo
	s_and_b32 s21, s5, exec_lo
	;; [unrolled: 1-line block ×3, first 2 shown]
	s_or_b32 s55, s2, s4
.LBB23_679:
	s_or_b32 exec_lo, exec_lo, s48
	s_delay_alu instid0(SALU_CYCLE_1)
	s_and_not1_b32 s2, s22, exec_lo
	s_and_b32 s4, s55, exec_lo
	s_and_b32 s21, s21, exec_lo
	;; [unrolled: 1-line block ×3, first 2 shown]
	s_or_b32 s22, s2, s4
.LBB23_680:
	s_or_b32 exec_lo, exec_lo, s23
	s_delay_alu instid0(SALU_CYCLE_1)
	s_and_not1_b32 s2, s53, exec_lo
	s_and_b32 s4, s22, exec_lo
	s_and_b32 s21, s21, exec_lo
	;; [unrolled: 1-line block ×3, first 2 shown]
	s_or_b32 s53, s2, s4
.LBB23_681:
	s_or_b32 exec_lo, exec_lo, s54
	s_delay_alu instid0(SALU_CYCLE_1)
	s_and_not1_b32 s2, s51, exec_lo
	s_and_b32 s4, s53, exec_lo
	s_and_b32 s21, s21, exec_lo
	;; [unrolled: 1-line block ×3, first 2 shown]
	s_or_b32 s51, s2, s4
	s_or_b32 exec_lo, exec_lo, s52
	s_mov_b32 s2, 0
	s_and_saveexec_b32 s4, s51
	s_cbranch_execz .LBB23_118
.LBB23_682:
	s_cbranch_execnz .LBB23_684
; %bb.683:
	s_mov_b32 s2, exec_lo
	s_and_not1_b32 s53, s53, exec_lo
	s_or_b32 exec_lo, exec_lo, s4
	s_and_saveexec_b32 s4, s53
	s_delay_alu instid0(SALU_CYCLE_1)
	s_xor_b32 s4, exec_lo, s4
	s_cbranch_execnz .LBB23_119
	s_branch .LBB23_120
.LBB23_684:
	s_trap 2
	s_sendmsg_rtn_b32 s0, sendmsg(MSG_RTN_GET_DOORBELL)
	s_mov_b32 ttmp2, m0
	s_waitcnt lgkmcnt(0)
	s_and_b32 s0, s0, 0x3ff
	s_delay_alu instid0(SALU_CYCLE_1) | instskip(NEXT) | instid1(SALU_CYCLE_1)
	s_bitset1_b32 s0, 10
	s_mov_b32 m0, s0
	s_sendmsg sendmsg(MSG_INTERRUPT)
	s_mov_b32 m0, ttmp2
.LBB23_685:                             ; =>This Inner Loop Header: Depth=1
	s_sethalt 5
	s_branch .LBB23_685
.LBB23_686:
	s_mov_b32 s10, -1
	s_mov_b32 s9, 0
                                        ; implicit-def: $sgpr11
.LBB23_687:
	v_mov_b32_e32 v4, s11
	s_and_not1_b32 vcc_lo, exec_lo, s10
                                        ; implicit-def: $sgpr10
	s_cbranch_vccnz .LBB23_689
; %bb.688:
	v_add_f32_e64 v4, 0x42800000, |s8|
	s_mov_b32 s10, 0
	s_delay_alu instid0(VALU_DEP_1) | instskip(NEXT) | instid1(VALU_DEP_1)
	v_and_b32_e32 v4, 0xff, v4
	v_cmp_ne_u32_e64 s9, 0, v4
.LBB23_689:
	v_mov_b32_e32 v5, s10
	s_delay_alu instid0(VALU_DEP_2)
	s_and_not1_b32 vcc_lo, exec_lo, s9
	s_cbranch_vccnz .LBB23_691
; %bb.690:
	s_lshr_b32 s8, s8, 24
	s_delay_alu instid0(SALU_CYCLE_1) | instskip(NEXT) | instid1(SALU_CYCLE_1)
	s_and_b32 s8, s8, 0x80
	v_or_b32_e32 v5, s8, v4
.LBB23_691:
	s_mov_b32 s8, 0
	global_store_b8 v[2:3], v5, off
.LBB23_692:
	s_and_b32 vcc_lo, exec_lo, s8
	s_cbranch_vccz .LBB23_704
; %bb.693:
	v_cvt_f32_i32_e32 v4, s2
	s_delay_alu instid0(VALU_DEP_1) | instskip(NEXT) | instid1(VALU_DEP_1)
	v_readfirstlane_b32 s8, v4
	s_and_b32 s9, s8, 0x7fffffff
	s_delay_alu instid0(SALU_CYCLE_1)
	s_cmp_lt_u32 s9, 0x43f00000
	s_cbranch_scc0 .LBB23_696
; %bb.694:
	s_cmp_gt_u32 s9, 0x3c7fffff
	s_cbranch_scc0 .LBB23_697
; %bb.695:
	s_bfe_u32 s10, s8, 0x10014
	s_delay_alu instid0(SALU_CYCLE_1) | instskip(NEXT) | instid1(SALU_CYCLE_1)
	s_add_i32 s10, s8, s10
	s_add_i32 s10, s10, 0x407ffff
	s_delay_alu instid0(SALU_CYCLE_1)
	s_and_b32 s11, s10, 0xff00000
	s_lshr_b32 s10, s10, 20
	s_cmp_lg_u32 s11, 0x7f00000
	s_cselect_b32 s11, s10, 0x7e
	s_mov_b32 s10, 0
	s_branch .LBB23_698
.LBB23_696:
	s_mov_b32 s10, -1
                                        ; implicit-def: $vgpr5
	s_branch .LBB23_701
.LBB23_697:
	s_mov_b32 s10, -1
                                        ; implicit-def: $sgpr11
.LBB23_698:
	v_mov_b32_e32 v5, s11
	s_and_not1_b32 vcc_lo, exec_lo, s10
	s_cbranch_vccnz .LBB23_700
; %bb.699:
	v_add_f32_e64 v5, 0x46800000, |v4|
.LBB23_700:
	s_mov_b32 s10, 0
.LBB23_701:
	s_delay_alu instid0(SALU_CYCLE_1)
	s_and_not1_b32 vcc_lo, exec_lo, s10
	s_cbranch_vccnz .LBB23_703
; %bb.702:
	s_cmp_gt_u32 s9, 0x7f800000
	s_movk_i32 s9, 0x7f
	s_delay_alu instid0(SALU_CYCLE_1) | instskip(NEXT) | instid1(SALU_CYCLE_1)
	s_cselect_b32 s9, s9, 0x7e
	v_mov_b32_e32 v5, s9
.LBB23_703:
	s_lshr_b32 s8, s8, 24
	s_delay_alu instid0(SALU_CYCLE_1)
	s_and_b32 s8, s8, 0x80
	s_delay_alu instid0(VALU_DEP_1) | instid1(SALU_CYCLE_1)
	v_or_b32_e32 v4, s8, v5
	global_store_b8 v[2:3], v4, off
.LBB23_704:
	s_mov_b32 s8, 0
.LBB23_705:
	s_delay_alu instid0(SALU_CYCLE_1)
	s_and_not1_b32 vcc_lo, exec_lo, s8
	s_cbranch_vccnz .LBB23_717
; %bb.706:
	v_cvt_f32_i32_e32 v4, s2
	s_delay_alu instid0(VALU_DEP_1) | instskip(NEXT) | instid1(VALU_DEP_1)
	v_readfirstlane_b32 s8, v4
	s_and_b32 s9, s8, 0x7fffffff
	s_delay_alu instid0(SALU_CYCLE_1)
	s_cmp_lt_u32 s9, 0x47800000
	s_cbranch_scc0 .LBB23_709
; %bb.707:
	s_cmp_gt_u32 s9, 0x387fffff
	s_cbranch_scc0 .LBB23_710
; %bb.708:
	s_bfe_u32 s10, s8, 0x10015
	s_delay_alu instid0(SALU_CYCLE_1) | instskip(NEXT) | instid1(SALU_CYCLE_1)
	s_add_i32 s10, s8, s10
	s_add_i32 s10, s10, 0x80fffff
	s_delay_alu instid0(SALU_CYCLE_1)
	s_lshr_b32 s11, s10, 21
	s_mov_b32 s10, 0
	s_branch .LBB23_711
.LBB23_709:
	s_mov_b32 s10, -1
                                        ; implicit-def: $vgpr5
	s_branch .LBB23_714
.LBB23_710:
	s_mov_b32 s10, -1
                                        ; implicit-def: $sgpr11
.LBB23_711:
	v_mov_b32_e32 v5, s11
	s_and_not1_b32 vcc_lo, exec_lo, s10
	s_cbranch_vccnz .LBB23_713
; %bb.712:
	v_add_f32_e64 v5, 0x43000000, |v4|
.LBB23_713:
	s_mov_b32 s10, 0
.LBB23_714:
	s_delay_alu instid0(SALU_CYCLE_1)
	s_and_not1_b32 vcc_lo, exec_lo, s10
	s_cbranch_vccnz .LBB23_716
; %bb.715:
	s_cmp_gt_u32 s9, 0x7f800000
	s_movk_i32 s9, 0x7f
	s_delay_alu instid0(SALU_CYCLE_1) | instskip(NEXT) | instid1(SALU_CYCLE_1)
	s_cselect_b32 s9, s9, 0x7c
	v_mov_b32_e32 v5, s9
.LBB23_716:
	s_lshr_b32 s8, s8, 24
	s_delay_alu instid0(SALU_CYCLE_1)
	s_and_b32 s8, s8, 0x80
	s_delay_alu instid0(VALU_DEP_1) | instid1(SALU_CYCLE_1)
	v_or_b32_e32 v4, s8, v5
	global_store_b8 v[2:3], v4, off
.LBB23_717:
	s_mov_b32 s8, 0
	s_mov_b32 s9, -1
.LBB23_718:
	s_and_not1_b32 vcc_lo, exec_lo, s8
	s_mov_b32 s8, 0
	s_cbranch_vccnz .LBB23_725
; %bb.719:
	v_cmp_gt_i16_e64 s8, s4, 14
	s_delay_alu instid0(VALU_DEP_1)
	s_and_b32 vcc_lo, exec_lo, s8
	s_mov_b32 s8, -1
	s_cbranch_vccz .LBB23_723
; %bb.720:
	v_cmp_eq_u16_e64 s5, s4, 15
	s_delay_alu instid0(VALU_DEP_1)
	s_and_b32 vcc_lo, exec_lo, s5
	s_mov_b32 s5, -1
	s_cbranch_vccz .LBB23_722
; %bb.721:
	v_cvt_f32_i32_e32 v4, s2
	s_mov_b32 s5, 0
	s_mov_b32 s9, -1
	s_delay_alu instid0(VALU_DEP_1) | instskip(NEXT) | instid1(VALU_DEP_1)
	v_bfe_u32 v5, v4, 16, 1
	v_add_nc_u32_e32 v4, v4, v5
	s_delay_alu instid0(VALU_DEP_1)
	v_add_nc_u32_e32 v4, 0x7fff, v4
	global_store_d16_hi_b16 v[2:3], v4, off
.LBB23_722:
	s_mov_b32 s8, 0
.LBB23_723:
	s_delay_alu instid0(SALU_CYCLE_1)
	s_and_b32 vcc_lo, exec_lo, s8
	s_mov_b32 s8, 0
	s_cbranch_vccz .LBB23_725
; %bb.724:
	v_cmp_ne_u16_e64 s5, s4, 11
	s_mov_b32 s8, -1
.LBB23_725:
	s_delay_alu instid0(VALU_DEP_1)
	s_and_b32 vcc_lo, exec_lo, s5
	s_cbranch_vccnz .LBB23_778
; %bb.726:
	s_and_not1_b32 vcc_lo, exec_lo, s8
	s_cbranch_vccnz .LBB23_728
.LBB23_727:
	s_cmp_lg_u32 s2, 0
	s_mov_b32 s9, -1
	s_cselect_b32 s5, -1, 0
	s_delay_alu instid0(SALU_CYCLE_1)
	v_cndmask_b32_e64 v4, 0, 1, s5
	global_store_b8 v[2:3], v4, off
.LBB23_728:
	s_mov_b32 s5, 0
.LBB23_729:
	s_delay_alu instid0(SALU_CYCLE_1)
	s_and_b32 vcc_lo, exec_lo, s5
	s_cbranch_vccz .LBB23_768
; %bb.730:
	v_cmp_lt_i16_e64 s5, s4, 5
	s_delay_alu instid0(VALU_DEP_1)
	s_and_b32 vcc_lo, exec_lo, s5
	s_mov_b32 s5, -1
	s_cbranch_vccnz .LBB23_751
; %bb.731:
	v_cmp_lt_i16_e64 s5, s4, 8
	s_delay_alu instid0(VALU_DEP_1)
	s_and_b32 vcc_lo, exec_lo, s5
	s_mov_b32 s5, -1
	s_cbranch_vccnz .LBB23_741
	;; [unrolled: 6-line block ×3, first 2 shown]
; %bb.733:
	v_cmp_gt_i16_e64 s5, s4, 9
	s_delay_alu instid0(VALU_DEP_1)
	s_and_b32 vcc_lo, exec_lo, s5
	s_mov_b32 s5, -1
	s_cbranch_vccz .LBB23_735
; %bb.734:
	v_cvt_f64_i32_e32 v[4:5], s2
	v_mov_b32_e32 v6, 0
	s_mov_b32 s5, 0
	s_delay_alu instid0(VALU_DEP_1)
	v_mov_b32_e32 v7, v6
	global_store_b128 v[2:3], v[4:7], off
.LBB23_735:
	s_and_not1_b32 vcc_lo, exec_lo, s5
	s_cbranch_vccnz .LBB23_737
; %bb.736:
	v_cvt_f32_i32_e32 v4, s2
	v_mov_b32_e32 v5, 0
	global_store_b64 v[2:3], v[4:5], off
.LBB23_737:
	s_mov_b32 s5, 0
.LBB23_738:
	s_delay_alu instid0(SALU_CYCLE_1)
	s_and_not1_b32 vcc_lo, exec_lo, s5
	s_cbranch_vccnz .LBB23_740
; %bb.739:
	v_cvt_f32_i32_e32 v4, s2
	s_delay_alu instid0(VALU_DEP_1) | instskip(NEXT) | instid1(VALU_DEP_1)
	v_cvt_f16_f32_e32 v4, v4
	v_and_b32_e32 v4, 0xffff, v4
	global_store_b32 v[2:3], v4, off
.LBB23_740:
	s_mov_b32 s5, 0
.LBB23_741:
	s_delay_alu instid0(SALU_CYCLE_1)
	s_and_not1_b32 vcc_lo, exec_lo, s5
	s_cbranch_vccnz .LBB23_750
; %bb.742:
	v_cmp_lt_i16_e64 s5, s4, 6
	s_delay_alu instid0(VALU_DEP_1)
	s_and_b32 vcc_lo, exec_lo, s5
	s_mov_b32 s5, -1
	s_cbranch_vccnz .LBB23_748
; %bb.743:
	v_cmp_gt_i16_e64 s5, s4, 6
	s_delay_alu instid0(VALU_DEP_1)
	s_and_b32 vcc_lo, exec_lo, s5
	s_mov_b32 s5, -1
	s_cbranch_vccz .LBB23_745
; %bb.744:
	v_cvt_f64_i32_e32 v[4:5], s2
	s_mov_b32 s5, 0
	global_store_b64 v[2:3], v[4:5], off
.LBB23_745:
	s_and_not1_b32 vcc_lo, exec_lo, s5
	s_cbranch_vccnz .LBB23_747
; %bb.746:
	v_cvt_f32_i32_e32 v4, s2
	global_store_b32 v[2:3], v4, off
.LBB23_747:
	s_mov_b32 s5, 0
.LBB23_748:
	s_delay_alu instid0(SALU_CYCLE_1)
	s_and_not1_b32 vcc_lo, exec_lo, s5
	s_cbranch_vccnz .LBB23_750
; %bb.749:
	v_cvt_f32_i32_e32 v4, s2
	s_delay_alu instid0(VALU_DEP_1)
	v_cvt_f16_f32_e32 v4, v4
	global_store_b16 v[2:3], v4, off
.LBB23_750:
	s_mov_b32 s5, 0
.LBB23_751:
	s_delay_alu instid0(SALU_CYCLE_1)
	s_and_not1_b32 vcc_lo, exec_lo, s5
	s_cbranch_vccnz .LBB23_767
; %bb.752:
	v_cmp_lt_i16_e64 s5, s4, 2
	s_delay_alu instid0(VALU_DEP_1)
	s_and_b32 vcc_lo, exec_lo, s5
	s_mov_b32 s5, -1
	s_cbranch_vccnz .LBB23_762
; %bb.753:
	v_cmp_lt_i16_e64 s5, s4, 3
	s_delay_alu instid0(VALU_DEP_1)
	s_and_b32 vcc_lo, exec_lo, s5
	s_mov_b32 s5, -1
	s_cbranch_vccnz .LBB23_759
; %bb.754:
	v_cmp_gt_i16_e64 s5, s4, 3
	s_delay_alu instid0(VALU_DEP_1)
	s_and_b32 vcc_lo, exec_lo, s5
	s_mov_b32 s5, -1
	s_cbranch_vccz .LBB23_756
; %bb.755:
	s_ashr_i32 s5, s2, 31
	s_delay_alu instid0(SALU_CYCLE_1)
	v_dual_mov_b32 v4, s2 :: v_dual_mov_b32 v5, s5
	s_mov_b32 s5, 0
	global_store_b64 v[2:3], v[4:5], off
.LBB23_756:
	s_and_not1_b32 vcc_lo, exec_lo, s5
	s_cbranch_vccnz .LBB23_758
; %bb.757:
	v_mov_b32_e32 v4, s2
	global_store_b32 v[2:3], v4, off
.LBB23_758:
	s_mov_b32 s5, 0
.LBB23_759:
	s_delay_alu instid0(SALU_CYCLE_1)
	s_and_not1_b32 vcc_lo, exec_lo, s5
	s_cbranch_vccnz .LBB23_761
; %bb.760:
	v_mov_b32_e32 v4, s2
	global_store_b16 v[2:3], v4, off
.LBB23_761:
	s_mov_b32 s5, 0
.LBB23_762:
	s_delay_alu instid0(SALU_CYCLE_1)
	s_and_not1_b32 vcc_lo, exec_lo, s5
	s_cbranch_vccnz .LBB23_767
; %bb.763:
	v_cmp_gt_i16_e64 s5, s4, 0
	s_delay_alu instid0(VALU_DEP_1)
	s_and_b32 vcc_lo, exec_lo, s5
	s_mov_b32 s5, -1
	s_cbranch_vccz .LBB23_765
; %bb.764:
	v_mov_b32_e32 v4, s2
	s_mov_b32 s5, 0
	global_store_b8 v[2:3], v4, off
.LBB23_765:
	s_and_not1_b32 vcc_lo, exec_lo, s5
	s_cbranch_vccnz .LBB23_767
; %bb.766:
	v_mov_b32_e32 v4, s2
	global_store_b8 v[2:3], v4, off
.LBB23_767:
	s_mov_b32 s9, -1
.LBB23_768:
	s_delay_alu instid0(SALU_CYCLE_1)
	s_and_not1_b32 vcc_lo, exec_lo, s9
	s_cbranch_vccnz .LBB23_910
; %bb.769:
	v_cmp_lt_i16_e64 s5, s4, 11
	v_add_co_u32 v1, s8, s0, v1
	s_delay_alu instid0(VALU_DEP_1) | instskip(SKIP_1) | instid1(VALU_DEP_3)
	v_add_co_ci_u32_e64 v2, null, s1, 0, s8
	s_mov_b32 s9, 0
	s_and_b32 vcc_lo, exec_lo, s5
	s_mov_b32 s5, -1
	s_cbranch_vccnz .LBB23_862
; %bb.770:
	v_cmp_gt_i16_e64 s5, s4, 25
	s_mov_b32 s10, -1
	s_mov_b32 s8, 0
	s_delay_alu instid0(VALU_DEP_1)
	s_and_b32 vcc_lo, exec_lo, s5
	s_mov_b32 s5, 0
	s_cbranch_vccz .LBB23_812
; %bb.771:
	v_cmp_gt_i16_e64 s5, s4, 28
	s_delay_alu instid0(VALU_DEP_1)
	s_and_b32 vcc_lo, exec_lo, s5
	s_cbranch_vccz .LBB23_776
; %bb.772:
	v_cmp_gt_i16_e64 s5, s4, 43
	s_delay_alu instid0(VALU_DEP_1)
	s_and_b32 vcc_lo, exec_lo, s5
	;; [unrolled: 5-line block ×3, first 2 shown]
	s_cbranch_vccz .LBB23_780
; %bb.774:
	v_cmp_eq_u16_e64 s9, s4, 46
	s_mov_b32 s5, -1
	s_mov_b32 s10, 0
	s_delay_alu instid0(VALU_DEP_1)
	s_and_b32 vcc_lo, exec_lo, s9
	s_mov_b32 s9, 0
	s_cbranch_vccz .LBB23_781
; %bb.775:
	v_cvt_f32_i32_e32 v3, s2
	s_mov_b32 s5, 0
	s_mov_b32 s9, -1
	s_delay_alu instid0(VALU_DEP_1) | instskip(NEXT) | instid1(VALU_DEP_1)
	v_bfe_u32 v4, v3, 16, 1
	v_add_nc_u32_e32 v3, v3, v4
	s_delay_alu instid0(VALU_DEP_1) | instskip(NEXT) | instid1(VALU_DEP_1)
	v_add_nc_u32_e32 v3, 0x7fff, v3
	v_lshrrev_b32_e32 v3, 16, v3
	global_store_b32 v[1:2], v3, off
	s_branch .LBB23_781
.LBB23_776:
	s_mov_b32 s5, 0
	s_branch .LBB23_791
.LBB23_777:
	s_mov_b32 s5, 0
	s_branch .LBB23_787
.LBB23_778:
	s_cbranch_execnz .LBB23_802
; %bb.779:
	s_or_b32 s3, s3, exec_lo
	s_cbranch_execz .LBB23_727
	s_branch .LBB23_728
.LBB23_780:
	s_mov_b32 s5, 0
.LBB23_781:
	s_and_b32 vcc_lo, exec_lo, s10
	s_cbranch_vccz .LBB23_786
; %bb.782:
	v_cmp_eq_u16_e64 s5, s4, 44
	s_delay_alu instid0(VALU_DEP_1)
	s_and_b32 vcc_lo, exec_lo, s5
	s_mov_b32 s5, -1
	s_cbranch_vccz .LBB23_786
; %bb.783:
	v_cvt_f32_i32_e32 v3, s2
	v_mov_b32_e32 v4, 0xff
	s_delay_alu instid0(VALU_DEP_2) | instskip(NEXT) | instid1(VALU_DEP_1)
	v_readfirstlane_b32 s5, v3
	s_bfe_u32 s9, s5, 0x80017
	s_delay_alu instid0(SALU_CYCLE_1)
	s_cmpk_eq_i32 s9, 0xff
	s_cbranch_scc1 .LBB23_785
; %bb.784:
	s_bitcmp1_b32 s5, 22
	v_lshrrev_b32_e32 v3, 23, v3
	s_cselect_b32 s10, -1, 0
	s_and_b32 s5, s5, 0x3fffff
	s_delay_alu instid0(SALU_CYCLE_1) | instskip(NEXT) | instid1(SALU_CYCLE_1)
	s_or_b32 s5, s9, s5
	s_cmp_lg_u32 s5, 0
	s_cselect_b32 s5, -1, 0
	s_delay_alu instid0(SALU_CYCLE_1) | instskip(NEXT) | instid1(SALU_CYCLE_1)
	s_and_b32 s5, s10, s5
	v_cndmask_b32_e64 v4, 0, 1, s5
	s_delay_alu instid0(VALU_DEP_1)
	v_add_nc_u32_e32 v4, v3, v4
.LBB23_785:
	s_mov_b32 s5, 0
	s_mov_b32 s9, -1
	global_store_b8 v[1:2], v4, off
.LBB23_786:
	s_mov_b32 s10, 0
.LBB23_787:
	s_delay_alu instid0(SALU_CYCLE_1)
	s_and_b32 vcc_lo, exec_lo, s10
	s_cbranch_vccz .LBB23_790
; %bb.788:
	v_cmp_eq_u16_e64 s5, s4, 29
	s_delay_alu instid0(VALU_DEP_1)
	s_and_b32 vcc_lo, exec_lo, s5
	s_mov_b32 s5, -1
	s_cbranch_vccz .LBB23_790
; %bb.789:
	s_ashr_i32 s5, s2, 31
	s_delay_alu instid0(SALU_CYCLE_1)
	v_dual_mov_b32 v3, s2 :: v_dual_mov_b32 v4, s5
	s_mov_b32 s5, 0
	s_mov_b32 s9, -1
	s_mov_b32 s10, 0
	global_store_b64 v[1:2], v[3:4], off
	s_branch .LBB23_791
.LBB23_790:
	s_mov_b32 s10, 0
.LBB23_791:
	s_delay_alu instid0(SALU_CYCLE_1)
	s_and_b32 vcc_lo, exec_lo, s10
	s_cbranch_vccz .LBB23_811
; %bb.792:
	v_cmp_lt_i16_e64 s9, s4, 27
	s_delay_alu instid0(VALU_DEP_1)
	s_and_b32 vcc_lo, exec_lo, s9
	s_mov_b32 s9, -1
	s_cbranch_vccnz .LBB23_798
; %bb.793:
	v_cmp_gt_i16_e64 s9, s4, 27
	s_delay_alu instid0(VALU_DEP_1)
	s_and_b32 vcc_lo, exec_lo, s9
	s_mov_b32 s9, -1
	s_cbranch_vccz .LBB23_795
; %bb.794:
	v_mov_b32_e32 v3, s2
	s_mov_b32 s9, 0
	global_store_b32 v[1:2], v3, off
.LBB23_795:
	s_and_not1_b32 vcc_lo, exec_lo, s9
	s_cbranch_vccnz .LBB23_797
; %bb.796:
	v_mov_b32_e32 v3, s2
	global_store_b16 v[1:2], v3, off
.LBB23_797:
	s_mov_b32 s9, 0
.LBB23_798:
	s_delay_alu instid0(SALU_CYCLE_1)
	s_and_not1_b32 vcc_lo, exec_lo, s9
	s_cbranch_vccnz .LBB23_810
; %bb.799:
	v_cvt_f32_i32_e32 v3, s2
	v_mov_b32_e32 v4, 0x80
	s_delay_alu instid0(VALU_DEP_2) | instskip(NEXT) | instid1(VALU_DEP_1)
	v_readfirstlane_b32 s9, v3
	s_and_b32 s10, s9, 0x7fffffff
	s_delay_alu instid0(SALU_CYCLE_1)
	s_cmp_gt_u32 s10, 0x437fffff
	s_cbranch_scc1 .LBB23_809
; %bb.800:
	s_cmp_gt_u32 s10, 0x3bffffff
	s_cbranch_scc0 .LBB23_804
; %bb.801:
	s_bfe_u32 s10, s9, 0x10014
	s_mov_b32 s11, 0
	s_add_i32 s10, s9, s10
	s_delay_alu instid0(SALU_CYCLE_1) | instskip(NEXT) | instid1(SALU_CYCLE_1)
	s_add_i32 s10, s10, 0x487ffff
	s_lshr_b32 s12, s10, 20
	s_mov_b32 s10, -1
	s_branch .LBB23_805
.LBB23_802:
	s_trap 2
	s_sendmsg_rtn_b32 s0, sendmsg(MSG_RTN_GET_DOORBELL)
	s_mov_b32 ttmp2, m0
	s_waitcnt lgkmcnt(0)
	s_and_b32 s0, s0, 0x3ff
	s_delay_alu instid0(SALU_CYCLE_1) | instskip(NEXT) | instid1(SALU_CYCLE_1)
	s_bitset1_b32 s0, 10
	s_mov_b32 m0, s0
	s_sendmsg sendmsg(MSG_INTERRUPT)
	s_mov_b32 m0, ttmp2
.LBB23_803:                             ; =>This Inner Loop Header: Depth=1
	s_sethalt 5
	s_branch .LBB23_803
.LBB23_804:
	s_mov_b32 s11, -1
	s_mov_b32 s10, 0
                                        ; implicit-def: $sgpr12
.LBB23_805:
	v_mov_b32_e32 v3, s12
	s_and_not1_b32 vcc_lo, exec_lo, s11
                                        ; implicit-def: $sgpr11
	s_cbranch_vccnz .LBB23_807
; %bb.806:
	v_add_f32_e64 v3, 0x46000000, |s9|
	s_mov_b32 s11, 0
	s_delay_alu instid0(VALU_DEP_1) | instskip(NEXT) | instid1(VALU_DEP_1)
	v_and_b32_e32 v3, 0xff, v3
	v_cmp_ne_u32_e64 s10, 0, v3
.LBB23_807:
	v_mov_b32_e32 v4, s11
	s_delay_alu instid0(VALU_DEP_2)
	s_and_not1_b32 vcc_lo, exec_lo, s10
	s_cbranch_vccnz .LBB23_809
; %bb.808:
	s_lshr_b32 s9, s9, 24
	s_delay_alu instid0(SALU_CYCLE_1) | instskip(NEXT) | instid1(SALU_CYCLE_1)
	s_and_b32 s9, s9, 0x80
	v_or_b32_e32 v4, s9, v3
.LBB23_809:
	global_store_b8 v[1:2], v4, off
.LBB23_810:
	s_mov_b32 s9, -1
.LBB23_811:
	s_mov_b32 s10, 0
.LBB23_812:
	s_delay_alu instid0(SALU_CYCLE_1)
	s_and_b32 vcc_lo, exec_lo, s10
	s_cbranch_vccz .LBB23_858
; %bb.813:
	v_cmp_gt_i16_e64 s8, s4, 22
	s_delay_alu instid0(VALU_DEP_1)
	s_and_b32 vcc_lo, exec_lo, s8
	s_mov_b32 s8, -1
	s_cbranch_vccz .LBB23_851
; %bb.814:
	v_cmp_lt_i16_e64 s8, s4, 24
	s_delay_alu instid0(VALU_DEP_1)
	s_and_b32 vcc_lo, exec_lo, s8
	s_mov_b32 s8, -1
	s_cbranch_vccnz .LBB23_838
; %bb.815:
	v_cmp_gt_i16_e64 s8, s4, 24
	s_delay_alu instid0(VALU_DEP_1)
	s_and_b32 vcc_lo, exec_lo, s8
	s_mov_b32 s8, -1
	s_cbranch_vccz .LBB23_825
; %bb.816:
	v_cvt_f32_i32_e32 v3, s2
	v_mov_b32_e32 v4, 0x80
	s_delay_alu instid0(VALU_DEP_2) | instskip(NEXT) | instid1(VALU_DEP_1)
	v_readfirstlane_b32 s8, v3
	s_and_b32 s9, s8, 0x7fffffff
	s_delay_alu instid0(SALU_CYCLE_1)
	s_cmp_gt_u32 s9, 0x477fffff
	s_cbranch_scc1 .LBB23_824
; %bb.817:
	s_cmp_gt_u32 s9, 0x37ffffff
	s_cbranch_scc0 .LBB23_819
; %bb.818:
	s_bfe_u32 s9, s8, 0x10015
	s_mov_b32 s10, 0
	s_add_i32 s9, s8, s9
	s_delay_alu instid0(SALU_CYCLE_1) | instskip(NEXT) | instid1(SALU_CYCLE_1)
	s_add_i32 s9, s9, 0x88fffff
	s_lshr_b32 s11, s9, 21
	s_mov_b32 s9, -1
	s_branch .LBB23_820
.LBB23_819:
	s_mov_b32 s10, -1
	s_mov_b32 s9, 0
                                        ; implicit-def: $sgpr11
.LBB23_820:
	v_mov_b32_e32 v3, s11
	s_and_not1_b32 vcc_lo, exec_lo, s10
                                        ; implicit-def: $sgpr10
	s_cbranch_vccnz .LBB23_822
; %bb.821:
	v_add_f32_e64 v3, 0x42800000, |s8|
	s_mov_b32 s10, 0
	s_delay_alu instid0(VALU_DEP_1) | instskip(NEXT) | instid1(VALU_DEP_1)
	v_and_b32_e32 v3, 0xff, v3
	v_cmp_ne_u32_e64 s9, 0, v3
.LBB23_822:
	v_mov_b32_e32 v4, s10
	s_delay_alu instid0(VALU_DEP_2)
	s_and_not1_b32 vcc_lo, exec_lo, s9
	s_cbranch_vccnz .LBB23_824
; %bb.823:
	s_lshr_b32 s8, s8, 24
	s_delay_alu instid0(SALU_CYCLE_1) | instskip(NEXT) | instid1(SALU_CYCLE_1)
	s_and_b32 s8, s8, 0x80
	v_or_b32_e32 v4, s8, v3
.LBB23_824:
	s_mov_b32 s8, 0
	global_store_b8 v[1:2], v4, off
.LBB23_825:
	s_and_b32 vcc_lo, exec_lo, s8
	s_cbranch_vccz .LBB23_837
; %bb.826:
	v_cvt_f32_i32_e32 v3, s2
	s_delay_alu instid0(VALU_DEP_1) | instskip(NEXT) | instid1(VALU_DEP_1)
	v_readfirstlane_b32 s8, v3
	s_and_b32 s9, s8, 0x7fffffff
	s_delay_alu instid0(SALU_CYCLE_1)
	s_cmp_lt_u32 s9, 0x43f00000
	s_cbranch_scc0 .LBB23_829
; %bb.827:
	s_cmp_gt_u32 s9, 0x3c7fffff
	s_cbranch_scc0 .LBB23_830
; %bb.828:
	s_bfe_u32 s10, s8, 0x10014
	s_delay_alu instid0(SALU_CYCLE_1) | instskip(NEXT) | instid1(SALU_CYCLE_1)
	s_add_i32 s10, s8, s10
	s_add_i32 s10, s10, 0x407ffff
	s_delay_alu instid0(SALU_CYCLE_1)
	s_and_b32 s11, s10, 0xff00000
	s_lshr_b32 s10, s10, 20
	s_cmp_lg_u32 s11, 0x7f00000
	s_cselect_b32 s11, s10, 0x7e
	s_mov_b32 s10, 0
	s_branch .LBB23_831
.LBB23_829:
	s_mov_b32 s10, -1
                                        ; implicit-def: $vgpr4
	s_branch .LBB23_834
.LBB23_830:
	s_mov_b32 s10, -1
                                        ; implicit-def: $sgpr11
.LBB23_831:
	v_mov_b32_e32 v4, s11
	s_and_not1_b32 vcc_lo, exec_lo, s10
	s_cbranch_vccnz .LBB23_833
; %bb.832:
	v_add_f32_e64 v4, 0x46800000, |v3|
.LBB23_833:
	s_mov_b32 s10, 0
.LBB23_834:
	s_delay_alu instid0(SALU_CYCLE_1)
	s_and_not1_b32 vcc_lo, exec_lo, s10
	s_cbranch_vccnz .LBB23_836
; %bb.835:
	s_cmp_gt_u32 s9, 0x7f800000
	s_movk_i32 s9, 0x7f
	s_delay_alu instid0(SALU_CYCLE_1) | instskip(NEXT) | instid1(SALU_CYCLE_1)
	s_cselect_b32 s9, s9, 0x7e
	v_mov_b32_e32 v4, s9
.LBB23_836:
	s_lshr_b32 s8, s8, 24
	s_delay_alu instid0(SALU_CYCLE_1)
	s_and_b32 s8, s8, 0x80
	s_delay_alu instid0(VALU_DEP_1) | instid1(SALU_CYCLE_1)
	v_or_b32_e32 v3, s8, v4
	global_store_b8 v[1:2], v3, off
.LBB23_837:
	s_mov_b32 s8, 0
.LBB23_838:
	s_delay_alu instid0(SALU_CYCLE_1)
	s_and_not1_b32 vcc_lo, exec_lo, s8
	s_cbranch_vccnz .LBB23_850
; %bb.839:
	v_cvt_f32_i32_e32 v3, s2
	s_delay_alu instid0(VALU_DEP_1) | instskip(NEXT) | instid1(VALU_DEP_1)
	v_readfirstlane_b32 s8, v3
	s_and_b32 s9, s8, 0x7fffffff
	s_delay_alu instid0(SALU_CYCLE_1)
	s_cmp_lt_u32 s9, 0x47800000
	s_cbranch_scc0 .LBB23_842
; %bb.840:
	s_cmp_gt_u32 s9, 0x387fffff
	s_cbranch_scc0 .LBB23_843
; %bb.841:
	s_bfe_u32 s10, s8, 0x10015
	s_delay_alu instid0(SALU_CYCLE_1) | instskip(NEXT) | instid1(SALU_CYCLE_1)
	s_add_i32 s10, s8, s10
	s_add_i32 s10, s10, 0x80fffff
	s_delay_alu instid0(SALU_CYCLE_1)
	s_lshr_b32 s11, s10, 21
	s_mov_b32 s10, 0
	s_branch .LBB23_844
.LBB23_842:
	s_mov_b32 s10, -1
                                        ; implicit-def: $vgpr4
	s_branch .LBB23_847
.LBB23_843:
	s_mov_b32 s10, -1
                                        ; implicit-def: $sgpr11
.LBB23_844:
	v_mov_b32_e32 v4, s11
	s_and_not1_b32 vcc_lo, exec_lo, s10
	s_cbranch_vccnz .LBB23_846
; %bb.845:
	v_add_f32_e64 v4, 0x43000000, |v3|
.LBB23_846:
	s_mov_b32 s10, 0
.LBB23_847:
	s_delay_alu instid0(SALU_CYCLE_1)
	s_and_not1_b32 vcc_lo, exec_lo, s10
	s_cbranch_vccnz .LBB23_849
; %bb.848:
	s_cmp_gt_u32 s9, 0x7f800000
	s_movk_i32 s9, 0x7f
	s_delay_alu instid0(SALU_CYCLE_1) | instskip(NEXT) | instid1(SALU_CYCLE_1)
	s_cselect_b32 s9, s9, 0x7c
	v_mov_b32_e32 v4, s9
.LBB23_849:
	s_lshr_b32 s8, s8, 24
	s_delay_alu instid0(SALU_CYCLE_1)
	s_and_b32 s8, s8, 0x80
	s_delay_alu instid0(VALU_DEP_1) | instid1(SALU_CYCLE_1)
	v_or_b32_e32 v3, s8, v4
	global_store_b8 v[1:2], v3, off
.LBB23_850:
	s_mov_b32 s8, 0
	s_mov_b32 s9, -1
.LBB23_851:
	s_and_not1_b32 vcc_lo, exec_lo, s8
	s_mov_b32 s8, 0
	s_cbranch_vccnz .LBB23_858
; %bb.852:
	v_cmp_gt_i16_e64 s8, s4, 14
	s_delay_alu instid0(VALU_DEP_1)
	s_and_b32 vcc_lo, exec_lo, s8
	s_mov_b32 s8, -1
	s_cbranch_vccz .LBB23_856
; %bb.853:
	v_cmp_eq_u16_e64 s5, s4, 15
	s_delay_alu instid0(VALU_DEP_1)
	s_and_b32 vcc_lo, exec_lo, s5
	s_mov_b32 s5, -1
	s_cbranch_vccz .LBB23_855
; %bb.854:
	v_cvt_f32_i32_e32 v3, s2
	s_mov_b32 s5, 0
	s_mov_b32 s9, -1
	s_delay_alu instid0(VALU_DEP_1) | instskip(NEXT) | instid1(VALU_DEP_1)
	v_bfe_u32 v4, v3, 16, 1
	v_add_nc_u32_e32 v3, v3, v4
	s_delay_alu instid0(VALU_DEP_1)
	v_add_nc_u32_e32 v3, 0x7fff, v3
	global_store_d16_hi_b16 v[1:2], v3, off
.LBB23_855:
	s_mov_b32 s8, 0
.LBB23_856:
	s_delay_alu instid0(SALU_CYCLE_1)
	s_and_b32 vcc_lo, exec_lo, s8
	s_mov_b32 s8, 0
	s_cbranch_vccz .LBB23_858
; %bb.857:
	v_cmp_ne_u16_e64 s5, s4, 11
	s_mov_b32 s8, -1
.LBB23_858:
	s_delay_alu instid0(VALU_DEP_1)
	s_and_b32 vcc_lo, exec_lo, s5
	s_cbranch_vccnz .LBB23_957
; %bb.859:
	s_and_not1_b32 vcc_lo, exec_lo, s8
	s_cbranch_vccnz .LBB23_861
.LBB23_860:
	s_cmp_lg_u32 s2, 0
	s_mov_b32 s9, -1
	s_cselect_b32 s5, -1, 0
	s_delay_alu instid0(SALU_CYCLE_1)
	v_cndmask_b32_e64 v3, 0, 1, s5
	global_store_b8 v[1:2], v3, off
.LBB23_861:
	s_mov_b32 s5, 0
.LBB23_862:
	s_delay_alu instid0(SALU_CYCLE_1)
	s_and_b32 vcc_lo, exec_lo, s5
	s_cbranch_vccz .LBB23_901
; %bb.863:
	v_cmp_lt_i16_e64 s5, s4, 5
	s_delay_alu instid0(VALU_DEP_1)
	s_and_b32 vcc_lo, exec_lo, s5
	s_mov_b32 s5, -1
	s_cbranch_vccnz .LBB23_884
; %bb.864:
	v_cmp_lt_i16_e64 s5, s4, 8
	s_delay_alu instid0(VALU_DEP_1)
	s_and_b32 vcc_lo, exec_lo, s5
	s_mov_b32 s5, -1
	s_cbranch_vccnz .LBB23_874
	;; [unrolled: 6-line block ×3, first 2 shown]
; %bb.866:
	v_cmp_gt_i16_e64 s5, s4, 9
	s_delay_alu instid0(VALU_DEP_1)
	s_and_b32 vcc_lo, exec_lo, s5
	s_mov_b32 s5, -1
	s_cbranch_vccz .LBB23_868
; %bb.867:
	v_cvt_f64_i32_e32 v[3:4], s2
	v_mov_b32_e32 v5, 0
	s_mov_b32 s5, 0
	s_delay_alu instid0(VALU_DEP_1)
	v_mov_b32_e32 v6, v5
	global_store_b128 v[1:2], v[3:6], off
.LBB23_868:
	s_and_not1_b32 vcc_lo, exec_lo, s5
	s_cbranch_vccnz .LBB23_870
; %bb.869:
	v_cvt_f32_i32_e32 v3, s2
	v_mov_b32_e32 v4, 0
	global_store_b64 v[1:2], v[3:4], off
.LBB23_870:
	s_mov_b32 s5, 0
.LBB23_871:
	s_delay_alu instid0(SALU_CYCLE_1)
	s_and_not1_b32 vcc_lo, exec_lo, s5
	s_cbranch_vccnz .LBB23_873
; %bb.872:
	v_cvt_f32_i32_e32 v3, s2
	s_delay_alu instid0(VALU_DEP_1) | instskip(NEXT) | instid1(VALU_DEP_1)
	v_cvt_f16_f32_e32 v3, v3
	v_and_b32_e32 v3, 0xffff, v3
	global_store_b32 v[1:2], v3, off
.LBB23_873:
	s_mov_b32 s5, 0
.LBB23_874:
	s_delay_alu instid0(SALU_CYCLE_1)
	s_and_not1_b32 vcc_lo, exec_lo, s5
	s_cbranch_vccnz .LBB23_883
; %bb.875:
	v_cmp_lt_i16_e64 s5, s4, 6
	s_delay_alu instid0(VALU_DEP_1)
	s_and_b32 vcc_lo, exec_lo, s5
	s_mov_b32 s5, -1
	s_cbranch_vccnz .LBB23_881
; %bb.876:
	v_cmp_gt_i16_e64 s5, s4, 6
	s_delay_alu instid0(VALU_DEP_1)
	s_and_b32 vcc_lo, exec_lo, s5
	s_mov_b32 s5, -1
	s_cbranch_vccz .LBB23_878
; %bb.877:
	v_cvt_f64_i32_e32 v[3:4], s2
	s_mov_b32 s5, 0
	global_store_b64 v[1:2], v[3:4], off
.LBB23_878:
	s_and_not1_b32 vcc_lo, exec_lo, s5
	s_cbranch_vccnz .LBB23_880
; %bb.879:
	v_cvt_f32_i32_e32 v3, s2
	global_store_b32 v[1:2], v3, off
.LBB23_880:
	s_mov_b32 s5, 0
.LBB23_881:
	s_delay_alu instid0(SALU_CYCLE_1)
	s_and_not1_b32 vcc_lo, exec_lo, s5
	s_cbranch_vccnz .LBB23_883
; %bb.882:
	v_cvt_f32_i32_e32 v3, s2
	s_delay_alu instid0(VALU_DEP_1)
	v_cvt_f16_f32_e32 v3, v3
	global_store_b16 v[1:2], v3, off
.LBB23_883:
	s_mov_b32 s5, 0
.LBB23_884:
	s_delay_alu instid0(SALU_CYCLE_1)
	s_and_not1_b32 vcc_lo, exec_lo, s5
	s_cbranch_vccnz .LBB23_900
; %bb.885:
	v_cmp_lt_i16_e64 s5, s4, 2
	s_delay_alu instid0(VALU_DEP_1)
	s_and_b32 vcc_lo, exec_lo, s5
	s_mov_b32 s5, -1
	s_cbranch_vccnz .LBB23_895
; %bb.886:
	v_cmp_lt_i16_e64 s5, s4, 3
	s_delay_alu instid0(VALU_DEP_1)
	s_and_b32 vcc_lo, exec_lo, s5
	s_mov_b32 s5, -1
	s_cbranch_vccnz .LBB23_892
; %bb.887:
	v_cmp_gt_i16_e64 s5, s4, 3
	s_delay_alu instid0(VALU_DEP_1)
	s_and_b32 vcc_lo, exec_lo, s5
	s_mov_b32 s5, -1
	s_cbranch_vccz .LBB23_889
; %bb.888:
	s_ashr_i32 s5, s2, 31
	s_delay_alu instid0(SALU_CYCLE_1)
	v_dual_mov_b32 v3, s2 :: v_dual_mov_b32 v4, s5
	s_mov_b32 s5, 0
	global_store_b64 v[1:2], v[3:4], off
.LBB23_889:
	s_and_not1_b32 vcc_lo, exec_lo, s5
	s_cbranch_vccnz .LBB23_891
; %bb.890:
	v_mov_b32_e32 v3, s2
	global_store_b32 v[1:2], v3, off
.LBB23_891:
	s_mov_b32 s5, 0
.LBB23_892:
	s_delay_alu instid0(SALU_CYCLE_1)
	s_and_not1_b32 vcc_lo, exec_lo, s5
	s_cbranch_vccnz .LBB23_894
; %bb.893:
	v_mov_b32_e32 v3, s2
	global_store_b16 v[1:2], v3, off
.LBB23_894:
	s_mov_b32 s5, 0
.LBB23_895:
	s_delay_alu instid0(SALU_CYCLE_1)
	s_and_not1_b32 vcc_lo, exec_lo, s5
	s_cbranch_vccnz .LBB23_900
; %bb.896:
	v_cmp_gt_i16_e64 s5, s4, 0
	s_delay_alu instid0(VALU_DEP_1)
	s_and_b32 vcc_lo, exec_lo, s5
	s_mov_b32 s5, -1
	s_cbranch_vccz .LBB23_898
; %bb.897:
	v_mov_b32_e32 v3, s2
	s_mov_b32 s5, 0
	global_store_b8 v[1:2], v3, off
.LBB23_898:
	s_and_not1_b32 vcc_lo, exec_lo, s5
	s_cbranch_vccnz .LBB23_900
; %bb.899:
	v_mov_b32_e32 v3, s2
	global_store_b8 v[1:2], v3, off
.LBB23_900:
	s_mov_b32 s9, -1
.LBB23_901:
	s_delay_alu instid0(SALU_CYCLE_1)
	s_and_not1_b32 vcc_lo, exec_lo, s9
	s_cbranch_vccnz .LBB23_910
; %bb.902:
	v_cmp_lt_i16_e64 s8, s4, 11
	v_add_co_u32 v0, s0, s0, v0
	s_delay_alu instid0(VALU_DEP_1) | instskip(SKIP_1) | instid1(VALU_DEP_3)
	v_add_co_ci_u32_e64 v1, null, s1, 0, s0
	s_mov_b32 s5, 0
	s_and_b32 vcc_lo, exec_lo, s8
	s_mov_b32 s0, -1
	s_cbranch_vccnz .LBB23_911
; %bb.903:
	v_cmp_gt_i16_e64 s0, s4, 25
	s_mov_b32 s1, -1
	s_delay_alu instid0(VALU_DEP_1)
	s_and_b32 vcc_lo, exec_lo, s0
	s_mov_b32 s0, 0
	s_cbranch_vccz .LBB23_990
; %bb.904:
	v_cmp_gt_i16_e64 s0, s4, 28
	s_delay_alu instid0(VALU_DEP_1)
	s_and_b32 vcc_lo, exec_lo, s0
	s_cbranch_vccz .LBB23_955
; %bb.905:
	v_cmp_gt_i16_e64 s0, s4, 43
	s_delay_alu instid0(VALU_DEP_1)
	s_and_b32 vcc_lo, exec_lo, s0
	;; [unrolled: 5-line block ×3, first 2 shown]
	s_cbranch_vccz .LBB23_959
; %bb.907:
	v_cmp_eq_u16_e64 s0, s4, 46
	s_delay_alu instid0(VALU_DEP_1)
	s_and_b32 vcc_lo, exec_lo, s0
	s_mov_b32 s0, -1
	s_cbranch_vccz .LBB23_909
; %bb.908:
	v_cvt_f32_i32_e32 v2, s2
	s_mov_b32 s0, 0
	s_delay_alu instid0(VALU_DEP_1) | instskip(NEXT) | instid1(VALU_DEP_1)
	v_bfe_u32 v3, v2, 16, 1
	v_add_nc_u32_e32 v2, v2, v3
	s_delay_alu instid0(VALU_DEP_1) | instskip(NEXT) | instid1(VALU_DEP_1)
	v_add_nc_u32_e32 v2, 0x7fff, v2
	v_lshrrev_b32_e32 v2, 16, v2
	global_store_b32 v[0:1], v2, off
.LBB23_909:
	s_mov_b32 s1, 0
	s_branch .LBB23_960
.LBB23_910:
	s_mov_b32 s0, 0
	s_mov_b32 s5, 0
                                        ; implicit-def: $sgpr4
                                        ; implicit-def: $vgpr0_vgpr1
.LBB23_911:
	s_and_b32 s8, s0, exec_lo
	s_and_not1_b32 s0, s6, exec_lo
	s_and_b32 s1, s3, exec_lo
	s_and_b32 s3, s5, exec_lo
	s_or_b32 s6, s0, s1
.LBB23_912:
	s_or_b32 exec_lo, exec_lo, s7
	s_and_saveexec_b32 s0, s6
	s_cbranch_execz .LBB23_915
; %bb.913:
	; divergent unreachable
	s_or_b32 exec_lo, exec_lo, s0
	s_and_saveexec_b32 s0, s3
	s_delay_alu instid0(SALU_CYCLE_1)
	s_xor_b32 s0, exec_lo, s0
	s_cbranch_execnz .LBB23_916
.LBB23_914:
	s_or_b32 exec_lo, exec_lo, s0
	s_and_saveexec_b32 s0, s8
	s_cbranch_execnz .LBB23_917
	s_branch .LBB23_954
.LBB23_915:
	s_or_b32 exec_lo, exec_lo, s0
	s_and_saveexec_b32 s0, s3
	s_delay_alu instid0(SALU_CYCLE_1)
	s_xor_b32 s0, exec_lo, s0
	s_cbranch_execz .LBB23_914
.LBB23_916:
	s_cmp_lg_u32 s2, 0
	s_cselect_b32 s1, -1, 0
	s_delay_alu instid0(SALU_CYCLE_1)
	v_cndmask_b32_e64 v2, 0, 1, s1
	global_store_b8 v[0:1], v2, off
	s_or_b32 exec_lo, exec_lo, s0
	s_and_saveexec_b32 s0, s8
	s_cbranch_execz .LBB23_954
.LBB23_917:
	v_cmp_lt_i16_e64 s0, s4, 5
	s_delay_alu instid0(VALU_DEP_1)
	s_and_b32 vcc_lo, exec_lo, s0
	s_mov_b32 s0, -1
	s_cbranch_vccnz .LBB23_938
; %bb.918:
	v_cmp_lt_i16_e64 s0, s4, 8
	s_delay_alu instid0(VALU_DEP_1)
	s_and_b32 vcc_lo, exec_lo, s0
	s_mov_b32 s0, -1
	s_cbranch_vccnz .LBB23_928
; %bb.919:
	;; [unrolled: 6-line block ×3, first 2 shown]
	v_cmp_gt_i16_e64 s0, s4, 9
	s_delay_alu instid0(VALU_DEP_1)
	s_and_b32 vcc_lo, exec_lo, s0
	s_mov_b32 s0, -1
	s_cbranch_vccz .LBB23_922
; %bb.921:
	v_cvt_f64_i32_e32 v[2:3], s2
	v_mov_b32_e32 v4, 0
	s_mov_b32 s0, 0
	s_delay_alu instid0(VALU_DEP_1)
	v_mov_b32_e32 v5, v4
	global_store_b128 v[0:1], v[2:5], off
.LBB23_922:
	s_and_not1_b32 vcc_lo, exec_lo, s0
	s_cbranch_vccnz .LBB23_924
; %bb.923:
	v_cvt_f32_i32_e32 v2, s2
	v_mov_b32_e32 v3, 0
	global_store_b64 v[0:1], v[2:3], off
.LBB23_924:
	s_mov_b32 s0, 0
.LBB23_925:
	s_delay_alu instid0(SALU_CYCLE_1)
	s_and_not1_b32 vcc_lo, exec_lo, s0
	s_cbranch_vccnz .LBB23_927
; %bb.926:
	v_cvt_f32_i32_e32 v2, s2
	s_delay_alu instid0(VALU_DEP_1) | instskip(NEXT) | instid1(VALU_DEP_1)
	v_cvt_f16_f32_e32 v2, v2
	v_and_b32_e32 v2, 0xffff, v2
	global_store_b32 v[0:1], v2, off
.LBB23_927:
	s_mov_b32 s0, 0
.LBB23_928:
	s_delay_alu instid0(SALU_CYCLE_1)
	s_and_not1_b32 vcc_lo, exec_lo, s0
	s_cbranch_vccnz .LBB23_937
; %bb.929:
	v_cmp_lt_i16_e64 s0, s4, 6
	s_delay_alu instid0(VALU_DEP_1)
	s_and_b32 vcc_lo, exec_lo, s0
	s_mov_b32 s0, -1
	s_cbranch_vccnz .LBB23_935
; %bb.930:
	v_cmp_gt_i16_e64 s0, s4, 6
	s_delay_alu instid0(VALU_DEP_1)
	s_and_b32 vcc_lo, exec_lo, s0
	s_mov_b32 s0, -1
	s_cbranch_vccz .LBB23_932
; %bb.931:
	v_cvt_f64_i32_e32 v[2:3], s2
	s_mov_b32 s0, 0
	global_store_b64 v[0:1], v[2:3], off
.LBB23_932:
	s_and_not1_b32 vcc_lo, exec_lo, s0
	s_cbranch_vccnz .LBB23_934
; %bb.933:
	v_cvt_f32_i32_e32 v2, s2
	global_store_b32 v[0:1], v2, off
.LBB23_934:
	s_mov_b32 s0, 0
.LBB23_935:
	s_delay_alu instid0(SALU_CYCLE_1)
	s_and_not1_b32 vcc_lo, exec_lo, s0
	s_cbranch_vccnz .LBB23_937
; %bb.936:
	v_cvt_f32_i32_e32 v2, s2
	s_delay_alu instid0(VALU_DEP_1)
	v_cvt_f16_f32_e32 v2, v2
	global_store_b16 v[0:1], v2, off
.LBB23_937:
	s_mov_b32 s0, 0
.LBB23_938:
	s_delay_alu instid0(SALU_CYCLE_1)
	s_and_not1_b32 vcc_lo, exec_lo, s0
	s_cbranch_vccnz .LBB23_954
; %bb.939:
	v_cmp_lt_i16_e64 s0, s4, 2
	s_delay_alu instid0(VALU_DEP_1)
	s_and_b32 vcc_lo, exec_lo, s0
	s_mov_b32 s0, -1
	s_cbranch_vccnz .LBB23_949
; %bb.940:
	v_cmp_lt_i16_e64 s0, s4, 3
	s_delay_alu instid0(VALU_DEP_1)
	s_and_b32 vcc_lo, exec_lo, s0
	s_mov_b32 s0, -1
	s_cbranch_vccnz .LBB23_946
; %bb.941:
	v_cmp_gt_i16_e64 s0, s4, 3
	s_delay_alu instid0(VALU_DEP_1)
	s_and_b32 vcc_lo, exec_lo, s0
	s_mov_b32 s0, -1
	s_cbranch_vccz .LBB23_943
; %bb.942:
	s_ashr_i32 s0, s2, 31
	s_delay_alu instid0(SALU_CYCLE_1)
	v_dual_mov_b32 v2, s2 :: v_dual_mov_b32 v3, s0
	s_mov_b32 s0, 0
	global_store_b64 v[0:1], v[2:3], off
.LBB23_943:
	s_and_not1_b32 vcc_lo, exec_lo, s0
	s_cbranch_vccnz .LBB23_945
; %bb.944:
	v_mov_b32_e32 v2, s2
	global_store_b32 v[0:1], v2, off
.LBB23_945:
	s_mov_b32 s0, 0
.LBB23_946:
	s_delay_alu instid0(SALU_CYCLE_1)
	s_and_not1_b32 vcc_lo, exec_lo, s0
	s_cbranch_vccnz .LBB23_948
; %bb.947:
	v_mov_b32_e32 v2, s2
	global_store_b16 v[0:1], v2, off
.LBB23_948:
	s_mov_b32 s0, 0
.LBB23_949:
	s_delay_alu instid0(SALU_CYCLE_1)
	s_and_not1_b32 vcc_lo, exec_lo, s0
	s_cbranch_vccnz .LBB23_954
; %bb.950:
	v_cmp_gt_i16_e64 s0, s4, 0
	s_delay_alu instid0(VALU_DEP_1)
	s_and_b32 vcc_lo, exec_lo, s0
	s_mov_b32 s0, -1
	s_cbranch_vccz .LBB23_952
; %bb.951:
	v_mov_b32_e32 v2, s2
	s_mov_b32 s0, 0
	global_store_b8 v[0:1], v2, off
.LBB23_952:
	s_and_not1_b32 vcc_lo, exec_lo, s0
	s_cbranch_vccnz .LBB23_954
; %bb.953:
	v_mov_b32_e32 v2, s2
	global_store_b8 v[0:1], v2, off
	s_nop 0
	s_sendmsg sendmsg(MSG_DEALLOC_VGPRS)
	s_endpgm
.LBB23_954:
	s_nop 0
	s_sendmsg sendmsg(MSG_DEALLOC_VGPRS)
	s_endpgm
.LBB23_955:
	s_mov_b32 s0, 0
	s_branch .LBB23_970
.LBB23_956:
	s_mov_b32 s0, 0
	s_branch .LBB23_966
.LBB23_957:
	s_cbranch_execnz .LBB23_981
; %bb.958:
	s_or_b32 s3, s3, exec_lo
	s_cbranch_execz .LBB23_860
	s_branch .LBB23_861
.LBB23_959:
	s_mov_b32 s0, 0
.LBB23_960:
	s_and_b32 vcc_lo, exec_lo, s1
	s_cbranch_vccz .LBB23_965
; %bb.961:
	v_cmp_eq_u16_e64 s0, s4, 44
	s_delay_alu instid0(VALU_DEP_1)
	s_and_b32 vcc_lo, exec_lo, s0
	s_mov_b32 s0, -1
	s_cbranch_vccz .LBB23_965
; %bb.962:
	v_cvt_f32_i32_e32 v2, s2
	v_mov_b32_e32 v3, 0xff
	s_delay_alu instid0(VALU_DEP_2) | instskip(NEXT) | instid1(VALU_DEP_1)
	v_readfirstlane_b32 s0, v2
	s_bfe_u32 s1, s0, 0x80017
	s_delay_alu instid0(SALU_CYCLE_1)
	s_cmpk_eq_i32 s1, 0xff
	s_cbranch_scc1 .LBB23_964
; %bb.963:
	s_bitcmp1_b32 s0, 22
	v_lshrrev_b32_e32 v2, 23, v2
	s_cselect_b32 s8, -1, 0
	s_and_b32 s0, s0, 0x3fffff
	s_delay_alu instid0(SALU_CYCLE_1) | instskip(NEXT) | instid1(SALU_CYCLE_1)
	s_or_b32 s0, s1, s0
	s_cmp_lg_u32 s0, 0
	s_cselect_b32 s0, -1, 0
	s_delay_alu instid0(SALU_CYCLE_1) | instskip(NEXT) | instid1(SALU_CYCLE_1)
	s_and_b32 s0, s8, s0
	v_cndmask_b32_e64 v3, 0, 1, s0
	s_delay_alu instid0(VALU_DEP_1)
	v_add_nc_u32_e32 v3, v2, v3
.LBB23_964:
	s_mov_b32 s0, 0
	global_store_b8 v[0:1], v3, off
.LBB23_965:
	s_mov_b32 s1, 0
.LBB23_966:
	s_delay_alu instid0(SALU_CYCLE_1)
	s_and_b32 vcc_lo, exec_lo, s1
	s_cbranch_vccz .LBB23_969
; %bb.967:
	v_cmp_eq_u16_e64 s0, s4, 29
	s_delay_alu instid0(VALU_DEP_1)
	s_and_b32 vcc_lo, exec_lo, s0
	s_mov_b32 s0, -1
	s_cbranch_vccz .LBB23_969
; %bb.968:
	s_ashr_i32 s0, s2, 31
	s_delay_alu instid0(SALU_CYCLE_1)
	v_dual_mov_b32 v2, s2 :: v_dual_mov_b32 v3, s0
	s_mov_b32 s0, 0
	global_store_b64 v[0:1], v[2:3], off
.LBB23_969:
	s_mov_b32 s1, 0
.LBB23_970:
	s_delay_alu instid0(SALU_CYCLE_1)
	s_and_b32 vcc_lo, exec_lo, s1
	s_cbranch_vccz .LBB23_989
; %bb.971:
	v_cmp_lt_i16_e64 s1, s4, 27
	s_delay_alu instid0(VALU_DEP_1)
	s_and_b32 vcc_lo, exec_lo, s1
	s_mov_b32 s1, -1
	s_cbranch_vccnz .LBB23_977
; %bb.972:
	v_cmp_gt_i16_e64 s1, s4, 27
	s_delay_alu instid0(VALU_DEP_1)
	s_and_b32 vcc_lo, exec_lo, s1
	s_mov_b32 s1, -1
	s_cbranch_vccz .LBB23_974
; %bb.973:
	v_mov_b32_e32 v2, s2
	s_mov_b32 s1, 0
	global_store_b32 v[0:1], v2, off
.LBB23_974:
	s_and_not1_b32 vcc_lo, exec_lo, s1
	s_cbranch_vccnz .LBB23_976
; %bb.975:
	v_mov_b32_e32 v2, s2
	global_store_b16 v[0:1], v2, off
.LBB23_976:
	s_mov_b32 s1, 0
.LBB23_977:
	s_delay_alu instid0(SALU_CYCLE_1)
	s_and_not1_b32 vcc_lo, exec_lo, s1
	s_cbranch_vccnz .LBB23_989
; %bb.978:
	v_cvt_f32_i32_e32 v2, s2
	v_mov_b32_e32 v3, 0x80
	s_delay_alu instid0(VALU_DEP_2) | instskip(NEXT) | instid1(VALU_DEP_1)
	v_readfirstlane_b32 s1, v2
	s_and_b32 s8, s1, 0x7fffffff
	s_delay_alu instid0(SALU_CYCLE_1)
	s_cmp_gt_u32 s8, 0x437fffff
	s_cbranch_scc1 .LBB23_988
; %bb.979:
	s_cmp_gt_u32 s8, 0x3bffffff
	s_cbranch_scc0 .LBB23_983
; %bb.980:
	s_bfe_u32 s8, s1, 0x10014
	s_mov_b32 s9, 0
	s_add_i32 s8, s1, s8
	s_delay_alu instid0(SALU_CYCLE_1) | instskip(NEXT) | instid1(SALU_CYCLE_1)
	s_add_i32 s8, s8, 0x487ffff
	s_lshr_b32 s10, s8, 20
	s_mov_b32 s8, -1
	s_branch .LBB23_984
.LBB23_981:
	s_trap 2
	s_sendmsg_rtn_b32 s0, sendmsg(MSG_RTN_GET_DOORBELL)
	s_mov_b32 ttmp2, m0
	s_waitcnt lgkmcnt(0)
	s_and_b32 s0, s0, 0x3ff
	s_delay_alu instid0(SALU_CYCLE_1) | instskip(NEXT) | instid1(SALU_CYCLE_1)
	s_bitset1_b32 s0, 10
	s_mov_b32 m0, s0
	s_sendmsg sendmsg(MSG_INTERRUPT)
	s_mov_b32 m0, ttmp2
.LBB23_982:                             ; =>This Inner Loop Header: Depth=1
	s_sethalt 5
	s_branch .LBB23_982
.LBB23_983:
	s_mov_b32 s9, -1
	s_mov_b32 s8, 0
                                        ; implicit-def: $sgpr10
.LBB23_984:
	v_mov_b32_e32 v2, s10
	s_and_not1_b32 vcc_lo, exec_lo, s9
                                        ; implicit-def: $sgpr9
	s_cbranch_vccnz .LBB23_986
; %bb.985:
	v_add_f32_e64 v2, 0x46000000, |s1|
	s_mov_b32 s9, 0
	s_delay_alu instid0(VALU_DEP_1) | instskip(NEXT) | instid1(VALU_DEP_1)
	v_and_b32_e32 v2, 0xff, v2
	v_cmp_ne_u32_e64 s8, 0, v2
.LBB23_986:
	v_mov_b32_e32 v3, s9
	s_delay_alu instid0(VALU_DEP_2)
	s_and_not1_b32 vcc_lo, exec_lo, s8
	s_cbranch_vccnz .LBB23_988
; %bb.987:
	s_lshr_b32 s1, s1, 24
	s_delay_alu instid0(SALU_CYCLE_1) | instskip(NEXT) | instid1(SALU_CYCLE_1)
	s_and_b32 s1, s1, 0x80
	v_or_b32_e32 v3, s1, v2
.LBB23_988:
	global_store_b8 v[0:1], v3, off
.LBB23_989:
	s_mov_b32 s1, 0
.LBB23_990:
	s_delay_alu instid0(SALU_CYCLE_1)
	s_and_b32 vcc_lo, exec_lo, s1
	s_cbranch_vccz .LBB23_1036
; %bb.991:
	v_cmp_gt_i16_e64 s1, s4, 22
	s_delay_alu instid0(VALU_DEP_1)
	s_and_b32 vcc_lo, exec_lo, s1
	s_mov_b32 s1, -1
	s_cbranch_vccz .LBB23_1029
; %bb.992:
	v_cmp_lt_i16_e64 s1, s4, 24
	s_delay_alu instid0(VALU_DEP_1)
	s_and_b32 vcc_lo, exec_lo, s1
	s_mov_b32 s1, -1
	s_cbranch_vccnz .LBB23_1016
; %bb.993:
	v_cmp_gt_i16_e64 s1, s4, 24
	s_delay_alu instid0(VALU_DEP_1)
	s_and_b32 vcc_lo, exec_lo, s1
	s_mov_b32 s1, -1
	s_cbranch_vccz .LBB23_1003
; %bb.994:
	v_cvt_f32_i32_e32 v2, s2
	v_mov_b32_e32 v3, 0x80
	s_delay_alu instid0(VALU_DEP_2) | instskip(NEXT) | instid1(VALU_DEP_1)
	v_readfirstlane_b32 s1, v2
	s_and_b32 s5, s1, 0x7fffffff
	s_delay_alu instid0(SALU_CYCLE_1)
	s_cmp_gt_u32 s5, 0x477fffff
	s_cbranch_scc1 .LBB23_1002
; %bb.995:
	s_cmp_gt_u32 s5, 0x37ffffff
	s_cbranch_scc0 .LBB23_997
; %bb.996:
	s_bfe_u32 s5, s1, 0x10015
	s_mov_b32 s8, 0
	s_add_i32 s5, s1, s5
	s_delay_alu instid0(SALU_CYCLE_1) | instskip(NEXT) | instid1(SALU_CYCLE_1)
	s_add_i32 s5, s5, 0x88fffff
	s_lshr_b32 s9, s5, 21
	s_mov_b32 s5, -1
	s_branch .LBB23_998
.LBB23_997:
	s_mov_b32 s8, -1
	s_mov_b32 s5, 0
                                        ; implicit-def: $sgpr9
.LBB23_998:
	v_mov_b32_e32 v2, s9
	s_and_not1_b32 vcc_lo, exec_lo, s8
                                        ; implicit-def: $sgpr8
	s_cbranch_vccnz .LBB23_1000
; %bb.999:
	v_add_f32_e64 v2, 0x42800000, |s1|
	s_mov_b32 s8, 0
	s_delay_alu instid0(VALU_DEP_1) | instskip(NEXT) | instid1(VALU_DEP_1)
	v_and_b32_e32 v2, 0xff, v2
	v_cmp_ne_u32_e64 s5, 0, v2
.LBB23_1000:
	v_mov_b32_e32 v3, s8
	s_delay_alu instid0(VALU_DEP_2)
	s_and_not1_b32 vcc_lo, exec_lo, s5
	s_cbranch_vccnz .LBB23_1002
; %bb.1001:
	s_lshr_b32 s1, s1, 24
	s_delay_alu instid0(SALU_CYCLE_1) | instskip(NEXT) | instid1(SALU_CYCLE_1)
	s_and_b32 s1, s1, 0x80
	v_or_b32_e32 v3, s1, v2
.LBB23_1002:
	s_mov_b32 s1, 0
	global_store_b8 v[0:1], v3, off
.LBB23_1003:
	s_and_b32 vcc_lo, exec_lo, s1
	s_cbranch_vccz .LBB23_1015
; %bb.1004:
	v_cvt_f32_i32_e32 v2, s2
	s_delay_alu instid0(VALU_DEP_1) | instskip(NEXT) | instid1(VALU_DEP_1)
	v_readfirstlane_b32 s1, v2
	s_and_b32 s5, s1, 0x7fffffff
	s_delay_alu instid0(SALU_CYCLE_1)
	s_cmp_lt_u32 s5, 0x43f00000
	s_cbranch_scc0 .LBB23_1007
; %bb.1005:
	s_cmp_gt_u32 s5, 0x3c7fffff
	s_cbranch_scc0 .LBB23_1008
; %bb.1006:
	s_bfe_u32 s8, s1, 0x10014
	s_delay_alu instid0(SALU_CYCLE_1) | instskip(NEXT) | instid1(SALU_CYCLE_1)
	s_add_i32 s8, s1, s8
	s_add_i32 s8, s8, 0x407ffff
	s_delay_alu instid0(SALU_CYCLE_1)
	s_and_b32 s9, s8, 0xff00000
	s_lshr_b32 s8, s8, 20
	s_cmp_lg_u32 s9, 0x7f00000
	s_cselect_b32 s9, s8, 0x7e
	s_mov_b32 s8, 0
	s_branch .LBB23_1009
.LBB23_1007:
	s_mov_b32 s8, -1
                                        ; implicit-def: $vgpr3
	s_branch .LBB23_1012
.LBB23_1008:
	s_mov_b32 s8, -1
                                        ; implicit-def: $sgpr9
.LBB23_1009:
	v_mov_b32_e32 v3, s9
	s_and_not1_b32 vcc_lo, exec_lo, s8
	s_cbranch_vccnz .LBB23_1011
; %bb.1010:
	v_add_f32_e64 v3, 0x46800000, |v2|
.LBB23_1011:
	s_mov_b32 s8, 0
.LBB23_1012:
	s_delay_alu instid0(SALU_CYCLE_1)
	s_and_not1_b32 vcc_lo, exec_lo, s8
	s_cbranch_vccnz .LBB23_1014
; %bb.1013:
	s_cmp_gt_u32 s5, 0x7f800000
	s_movk_i32 s5, 0x7f
	s_delay_alu instid0(SALU_CYCLE_1) | instskip(NEXT) | instid1(SALU_CYCLE_1)
	s_cselect_b32 s5, s5, 0x7e
	v_mov_b32_e32 v3, s5
.LBB23_1014:
	s_lshr_b32 s1, s1, 24
	s_delay_alu instid0(SALU_CYCLE_1)
	s_and_b32 s1, s1, 0x80
	s_delay_alu instid0(VALU_DEP_1) | instid1(SALU_CYCLE_1)
	v_or_b32_e32 v2, s1, v3
	global_store_b8 v[0:1], v2, off
.LBB23_1015:
	s_mov_b32 s1, 0
.LBB23_1016:
	s_delay_alu instid0(SALU_CYCLE_1)
	s_and_not1_b32 vcc_lo, exec_lo, s1
	s_cbranch_vccnz .LBB23_1028
; %bb.1017:
	v_cvt_f32_i32_e32 v2, s2
	s_delay_alu instid0(VALU_DEP_1) | instskip(NEXT) | instid1(VALU_DEP_1)
	v_readfirstlane_b32 s1, v2
	s_and_b32 s5, s1, 0x7fffffff
	s_delay_alu instid0(SALU_CYCLE_1)
	s_cmp_lt_u32 s5, 0x47800000
	s_cbranch_scc0 .LBB23_1020
; %bb.1018:
	s_cmp_gt_u32 s5, 0x387fffff
	s_cbranch_scc0 .LBB23_1021
; %bb.1019:
	s_bfe_u32 s8, s1, 0x10015
	s_delay_alu instid0(SALU_CYCLE_1) | instskip(NEXT) | instid1(SALU_CYCLE_1)
	s_add_i32 s8, s1, s8
	s_add_i32 s8, s8, 0x80fffff
	s_delay_alu instid0(SALU_CYCLE_1)
	s_lshr_b32 s9, s8, 21
	s_mov_b32 s8, 0
	s_branch .LBB23_1022
.LBB23_1020:
	s_mov_b32 s8, -1
                                        ; implicit-def: $vgpr3
	s_branch .LBB23_1025
.LBB23_1021:
	s_mov_b32 s8, -1
                                        ; implicit-def: $sgpr9
.LBB23_1022:
	v_mov_b32_e32 v3, s9
	s_and_not1_b32 vcc_lo, exec_lo, s8
	s_cbranch_vccnz .LBB23_1024
; %bb.1023:
	v_add_f32_e64 v3, 0x43000000, |v2|
.LBB23_1024:
	s_mov_b32 s8, 0
.LBB23_1025:
	s_delay_alu instid0(SALU_CYCLE_1)
	s_and_not1_b32 vcc_lo, exec_lo, s8
	s_cbranch_vccnz .LBB23_1027
; %bb.1026:
	s_cmp_gt_u32 s5, 0x7f800000
	s_movk_i32 s5, 0x7f
	s_delay_alu instid0(SALU_CYCLE_1) | instskip(NEXT) | instid1(SALU_CYCLE_1)
	s_cselect_b32 s5, s5, 0x7c
	v_mov_b32_e32 v3, s5
.LBB23_1027:
	s_lshr_b32 s1, s1, 24
	s_delay_alu instid0(SALU_CYCLE_1)
	s_and_b32 s1, s1, 0x80
	s_delay_alu instid0(VALU_DEP_1) | instid1(SALU_CYCLE_1)
	v_or_b32_e32 v2, s1, v3
	global_store_b8 v[0:1], v2, off
.LBB23_1028:
	s_mov_b32 s1, 0
.LBB23_1029:
	s_delay_alu instid0(SALU_CYCLE_1)
	s_and_not1_b32 vcc_lo, exec_lo, s1
	s_mov_b32 s5, 0
	s_cbranch_vccnz .LBB23_1036
; %bb.1030:
	v_cmp_gt_i16_e64 s1, s4, 14
	s_delay_alu instid0(VALU_DEP_1)
	s_and_b32 vcc_lo, exec_lo, s1
	s_mov_b32 s1, -1
	s_cbranch_vccz .LBB23_1034
; %bb.1031:
	v_cmp_eq_u16_e64 s0, s4, 15
	s_delay_alu instid0(VALU_DEP_1)
	s_and_b32 vcc_lo, exec_lo, s0
	s_mov_b32 s0, -1
	s_cbranch_vccz .LBB23_1033
; %bb.1032:
	v_cvt_f32_i32_e32 v2, s2
	s_mov_b32 s0, 0
	s_delay_alu instid0(VALU_DEP_1) | instskip(NEXT) | instid1(VALU_DEP_1)
	v_bfe_u32 v3, v2, 16, 1
	v_add_nc_u32_e32 v2, v2, v3
	s_delay_alu instid0(VALU_DEP_1)
	v_add_nc_u32_e32 v2, 0x7fff, v2
	global_store_d16_hi_b16 v[0:1], v2, off
.LBB23_1033:
	s_mov_b32 s1, 0
.LBB23_1034:
	s_delay_alu instid0(SALU_CYCLE_1)
	s_and_b32 vcc_lo, exec_lo, s1
	s_cbranch_vccz .LBB23_1036
; %bb.1035:
	v_cmp_ne_u16_e64 s0, s4, 11
	s_mov_b32 s5, -1
.LBB23_1036:
	s_delay_alu instid0(VALU_DEP_1)
	s_and_b32 vcc_lo, exec_lo, s0
	s_cbranch_vccnz .LBB23_1038
.LBB23_1037:
	s_mov_b32 s0, 0
	s_branch .LBB23_911
.LBB23_1038:
	s_cbranch_execnz .LBB23_1040
; %bb.1039:
	s_mov_b32 s5, 0
	s_or_b32 s3, s3, exec_lo
	s_branch .LBB23_1037
.LBB23_1040:
	s_trap 2
	s_sendmsg_rtn_b32 s0, sendmsg(MSG_RTN_GET_DOORBELL)
	s_mov_b32 ttmp2, m0
	s_waitcnt lgkmcnt(0)
	s_and_b32 s0, s0, 0x3ff
	s_delay_alu instid0(SALU_CYCLE_1) | instskip(NEXT) | instid1(SALU_CYCLE_1)
	s_bitset1_b32 s0, 10
	s_mov_b32 m0, s0
	s_sendmsg sendmsg(MSG_INTERRUPT)
	s_mov_b32 m0, ttmp2
.LBB23_1041:                            ; =>This Inner Loop Header: Depth=1
	s_sethalt 5
	s_branch .LBB23_1041
	.section	.rodata,"a",@progbits
	.p2align	6, 0x0
	.amdhsa_kernel _ZN2at6native32elementwise_kernel_manual_unrollILi128ELi4EZNS0_15gpu_kernel_implINS0_11FillFunctorIiEEEEvRNS_18TensorIteratorBaseERKT_EUlibE0_EEviT1_
		.amdhsa_group_segment_fixed_size 0
		.amdhsa_private_segment_fixed_size 0
		.amdhsa_kernarg_size 288
		.amdhsa_user_sgpr_count 15
		.amdhsa_user_sgpr_dispatch_ptr 0
		.amdhsa_user_sgpr_queue_ptr 0
		.amdhsa_user_sgpr_kernarg_segment_ptr 1
		.amdhsa_user_sgpr_dispatch_id 0
		.amdhsa_user_sgpr_private_segment_size 0
		.amdhsa_wavefront_size32 1
		.amdhsa_uses_dynamic_stack 0
		.amdhsa_enable_private_segment 0
		.amdhsa_system_sgpr_workgroup_id_x 1
		.amdhsa_system_sgpr_workgroup_id_y 0
		.amdhsa_system_sgpr_workgroup_id_z 0
		.amdhsa_system_sgpr_workgroup_info 0
		.amdhsa_system_vgpr_workitem_id 0
		.amdhsa_next_free_vgpr 21
		.amdhsa_next_free_sgpr 76
		.amdhsa_reserve_vcc 1
		.amdhsa_float_round_mode_32 0
		.amdhsa_float_round_mode_16_64 0
		.amdhsa_float_denorm_mode_32 3
		.amdhsa_float_denorm_mode_16_64 3
		.amdhsa_dx10_clamp 1
		.amdhsa_ieee_mode 1
		.amdhsa_fp16_overflow 0
		.amdhsa_workgroup_processor_mode 1
		.amdhsa_memory_ordered 1
		.amdhsa_forward_progress 0
		.amdhsa_shared_vgpr_count 0
		.amdhsa_exception_fp_ieee_invalid_op 0
		.amdhsa_exception_fp_denorm_src 0
		.amdhsa_exception_fp_ieee_div_zero 0
		.amdhsa_exception_fp_ieee_overflow 0
		.amdhsa_exception_fp_ieee_underflow 0
		.amdhsa_exception_fp_ieee_inexact 0
		.amdhsa_exception_int_div_zero 0
	.end_amdhsa_kernel
	.section	.text._ZN2at6native32elementwise_kernel_manual_unrollILi128ELi4EZNS0_15gpu_kernel_implINS0_11FillFunctorIiEEEEvRNS_18TensorIteratorBaseERKT_EUlibE0_EEviT1_,"axG",@progbits,_ZN2at6native32elementwise_kernel_manual_unrollILi128ELi4EZNS0_15gpu_kernel_implINS0_11FillFunctorIiEEEEvRNS_18TensorIteratorBaseERKT_EUlibE0_EEviT1_,comdat
.Lfunc_end23:
	.size	_ZN2at6native32elementwise_kernel_manual_unrollILi128ELi4EZNS0_15gpu_kernel_implINS0_11FillFunctorIiEEEEvRNS_18TensorIteratorBaseERKT_EUlibE0_EEviT1_, .Lfunc_end23-_ZN2at6native32elementwise_kernel_manual_unrollILi128ELi4EZNS0_15gpu_kernel_implINS0_11FillFunctorIiEEEEvRNS_18TensorIteratorBaseERKT_EUlibE0_EEviT1_
                                        ; -- End function
	.section	.AMDGPU.csdata,"",@progbits
; Kernel info:
; codeLenInByte = 20560
; NumSgprs: 78
; NumVgprs: 21
; ScratchSize: 0
; MemoryBound: 0
; FloatMode: 240
; IeeeMode: 1
; LDSByteSize: 0 bytes/workgroup (compile time only)
; SGPRBlocks: 9
; VGPRBlocks: 2
; NumSGPRsForWavesPerEU: 78
; NumVGPRsForWavesPerEU: 21
; Occupancy: 16
; WaveLimiterHint : 1
; COMPUTE_PGM_RSRC2:SCRATCH_EN: 0
; COMPUTE_PGM_RSRC2:USER_SGPR: 15
; COMPUTE_PGM_RSRC2:TRAP_HANDLER: 0
; COMPUTE_PGM_RSRC2:TGID_X_EN: 1
; COMPUTE_PGM_RSRC2:TGID_Y_EN: 0
; COMPUTE_PGM_RSRC2:TGID_Z_EN: 0
; COMPUTE_PGM_RSRC2:TIDIG_COMP_CNT: 0
	.section	.text._ZN2at6native29vectorized_elementwise_kernelILi16ENS0_11FillFunctorIlEESt5arrayIPcLm1EEEEviT0_T1_,"axG",@progbits,_ZN2at6native29vectorized_elementwise_kernelILi16ENS0_11FillFunctorIlEESt5arrayIPcLm1EEEEviT0_T1_,comdat
	.protected	_ZN2at6native29vectorized_elementwise_kernelILi16ENS0_11FillFunctorIlEESt5arrayIPcLm1EEEEviT0_T1_ ; -- Begin function _ZN2at6native29vectorized_elementwise_kernelILi16ENS0_11FillFunctorIlEESt5arrayIPcLm1EEEEviT0_T1_
	.globl	_ZN2at6native29vectorized_elementwise_kernelILi16ENS0_11FillFunctorIlEESt5arrayIPcLm1EEEEviT0_T1_
	.p2align	8
	.type	_ZN2at6native29vectorized_elementwise_kernelILi16ENS0_11FillFunctorIlEESt5arrayIPcLm1EEEEviT0_T1_,@function
_ZN2at6native29vectorized_elementwise_kernelILi16ENS0_11FillFunctorIlEESt5arrayIPcLm1EEEEviT0_T1_: ; @_ZN2at6native29vectorized_elementwise_kernelILi16ENS0_11FillFunctorIlEESt5arrayIPcLm1EEEEviT0_T1_
; %bb.0:
	s_clause 0x1
	s_load_b32 s5, s[0:1], 0x0
	s_load_b128 s[0:3], s[0:1], 0x8
	s_lshl_b32 s4, s15, 10
	s_waitcnt lgkmcnt(0)
	s_sub_i32 s6, s5, s4
	s_mov_b32 s5, -1
	s_cmpk_gt_i32 s6, 0x3ff
	s_cbranch_scc0 .LBB24_2
; %bb.1:
	s_mov_b32 s8, s0
	s_ashr_i32 s5, s4, 31
	s_mov_b32 s9, s1
	s_mov_b32 s10, s0
	;; [unrolled: 1-line block ×3, first 2 shown]
	s_delay_alu instid0(SALU_CYCLE_1)
	v_dual_mov_b32 v1, s8 :: v_dual_mov_b32 v4, s11
	s_lshl_b64 s[12:13], s[4:5], 3
	v_dual_mov_b32 v2, s9 :: v_dual_lshlrev_b32 v5, 5, v0
	v_mov_b32_e32 v3, s10
	s_add_u32 s8, s2, s12
	s_addc_u32 s9, s3, s13
	s_mov_b32 s5, 0
	s_clause 0x1
	global_store_b128 v5, v[1:4], s[8:9]
	global_store_b128 v5, v[1:4], s[8:9] offset:16
.LBB24_2:
	s_and_not1_b32 vcc_lo, exec_lo, s5
	s_cbranch_vccnz .LBB24_8
; %bb.3:
	s_mov_b32 s5, exec_lo
	v_cmpx_gt_i32_e64 s6, v0
	s_cbranch_execnz .LBB24_9
; %bb.4:
	s_or_b32 exec_lo, exec_lo, s5
	s_delay_alu instid0(SALU_CYCLE_1)
	s_mov_b32 s5, exec_lo
	v_cmpx_gt_i32_e64 s6, v0
	s_cbranch_execnz .LBB24_10
.LBB24_5:
	s_or_b32 exec_lo, exec_lo, s5
	s_delay_alu instid0(SALU_CYCLE_1)
	s_mov_b32 s5, exec_lo
	v_cmpx_gt_i32_e64 s6, v0
	s_cbranch_execnz .LBB24_11
.LBB24_6:
	s_or_b32 exec_lo, exec_lo, s5
	s_delay_alu instid0(SALU_CYCLE_1)
	s_mov_b32 s5, exec_lo
	v_cmpx_gt_i32_e64 s6, v0
	s_cbranch_execz .LBB24_8
.LBB24_7:
	v_dual_mov_b32 v1, 0 :: v_dual_add_nc_u32 v0, s4, v0
	v_dual_mov_b32 v3, s1 :: v_dual_mov_b32 v2, s0
	s_delay_alu instid0(VALU_DEP_2) | instskip(NEXT) | instid1(VALU_DEP_1)
	v_lshlrev_b64 v[0:1], 3, v[0:1]
	v_add_co_u32 v0, vcc_lo, s2, v0
	s_delay_alu instid0(VALU_DEP_2)
	v_add_co_ci_u32_e32 v1, vcc_lo, s3, v1, vcc_lo
	global_store_b64 v[0:1], v[2:3], off
.LBB24_8:
	s_nop 0
	s_sendmsg sendmsg(MSG_DEALLOC_VGPRS)
	s_endpgm
.LBB24_9:
	v_or_b32_e32 v1, s4, v0
	v_dual_mov_b32 v2, 0 :: v_dual_mov_b32 v3, s0
	v_or_b32_e32 v0, 0x100, v0
	v_mov_b32_e32 v4, s1
	s_delay_alu instid0(VALU_DEP_3) | instskip(NEXT) | instid1(VALU_DEP_1)
	v_lshlrev_b64 v[1:2], 3, v[1:2]
	v_add_co_u32 v1, vcc_lo, s2, v1
	s_delay_alu instid0(VALU_DEP_2) | instskip(SKIP_2) | instid1(SALU_CYCLE_1)
	v_add_co_ci_u32_e32 v2, vcc_lo, s3, v2, vcc_lo
	global_store_b64 v[1:2], v[3:4], off
	s_or_b32 exec_lo, exec_lo, s5
	s_mov_b32 s5, exec_lo
	v_cmpx_gt_i32_e64 s6, v0
	s_cbranch_execz .LBB24_5
.LBB24_10:
	v_dual_mov_b32 v2, 0 :: v_dual_add_nc_u32 v1, s4, v0
	v_dual_mov_b32 v4, s1 :: v_dual_mov_b32 v3, s0
	v_add_nc_u32_e32 v0, 0x100, v0
	s_delay_alu instid0(VALU_DEP_3) | instskip(NEXT) | instid1(VALU_DEP_1)
	v_lshlrev_b64 v[1:2], 3, v[1:2]
	v_add_co_u32 v1, vcc_lo, s2, v1
	s_delay_alu instid0(VALU_DEP_2) | instskip(SKIP_2) | instid1(SALU_CYCLE_1)
	v_add_co_ci_u32_e32 v2, vcc_lo, s3, v2, vcc_lo
	global_store_b64 v[1:2], v[3:4], off
	s_or_b32 exec_lo, exec_lo, s5
	s_mov_b32 s5, exec_lo
	v_cmpx_gt_i32_e64 s6, v0
	s_cbranch_execz .LBB24_6
.LBB24_11:
	v_dual_mov_b32 v2, 0 :: v_dual_add_nc_u32 v1, s4, v0
	v_dual_mov_b32 v4, s1 :: v_dual_mov_b32 v3, s0
	v_add_nc_u32_e32 v0, 0x100, v0
	s_delay_alu instid0(VALU_DEP_3) | instskip(NEXT) | instid1(VALU_DEP_1)
	v_lshlrev_b64 v[1:2], 3, v[1:2]
	v_add_co_u32 v1, vcc_lo, s2, v1
	s_delay_alu instid0(VALU_DEP_2) | instskip(SKIP_2) | instid1(SALU_CYCLE_1)
	v_add_co_ci_u32_e32 v2, vcc_lo, s3, v2, vcc_lo
	global_store_b64 v[1:2], v[3:4], off
	s_or_b32 exec_lo, exec_lo, s5
	s_mov_b32 s5, exec_lo
	v_cmpx_gt_i32_e64 s6, v0
	s_cbranch_execnz .LBB24_7
	s_branch .LBB24_8
	.section	.rodata,"a",@progbits
	.p2align	6, 0x0
	.amdhsa_kernel _ZN2at6native29vectorized_elementwise_kernelILi16ENS0_11FillFunctorIlEESt5arrayIPcLm1EEEEviT0_T1_
		.amdhsa_group_segment_fixed_size 0
		.amdhsa_private_segment_fixed_size 0
		.amdhsa_kernarg_size 24
		.amdhsa_user_sgpr_count 15
		.amdhsa_user_sgpr_dispatch_ptr 0
		.amdhsa_user_sgpr_queue_ptr 0
		.amdhsa_user_sgpr_kernarg_segment_ptr 1
		.amdhsa_user_sgpr_dispatch_id 0
		.amdhsa_user_sgpr_private_segment_size 0
		.amdhsa_wavefront_size32 1
		.amdhsa_uses_dynamic_stack 0
		.amdhsa_enable_private_segment 0
		.amdhsa_system_sgpr_workgroup_id_x 1
		.amdhsa_system_sgpr_workgroup_id_y 0
		.amdhsa_system_sgpr_workgroup_id_z 0
		.amdhsa_system_sgpr_workgroup_info 0
		.amdhsa_system_vgpr_workitem_id 0
		.amdhsa_next_free_vgpr 6
		.amdhsa_next_free_sgpr 16
		.amdhsa_reserve_vcc 1
		.amdhsa_float_round_mode_32 0
		.amdhsa_float_round_mode_16_64 0
		.amdhsa_float_denorm_mode_32 3
		.amdhsa_float_denorm_mode_16_64 3
		.amdhsa_dx10_clamp 1
		.amdhsa_ieee_mode 1
		.amdhsa_fp16_overflow 0
		.amdhsa_workgroup_processor_mode 1
		.amdhsa_memory_ordered 1
		.amdhsa_forward_progress 0
		.amdhsa_shared_vgpr_count 0
		.amdhsa_exception_fp_ieee_invalid_op 0
		.amdhsa_exception_fp_denorm_src 0
		.amdhsa_exception_fp_ieee_div_zero 0
		.amdhsa_exception_fp_ieee_overflow 0
		.amdhsa_exception_fp_ieee_underflow 0
		.amdhsa_exception_fp_ieee_inexact 0
		.amdhsa_exception_int_div_zero 0
	.end_amdhsa_kernel
	.section	.text._ZN2at6native29vectorized_elementwise_kernelILi16ENS0_11FillFunctorIlEESt5arrayIPcLm1EEEEviT0_T1_,"axG",@progbits,_ZN2at6native29vectorized_elementwise_kernelILi16ENS0_11FillFunctorIlEESt5arrayIPcLm1EEEEviT0_T1_,comdat
.Lfunc_end24:
	.size	_ZN2at6native29vectorized_elementwise_kernelILi16ENS0_11FillFunctorIlEESt5arrayIPcLm1EEEEviT0_T1_, .Lfunc_end24-_ZN2at6native29vectorized_elementwise_kernelILi16ENS0_11FillFunctorIlEESt5arrayIPcLm1EEEEviT0_T1_
                                        ; -- End function
	.section	.AMDGPU.csdata,"",@progbits
; Kernel info:
; codeLenInByte = 528
; NumSgprs: 18
; NumVgprs: 6
; ScratchSize: 0
; MemoryBound: 0
; FloatMode: 240
; IeeeMode: 1
; LDSByteSize: 0 bytes/workgroup (compile time only)
; SGPRBlocks: 2
; VGPRBlocks: 0
; NumSGPRsForWavesPerEU: 18
; NumVGPRsForWavesPerEU: 6
; Occupancy: 16
; WaveLimiterHint : 0
; COMPUTE_PGM_RSRC2:SCRATCH_EN: 0
; COMPUTE_PGM_RSRC2:USER_SGPR: 15
; COMPUTE_PGM_RSRC2:TRAP_HANDLER: 0
; COMPUTE_PGM_RSRC2:TGID_X_EN: 1
; COMPUTE_PGM_RSRC2:TGID_Y_EN: 0
; COMPUTE_PGM_RSRC2:TGID_Z_EN: 0
; COMPUTE_PGM_RSRC2:TIDIG_COMP_CNT: 0
	.section	.text._ZN2at6native29vectorized_elementwise_kernelILi8ENS0_11FillFunctorIlEESt5arrayIPcLm1EEEEviT0_T1_,"axG",@progbits,_ZN2at6native29vectorized_elementwise_kernelILi8ENS0_11FillFunctorIlEESt5arrayIPcLm1EEEEviT0_T1_,comdat
	.protected	_ZN2at6native29vectorized_elementwise_kernelILi8ENS0_11FillFunctorIlEESt5arrayIPcLm1EEEEviT0_T1_ ; -- Begin function _ZN2at6native29vectorized_elementwise_kernelILi8ENS0_11FillFunctorIlEESt5arrayIPcLm1EEEEviT0_T1_
	.globl	_ZN2at6native29vectorized_elementwise_kernelILi8ENS0_11FillFunctorIlEESt5arrayIPcLm1EEEEviT0_T1_
	.p2align	8
	.type	_ZN2at6native29vectorized_elementwise_kernelILi8ENS0_11FillFunctorIlEESt5arrayIPcLm1EEEEviT0_T1_,@function
_ZN2at6native29vectorized_elementwise_kernelILi8ENS0_11FillFunctorIlEESt5arrayIPcLm1EEEEviT0_T1_: ; @_ZN2at6native29vectorized_elementwise_kernelILi8ENS0_11FillFunctorIlEESt5arrayIPcLm1EEEEviT0_T1_
; %bb.0:
	s_clause 0x1
	s_load_b32 s5, s[0:1], 0x0
	s_load_b128 s[0:3], s[0:1], 0x8
	s_lshl_b32 s4, s15, 10
	s_waitcnt lgkmcnt(0)
	s_sub_i32 s6, s5, s4
	s_mov_b32 s5, -1
	s_cmpk_gt_i32 s6, 0x3ff
	s_cbranch_scc0 .LBB25_2
; %bb.1:
	s_mov_b32 s8, s0
	s_ashr_i32 s5, s4, 31
	s_mov_b32 s9, s1
	s_mov_b32 s10, s0
	;; [unrolled: 1-line block ×3, first 2 shown]
	s_delay_alu instid0(SALU_CYCLE_1)
	v_dual_mov_b32 v1, s8 :: v_dual_mov_b32 v4, s11
	s_lshl_b64 s[12:13], s[4:5], 3
	v_dual_mov_b32 v2, s9 :: v_dual_lshlrev_b32 v5, 5, v0
	v_mov_b32_e32 v3, s10
	s_add_u32 s8, s2, s12
	s_addc_u32 s9, s3, s13
	s_mov_b32 s5, 0
	s_clause 0x1
	global_store_b128 v5, v[1:4], s[8:9]
	global_store_b128 v5, v[1:4], s[8:9] offset:16
.LBB25_2:
	s_and_not1_b32 vcc_lo, exec_lo, s5
	s_cbranch_vccnz .LBB25_8
; %bb.3:
	s_mov_b32 s5, exec_lo
	v_cmpx_gt_i32_e64 s6, v0
	s_cbranch_execnz .LBB25_9
; %bb.4:
	s_or_b32 exec_lo, exec_lo, s5
	s_delay_alu instid0(SALU_CYCLE_1)
	s_mov_b32 s5, exec_lo
	v_cmpx_gt_i32_e64 s6, v0
	s_cbranch_execnz .LBB25_10
.LBB25_5:
	s_or_b32 exec_lo, exec_lo, s5
	s_delay_alu instid0(SALU_CYCLE_1)
	s_mov_b32 s5, exec_lo
	v_cmpx_gt_i32_e64 s6, v0
	s_cbranch_execnz .LBB25_11
.LBB25_6:
	s_or_b32 exec_lo, exec_lo, s5
	s_delay_alu instid0(SALU_CYCLE_1)
	s_mov_b32 s5, exec_lo
	v_cmpx_gt_i32_e64 s6, v0
	s_cbranch_execz .LBB25_8
.LBB25_7:
	v_dual_mov_b32 v1, 0 :: v_dual_add_nc_u32 v0, s4, v0
	v_dual_mov_b32 v3, s1 :: v_dual_mov_b32 v2, s0
	s_delay_alu instid0(VALU_DEP_2) | instskip(NEXT) | instid1(VALU_DEP_1)
	v_lshlrev_b64 v[0:1], 3, v[0:1]
	v_add_co_u32 v0, vcc_lo, s2, v0
	s_delay_alu instid0(VALU_DEP_2)
	v_add_co_ci_u32_e32 v1, vcc_lo, s3, v1, vcc_lo
	global_store_b64 v[0:1], v[2:3], off
.LBB25_8:
	s_nop 0
	s_sendmsg sendmsg(MSG_DEALLOC_VGPRS)
	s_endpgm
.LBB25_9:
	v_or_b32_e32 v1, s4, v0
	v_dual_mov_b32 v2, 0 :: v_dual_mov_b32 v3, s0
	v_or_b32_e32 v0, 0x100, v0
	v_mov_b32_e32 v4, s1
	s_delay_alu instid0(VALU_DEP_3) | instskip(NEXT) | instid1(VALU_DEP_1)
	v_lshlrev_b64 v[1:2], 3, v[1:2]
	v_add_co_u32 v1, vcc_lo, s2, v1
	s_delay_alu instid0(VALU_DEP_2) | instskip(SKIP_2) | instid1(SALU_CYCLE_1)
	v_add_co_ci_u32_e32 v2, vcc_lo, s3, v2, vcc_lo
	global_store_b64 v[1:2], v[3:4], off
	s_or_b32 exec_lo, exec_lo, s5
	s_mov_b32 s5, exec_lo
	v_cmpx_gt_i32_e64 s6, v0
	s_cbranch_execz .LBB25_5
.LBB25_10:
	v_dual_mov_b32 v2, 0 :: v_dual_add_nc_u32 v1, s4, v0
	v_dual_mov_b32 v4, s1 :: v_dual_mov_b32 v3, s0
	v_add_nc_u32_e32 v0, 0x100, v0
	s_delay_alu instid0(VALU_DEP_3) | instskip(NEXT) | instid1(VALU_DEP_1)
	v_lshlrev_b64 v[1:2], 3, v[1:2]
	v_add_co_u32 v1, vcc_lo, s2, v1
	s_delay_alu instid0(VALU_DEP_2) | instskip(SKIP_2) | instid1(SALU_CYCLE_1)
	v_add_co_ci_u32_e32 v2, vcc_lo, s3, v2, vcc_lo
	global_store_b64 v[1:2], v[3:4], off
	s_or_b32 exec_lo, exec_lo, s5
	s_mov_b32 s5, exec_lo
	v_cmpx_gt_i32_e64 s6, v0
	s_cbranch_execz .LBB25_6
.LBB25_11:
	v_dual_mov_b32 v2, 0 :: v_dual_add_nc_u32 v1, s4, v0
	v_dual_mov_b32 v4, s1 :: v_dual_mov_b32 v3, s0
	v_add_nc_u32_e32 v0, 0x100, v0
	s_delay_alu instid0(VALU_DEP_3) | instskip(NEXT) | instid1(VALU_DEP_1)
	v_lshlrev_b64 v[1:2], 3, v[1:2]
	v_add_co_u32 v1, vcc_lo, s2, v1
	s_delay_alu instid0(VALU_DEP_2) | instskip(SKIP_2) | instid1(SALU_CYCLE_1)
	v_add_co_ci_u32_e32 v2, vcc_lo, s3, v2, vcc_lo
	global_store_b64 v[1:2], v[3:4], off
	s_or_b32 exec_lo, exec_lo, s5
	s_mov_b32 s5, exec_lo
	v_cmpx_gt_i32_e64 s6, v0
	s_cbranch_execnz .LBB25_7
	s_branch .LBB25_8
	.section	.rodata,"a",@progbits
	.p2align	6, 0x0
	.amdhsa_kernel _ZN2at6native29vectorized_elementwise_kernelILi8ENS0_11FillFunctorIlEESt5arrayIPcLm1EEEEviT0_T1_
		.amdhsa_group_segment_fixed_size 0
		.amdhsa_private_segment_fixed_size 0
		.amdhsa_kernarg_size 24
		.amdhsa_user_sgpr_count 15
		.amdhsa_user_sgpr_dispatch_ptr 0
		.amdhsa_user_sgpr_queue_ptr 0
		.amdhsa_user_sgpr_kernarg_segment_ptr 1
		.amdhsa_user_sgpr_dispatch_id 0
		.amdhsa_user_sgpr_private_segment_size 0
		.amdhsa_wavefront_size32 1
		.amdhsa_uses_dynamic_stack 0
		.amdhsa_enable_private_segment 0
		.amdhsa_system_sgpr_workgroup_id_x 1
		.amdhsa_system_sgpr_workgroup_id_y 0
		.amdhsa_system_sgpr_workgroup_id_z 0
		.amdhsa_system_sgpr_workgroup_info 0
		.amdhsa_system_vgpr_workitem_id 0
		.amdhsa_next_free_vgpr 6
		.amdhsa_next_free_sgpr 16
		.amdhsa_reserve_vcc 1
		.amdhsa_float_round_mode_32 0
		.amdhsa_float_round_mode_16_64 0
		.amdhsa_float_denorm_mode_32 3
		.amdhsa_float_denorm_mode_16_64 3
		.amdhsa_dx10_clamp 1
		.amdhsa_ieee_mode 1
		.amdhsa_fp16_overflow 0
		.amdhsa_workgroup_processor_mode 1
		.amdhsa_memory_ordered 1
		.amdhsa_forward_progress 0
		.amdhsa_shared_vgpr_count 0
		.amdhsa_exception_fp_ieee_invalid_op 0
		.amdhsa_exception_fp_denorm_src 0
		.amdhsa_exception_fp_ieee_div_zero 0
		.amdhsa_exception_fp_ieee_overflow 0
		.amdhsa_exception_fp_ieee_underflow 0
		.amdhsa_exception_fp_ieee_inexact 0
		.amdhsa_exception_int_div_zero 0
	.end_amdhsa_kernel
	.section	.text._ZN2at6native29vectorized_elementwise_kernelILi8ENS0_11FillFunctorIlEESt5arrayIPcLm1EEEEviT0_T1_,"axG",@progbits,_ZN2at6native29vectorized_elementwise_kernelILi8ENS0_11FillFunctorIlEESt5arrayIPcLm1EEEEviT0_T1_,comdat
.Lfunc_end25:
	.size	_ZN2at6native29vectorized_elementwise_kernelILi8ENS0_11FillFunctorIlEESt5arrayIPcLm1EEEEviT0_T1_, .Lfunc_end25-_ZN2at6native29vectorized_elementwise_kernelILi8ENS0_11FillFunctorIlEESt5arrayIPcLm1EEEEviT0_T1_
                                        ; -- End function
	.section	.AMDGPU.csdata,"",@progbits
; Kernel info:
; codeLenInByte = 528
; NumSgprs: 18
; NumVgprs: 6
; ScratchSize: 0
; MemoryBound: 0
; FloatMode: 240
; IeeeMode: 1
; LDSByteSize: 0 bytes/workgroup (compile time only)
; SGPRBlocks: 2
; VGPRBlocks: 0
; NumSGPRsForWavesPerEU: 18
; NumVGPRsForWavesPerEU: 6
; Occupancy: 16
; WaveLimiterHint : 0
; COMPUTE_PGM_RSRC2:SCRATCH_EN: 0
; COMPUTE_PGM_RSRC2:USER_SGPR: 15
; COMPUTE_PGM_RSRC2:TRAP_HANDLER: 0
; COMPUTE_PGM_RSRC2:TGID_X_EN: 1
; COMPUTE_PGM_RSRC2:TGID_Y_EN: 0
; COMPUTE_PGM_RSRC2:TGID_Z_EN: 0
; COMPUTE_PGM_RSRC2:TIDIG_COMP_CNT: 0
	.section	.text._ZN2at6native29vectorized_elementwise_kernelILi4ENS0_11FillFunctorIlEESt5arrayIPcLm1EEEEviT0_T1_,"axG",@progbits,_ZN2at6native29vectorized_elementwise_kernelILi4ENS0_11FillFunctorIlEESt5arrayIPcLm1EEEEviT0_T1_,comdat
	.protected	_ZN2at6native29vectorized_elementwise_kernelILi4ENS0_11FillFunctorIlEESt5arrayIPcLm1EEEEviT0_T1_ ; -- Begin function _ZN2at6native29vectorized_elementwise_kernelILi4ENS0_11FillFunctorIlEESt5arrayIPcLm1EEEEviT0_T1_
	.globl	_ZN2at6native29vectorized_elementwise_kernelILi4ENS0_11FillFunctorIlEESt5arrayIPcLm1EEEEviT0_T1_
	.p2align	8
	.type	_ZN2at6native29vectorized_elementwise_kernelILi4ENS0_11FillFunctorIlEESt5arrayIPcLm1EEEEviT0_T1_,@function
_ZN2at6native29vectorized_elementwise_kernelILi4ENS0_11FillFunctorIlEESt5arrayIPcLm1EEEEviT0_T1_: ; @_ZN2at6native29vectorized_elementwise_kernelILi4ENS0_11FillFunctorIlEESt5arrayIPcLm1EEEEviT0_T1_
; %bb.0:
	s_clause 0x1
	s_load_b32 s5, s[0:1], 0x0
	s_load_b128 s[0:3], s[0:1], 0x8
	s_lshl_b32 s4, s15, 10
	s_waitcnt lgkmcnt(0)
	s_sub_i32 s6, s5, s4
	s_mov_b32 s5, -1
	s_cmpk_gt_i32 s6, 0x3ff
	s_cbranch_scc0 .LBB26_2
; %bb.1:
	s_mov_b32 s8, s0
	s_ashr_i32 s5, s4, 31
	s_mov_b32 s9, s1
	s_mov_b32 s10, s0
	;; [unrolled: 1-line block ×3, first 2 shown]
	s_delay_alu instid0(SALU_CYCLE_1)
	v_dual_mov_b32 v1, s8 :: v_dual_mov_b32 v4, s11
	s_lshl_b64 s[12:13], s[4:5], 3
	v_dual_mov_b32 v2, s9 :: v_dual_lshlrev_b32 v5, 5, v0
	v_mov_b32_e32 v3, s10
	s_add_u32 s8, s2, s12
	s_addc_u32 s9, s3, s13
	s_mov_b32 s5, 0
	s_clause 0x1
	global_store_b128 v5, v[1:4], s[8:9]
	global_store_b128 v5, v[1:4], s[8:9] offset:16
.LBB26_2:
	s_and_not1_b32 vcc_lo, exec_lo, s5
	s_cbranch_vccnz .LBB26_8
; %bb.3:
	s_mov_b32 s5, exec_lo
	v_cmpx_gt_i32_e64 s6, v0
	s_cbranch_execnz .LBB26_9
; %bb.4:
	s_or_b32 exec_lo, exec_lo, s5
	s_delay_alu instid0(SALU_CYCLE_1)
	s_mov_b32 s5, exec_lo
	v_cmpx_gt_i32_e64 s6, v0
	s_cbranch_execnz .LBB26_10
.LBB26_5:
	s_or_b32 exec_lo, exec_lo, s5
	s_delay_alu instid0(SALU_CYCLE_1)
	s_mov_b32 s5, exec_lo
	v_cmpx_gt_i32_e64 s6, v0
	s_cbranch_execnz .LBB26_11
.LBB26_6:
	s_or_b32 exec_lo, exec_lo, s5
	s_delay_alu instid0(SALU_CYCLE_1)
	s_mov_b32 s5, exec_lo
	v_cmpx_gt_i32_e64 s6, v0
	s_cbranch_execz .LBB26_8
.LBB26_7:
	v_dual_mov_b32 v1, 0 :: v_dual_add_nc_u32 v0, s4, v0
	v_dual_mov_b32 v3, s1 :: v_dual_mov_b32 v2, s0
	s_delay_alu instid0(VALU_DEP_2) | instskip(NEXT) | instid1(VALU_DEP_1)
	v_lshlrev_b64 v[0:1], 3, v[0:1]
	v_add_co_u32 v0, vcc_lo, s2, v0
	s_delay_alu instid0(VALU_DEP_2)
	v_add_co_ci_u32_e32 v1, vcc_lo, s3, v1, vcc_lo
	global_store_b64 v[0:1], v[2:3], off
.LBB26_8:
	s_nop 0
	s_sendmsg sendmsg(MSG_DEALLOC_VGPRS)
	s_endpgm
.LBB26_9:
	v_or_b32_e32 v1, s4, v0
	v_dual_mov_b32 v2, 0 :: v_dual_mov_b32 v3, s0
	v_or_b32_e32 v0, 0x100, v0
	v_mov_b32_e32 v4, s1
	s_delay_alu instid0(VALU_DEP_3) | instskip(NEXT) | instid1(VALU_DEP_1)
	v_lshlrev_b64 v[1:2], 3, v[1:2]
	v_add_co_u32 v1, vcc_lo, s2, v1
	s_delay_alu instid0(VALU_DEP_2) | instskip(SKIP_2) | instid1(SALU_CYCLE_1)
	v_add_co_ci_u32_e32 v2, vcc_lo, s3, v2, vcc_lo
	global_store_b64 v[1:2], v[3:4], off
	s_or_b32 exec_lo, exec_lo, s5
	s_mov_b32 s5, exec_lo
	v_cmpx_gt_i32_e64 s6, v0
	s_cbranch_execz .LBB26_5
.LBB26_10:
	v_dual_mov_b32 v2, 0 :: v_dual_add_nc_u32 v1, s4, v0
	v_dual_mov_b32 v4, s1 :: v_dual_mov_b32 v3, s0
	v_add_nc_u32_e32 v0, 0x100, v0
	s_delay_alu instid0(VALU_DEP_3) | instskip(NEXT) | instid1(VALU_DEP_1)
	v_lshlrev_b64 v[1:2], 3, v[1:2]
	v_add_co_u32 v1, vcc_lo, s2, v1
	s_delay_alu instid0(VALU_DEP_2) | instskip(SKIP_2) | instid1(SALU_CYCLE_1)
	v_add_co_ci_u32_e32 v2, vcc_lo, s3, v2, vcc_lo
	global_store_b64 v[1:2], v[3:4], off
	s_or_b32 exec_lo, exec_lo, s5
	s_mov_b32 s5, exec_lo
	v_cmpx_gt_i32_e64 s6, v0
	s_cbranch_execz .LBB26_6
.LBB26_11:
	v_dual_mov_b32 v2, 0 :: v_dual_add_nc_u32 v1, s4, v0
	v_dual_mov_b32 v4, s1 :: v_dual_mov_b32 v3, s0
	v_add_nc_u32_e32 v0, 0x100, v0
	s_delay_alu instid0(VALU_DEP_3) | instskip(NEXT) | instid1(VALU_DEP_1)
	v_lshlrev_b64 v[1:2], 3, v[1:2]
	v_add_co_u32 v1, vcc_lo, s2, v1
	s_delay_alu instid0(VALU_DEP_2) | instskip(SKIP_2) | instid1(SALU_CYCLE_1)
	v_add_co_ci_u32_e32 v2, vcc_lo, s3, v2, vcc_lo
	global_store_b64 v[1:2], v[3:4], off
	s_or_b32 exec_lo, exec_lo, s5
	s_mov_b32 s5, exec_lo
	v_cmpx_gt_i32_e64 s6, v0
	s_cbranch_execnz .LBB26_7
	s_branch .LBB26_8
	.section	.rodata,"a",@progbits
	.p2align	6, 0x0
	.amdhsa_kernel _ZN2at6native29vectorized_elementwise_kernelILi4ENS0_11FillFunctorIlEESt5arrayIPcLm1EEEEviT0_T1_
		.amdhsa_group_segment_fixed_size 0
		.amdhsa_private_segment_fixed_size 0
		.amdhsa_kernarg_size 24
		.amdhsa_user_sgpr_count 15
		.amdhsa_user_sgpr_dispatch_ptr 0
		.amdhsa_user_sgpr_queue_ptr 0
		.amdhsa_user_sgpr_kernarg_segment_ptr 1
		.amdhsa_user_sgpr_dispatch_id 0
		.amdhsa_user_sgpr_private_segment_size 0
		.amdhsa_wavefront_size32 1
		.amdhsa_uses_dynamic_stack 0
		.amdhsa_enable_private_segment 0
		.amdhsa_system_sgpr_workgroup_id_x 1
		.amdhsa_system_sgpr_workgroup_id_y 0
		.amdhsa_system_sgpr_workgroup_id_z 0
		.amdhsa_system_sgpr_workgroup_info 0
		.amdhsa_system_vgpr_workitem_id 0
		.amdhsa_next_free_vgpr 6
		.amdhsa_next_free_sgpr 16
		.amdhsa_reserve_vcc 1
		.amdhsa_float_round_mode_32 0
		.amdhsa_float_round_mode_16_64 0
		.amdhsa_float_denorm_mode_32 3
		.amdhsa_float_denorm_mode_16_64 3
		.amdhsa_dx10_clamp 1
		.amdhsa_ieee_mode 1
		.amdhsa_fp16_overflow 0
		.amdhsa_workgroup_processor_mode 1
		.amdhsa_memory_ordered 1
		.amdhsa_forward_progress 0
		.amdhsa_shared_vgpr_count 0
		.amdhsa_exception_fp_ieee_invalid_op 0
		.amdhsa_exception_fp_denorm_src 0
		.amdhsa_exception_fp_ieee_div_zero 0
		.amdhsa_exception_fp_ieee_overflow 0
		.amdhsa_exception_fp_ieee_underflow 0
		.amdhsa_exception_fp_ieee_inexact 0
		.amdhsa_exception_int_div_zero 0
	.end_amdhsa_kernel
	.section	.text._ZN2at6native29vectorized_elementwise_kernelILi4ENS0_11FillFunctorIlEESt5arrayIPcLm1EEEEviT0_T1_,"axG",@progbits,_ZN2at6native29vectorized_elementwise_kernelILi4ENS0_11FillFunctorIlEESt5arrayIPcLm1EEEEviT0_T1_,comdat
.Lfunc_end26:
	.size	_ZN2at6native29vectorized_elementwise_kernelILi4ENS0_11FillFunctorIlEESt5arrayIPcLm1EEEEviT0_T1_, .Lfunc_end26-_ZN2at6native29vectorized_elementwise_kernelILi4ENS0_11FillFunctorIlEESt5arrayIPcLm1EEEEviT0_T1_
                                        ; -- End function
	.section	.AMDGPU.csdata,"",@progbits
; Kernel info:
; codeLenInByte = 528
; NumSgprs: 18
; NumVgprs: 6
; ScratchSize: 0
; MemoryBound: 0
; FloatMode: 240
; IeeeMode: 1
; LDSByteSize: 0 bytes/workgroup (compile time only)
; SGPRBlocks: 2
; VGPRBlocks: 0
; NumSGPRsForWavesPerEU: 18
; NumVGPRsForWavesPerEU: 6
; Occupancy: 16
; WaveLimiterHint : 0
; COMPUTE_PGM_RSRC2:SCRATCH_EN: 0
; COMPUTE_PGM_RSRC2:USER_SGPR: 15
; COMPUTE_PGM_RSRC2:TRAP_HANDLER: 0
; COMPUTE_PGM_RSRC2:TGID_X_EN: 1
; COMPUTE_PGM_RSRC2:TGID_Y_EN: 0
; COMPUTE_PGM_RSRC2:TGID_Z_EN: 0
; COMPUTE_PGM_RSRC2:TIDIG_COMP_CNT: 0
	.section	.text._ZN2at6native29vectorized_elementwise_kernelILi2ENS0_11FillFunctorIlEESt5arrayIPcLm1EEEEviT0_T1_,"axG",@progbits,_ZN2at6native29vectorized_elementwise_kernelILi2ENS0_11FillFunctorIlEESt5arrayIPcLm1EEEEviT0_T1_,comdat
	.protected	_ZN2at6native29vectorized_elementwise_kernelILi2ENS0_11FillFunctorIlEESt5arrayIPcLm1EEEEviT0_T1_ ; -- Begin function _ZN2at6native29vectorized_elementwise_kernelILi2ENS0_11FillFunctorIlEESt5arrayIPcLm1EEEEviT0_T1_
	.globl	_ZN2at6native29vectorized_elementwise_kernelILi2ENS0_11FillFunctorIlEESt5arrayIPcLm1EEEEviT0_T1_
	.p2align	8
	.type	_ZN2at6native29vectorized_elementwise_kernelILi2ENS0_11FillFunctorIlEESt5arrayIPcLm1EEEEviT0_T1_,@function
_ZN2at6native29vectorized_elementwise_kernelILi2ENS0_11FillFunctorIlEESt5arrayIPcLm1EEEEviT0_T1_: ; @_ZN2at6native29vectorized_elementwise_kernelILi2ENS0_11FillFunctorIlEESt5arrayIPcLm1EEEEviT0_T1_
; %bb.0:
	s_clause 0x1
	s_load_b32 s5, s[0:1], 0x0
	s_load_b128 s[0:3], s[0:1], 0x8
	s_lshl_b32 s4, s15, 10
	s_waitcnt lgkmcnt(0)
	s_sub_i32 s6, s5, s4
	s_mov_b32 s5, -1
	s_cmpk_gt_i32 s6, 0x3ff
	s_cbranch_scc0 .LBB27_2
; %bb.1:
	s_ashr_i32 s5, s4, 31
	s_mov_b32 s8, s0
	s_lshl_b64 s[10:11], s[4:5], 3
	s_mov_b32 s9, s1
	s_add_u32 s12, s2, s10
	s_addc_u32 s13, s3, s11
	s_mov_b32 s10, s0
	s_mov_b32 s11, s1
	v_lshlrev_b32_e32 v7, 4, v0
	v_dual_mov_b32 v1, s8 :: v_dual_mov_b32 v4, s11
	v_dual_mov_b32 v2, s9 :: v_dual_mov_b32 v3, s10
	s_delay_alu instid0(VALU_DEP_3) | instskip(NEXT) | instid1(VALU_DEP_1)
	v_add_co_u32 v5, s5, s12, v7
	v_add_co_ci_u32_e64 v6, null, s13, 0, s5
	s_mov_b32 s5, 0
	s_delay_alu instid0(VALU_DEP_2) | instskip(NEXT) | instid1(VALU_DEP_2)
	v_add_co_u32 v5, vcc_lo, 0x1000, v5
	v_add_co_ci_u32_e32 v6, vcc_lo, 0, v6, vcc_lo
	s_clause 0x1
	global_store_b128 v7, v[1:4], s[12:13]
	global_store_b128 v[5:6], v[1:4], off
.LBB27_2:
	s_and_not1_b32 vcc_lo, exec_lo, s5
	s_cbranch_vccnz .LBB27_8
; %bb.3:
	s_mov_b32 s5, exec_lo
	v_cmpx_gt_i32_e64 s6, v0
	s_cbranch_execnz .LBB27_9
; %bb.4:
	s_or_b32 exec_lo, exec_lo, s5
	s_delay_alu instid0(SALU_CYCLE_1)
	s_mov_b32 s5, exec_lo
	v_cmpx_gt_i32_e64 s6, v0
	s_cbranch_execnz .LBB27_10
.LBB27_5:
	s_or_b32 exec_lo, exec_lo, s5
	s_delay_alu instid0(SALU_CYCLE_1)
	s_mov_b32 s5, exec_lo
	v_cmpx_gt_i32_e64 s6, v0
	s_cbranch_execnz .LBB27_11
.LBB27_6:
	s_or_b32 exec_lo, exec_lo, s5
	s_delay_alu instid0(SALU_CYCLE_1)
	s_mov_b32 s5, exec_lo
	v_cmpx_gt_i32_e64 s6, v0
	s_cbranch_execz .LBB27_8
.LBB27_7:
	v_dual_mov_b32 v1, 0 :: v_dual_add_nc_u32 v0, s4, v0
	v_dual_mov_b32 v3, s1 :: v_dual_mov_b32 v2, s0
	s_delay_alu instid0(VALU_DEP_2) | instskip(NEXT) | instid1(VALU_DEP_1)
	v_lshlrev_b64 v[0:1], 3, v[0:1]
	v_add_co_u32 v0, vcc_lo, s2, v0
	s_delay_alu instid0(VALU_DEP_2)
	v_add_co_ci_u32_e32 v1, vcc_lo, s3, v1, vcc_lo
	global_store_b64 v[0:1], v[2:3], off
.LBB27_8:
	s_nop 0
	s_sendmsg sendmsg(MSG_DEALLOC_VGPRS)
	s_endpgm
.LBB27_9:
	v_or_b32_e32 v1, s4, v0
	v_dual_mov_b32 v2, 0 :: v_dual_mov_b32 v3, s0
	v_or_b32_e32 v0, 0x100, v0
	v_mov_b32_e32 v4, s1
	s_delay_alu instid0(VALU_DEP_3) | instskip(NEXT) | instid1(VALU_DEP_1)
	v_lshlrev_b64 v[1:2], 3, v[1:2]
	v_add_co_u32 v1, vcc_lo, s2, v1
	s_delay_alu instid0(VALU_DEP_2) | instskip(SKIP_2) | instid1(SALU_CYCLE_1)
	v_add_co_ci_u32_e32 v2, vcc_lo, s3, v2, vcc_lo
	global_store_b64 v[1:2], v[3:4], off
	s_or_b32 exec_lo, exec_lo, s5
	s_mov_b32 s5, exec_lo
	v_cmpx_gt_i32_e64 s6, v0
	s_cbranch_execz .LBB27_5
.LBB27_10:
	v_dual_mov_b32 v2, 0 :: v_dual_add_nc_u32 v1, s4, v0
	v_dual_mov_b32 v4, s1 :: v_dual_mov_b32 v3, s0
	v_add_nc_u32_e32 v0, 0x100, v0
	s_delay_alu instid0(VALU_DEP_3) | instskip(NEXT) | instid1(VALU_DEP_1)
	v_lshlrev_b64 v[1:2], 3, v[1:2]
	v_add_co_u32 v1, vcc_lo, s2, v1
	s_delay_alu instid0(VALU_DEP_2) | instskip(SKIP_2) | instid1(SALU_CYCLE_1)
	v_add_co_ci_u32_e32 v2, vcc_lo, s3, v2, vcc_lo
	global_store_b64 v[1:2], v[3:4], off
	s_or_b32 exec_lo, exec_lo, s5
	s_mov_b32 s5, exec_lo
	v_cmpx_gt_i32_e64 s6, v0
	s_cbranch_execz .LBB27_6
.LBB27_11:
	v_dual_mov_b32 v2, 0 :: v_dual_add_nc_u32 v1, s4, v0
	v_dual_mov_b32 v4, s1 :: v_dual_mov_b32 v3, s0
	v_add_nc_u32_e32 v0, 0x100, v0
	s_delay_alu instid0(VALU_DEP_3) | instskip(NEXT) | instid1(VALU_DEP_1)
	v_lshlrev_b64 v[1:2], 3, v[1:2]
	v_add_co_u32 v1, vcc_lo, s2, v1
	s_delay_alu instid0(VALU_DEP_2) | instskip(SKIP_2) | instid1(SALU_CYCLE_1)
	v_add_co_ci_u32_e32 v2, vcc_lo, s3, v2, vcc_lo
	global_store_b64 v[1:2], v[3:4], off
	s_or_b32 exec_lo, exec_lo, s5
	s_mov_b32 s5, exec_lo
	v_cmpx_gt_i32_e64 s6, v0
	s_cbranch_execnz .LBB27_7
	s_branch .LBB27_8
	.section	.rodata,"a",@progbits
	.p2align	6, 0x0
	.amdhsa_kernel _ZN2at6native29vectorized_elementwise_kernelILi2ENS0_11FillFunctorIlEESt5arrayIPcLm1EEEEviT0_T1_
		.amdhsa_group_segment_fixed_size 0
		.amdhsa_private_segment_fixed_size 0
		.amdhsa_kernarg_size 24
		.amdhsa_user_sgpr_count 15
		.amdhsa_user_sgpr_dispatch_ptr 0
		.amdhsa_user_sgpr_queue_ptr 0
		.amdhsa_user_sgpr_kernarg_segment_ptr 1
		.amdhsa_user_sgpr_dispatch_id 0
		.amdhsa_user_sgpr_private_segment_size 0
		.amdhsa_wavefront_size32 1
		.amdhsa_uses_dynamic_stack 0
		.amdhsa_enable_private_segment 0
		.amdhsa_system_sgpr_workgroup_id_x 1
		.amdhsa_system_sgpr_workgroup_id_y 0
		.amdhsa_system_sgpr_workgroup_id_z 0
		.amdhsa_system_sgpr_workgroup_info 0
		.amdhsa_system_vgpr_workitem_id 0
		.amdhsa_next_free_vgpr 8
		.amdhsa_next_free_sgpr 16
		.amdhsa_reserve_vcc 1
		.amdhsa_float_round_mode_32 0
		.amdhsa_float_round_mode_16_64 0
		.amdhsa_float_denorm_mode_32 3
		.amdhsa_float_denorm_mode_16_64 3
		.amdhsa_dx10_clamp 1
		.amdhsa_ieee_mode 1
		.amdhsa_fp16_overflow 0
		.amdhsa_workgroup_processor_mode 1
		.amdhsa_memory_ordered 1
		.amdhsa_forward_progress 0
		.amdhsa_shared_vgpr_count 0
		.amdhsa_exception_fp_ieee_invalid_op 0
		.amdhsa_exception_fp_denorm_src 0
		.amdhsa_exception_fp_ieee_div_zero 0
		.amdhsa_exception_fp_ieee_overflow 0
		.amdhsa_exception_fp_ieee_underflow 0
		.amdhsa_exception_fp_ieee_inexact 0
		.amdhsa_exception_int_div_zero 0
	.end_amdhsa_kernel
	.section	.text._ZN2at6native29vectorized_elementwise_kernelILi2ENS0_11FillFunctorIlEESt5arrayIPcLm1EEEEviT0_T1_,"axG",@progbits,_ZN2at6native29vectorized_elementwise_kernelILi2ENS0_11FillFunctorIlEESt5arrayIPcLm1EEEEviT0_T1_,comdat
.Lfunc_end27:
	.size	_ZN2at6native29vectorized_elementwise_kernelILi2ENS0_11FillFunctorIlEESt5arrayIPcLm1EEEEviT0_T1_, .Lfunc_end27-_ZN2at6native29vectorized_elementwise_kernelILi2ENS0_11FillFunctorIlEESt5arrayIPcLm1EEEEviT0_T1_
                                        ; -- End function
	.section	.AMDGPU.csdata,"",@progbits
; Kernel info:
; codeLenInByte = 564
; NumSgprs: 18
; NumVgprs: 8
; ScratchSize: 0
; MemoryBound: 0
; FloatMode: 240
; IeeeMode: 1
; LDSByteSize: 0 bytes/workgroup (compile time only)
; SGPRBlocks: 2
; VGPRBlocks: 0
; NumSGPRsForWavesPerEU: 18
; NumVGPRsForWavesPerEU: 8
; Occupancy: 16
; WaveLimiterHint : 1
; COMPUTE_PGM_RSRC2:SCRATCH_EN: 0
; COMPUTE_PGM_RSRC2:USER_SGPR: 15
; COMPUTE_PGM_RSRC2:TRAP_HANDLER: 0
; COMPUTE_PGM_RSRC2:TGID_X_EN: 1
; COMPUTE_PGM_RSRC2:TGID_Y_EN: 0
; COMPUTE_PGM_RSRC2:TGID_Z_EN: 0
; COMPUTE_PGM_RSRC2:TIDIG_COMP_CNT: 0
	.section	.text._ZN2at6native27unrolled_elementwise_kernelINS0_11FillFunctorIlEESt5arrayIPcLm1EELi4E23TrivialOffsetCalculatorILi0EjES7_ILi1EjENS0_6memory15LoadWithoutCastENSA_16StoreWithoutCastEEEviT_T0_T2_T3_T4_T5_,"axG",@progbits,_ZN2at6native27unrolled_elementwise_kernelINS0_11FillFunctorIlEESt5arrayIPcLm1EELi4E23TrivialOffsetCalculatorILi0EjES7_ILi1EjENS0_6memory15LoadWithoutCastENSA_16StoreWithoutCastEEEviT_T0_T2_T3_T4_T5_,comdat
	.protected	_ZN2at6native27unrolled_elementwise_kernelINS0_11FillFunctorIlEESt5arrayIPcLm1EELi4E23TrivialOffsetCalculatorILi0EjES7_ILi1EjENS0_6memory15LoadWithoutCastENSA_16StoreWithoutCastEEEviT_T0_T2_T3_T4_T5_ ; -- Begin function _ZN2at6native27unrolled_elementwise_kernelINS0_11FillFunctorIlEESt5arrayIPcLm1EELi4E23TrivialOffsetCalculatorILi0EjES7_ILi1EjENS0_6memory15LoadWithoutCastENSA_16StoreWithoutCastEEEviT_T0_T2_T3_T4_T5_
	.globl	_ZN2at6native27unrolled_elementwise_kernelINS0_11FillFunctorIlEESt5arrayIPcLm1EELi4E23TrivialOffsetCalculatorILi0EjES7_ILi1EjENS0_6memory15LoadWithoutCastENSA_16StoreWithoutCastEEEviT_T0_T2_T3_T4_T5_
	.p2align	8
	.type	_ZN2at6native27unrolled_elementwise_kernelINS0_11FillFunctorIlEESt5arrayIPcLm1EELi4E23TrivialOffsetCalculatorILi0EjES7_ILi1EjENS0_6memory15LoadWithoutCastENSA_16StoreWithoutCastEEEviT_T0_T2_T3_T4_T5_,@function
_ZN2at6native27unrolled_elementwise_kernelINS0_11FillFunctorIlEESt5arrayIPcLm1EELi4E23TrivialOffsetCalculatorILi0EjES7_ILi1EjENS0_6memory15LoadWithoutCastENSA_16StoreWithoutCastEEEviT_T0_T2_T3_T4_T5_: ; @_ZN2at6native27unrolled_elementwise_kernelINS0_11FillFunctorIlEESt5arrayIPcLm1EELi4E23TrivialOffsetCalculatorILi0EjES7_ILi1EjENS0_6memory15LoadWithoutCastENSA_16StoreWithoutCastEEEviT_T0_T2_T3_T4_T5_
; %bb.0:
	s_clause 0x1
	s_load_b32 s2, s[0:1], 0x0
	s_load_b128 s[4:7], s[0:1], 0x8
	v_or_b32_e32 v3, 0x100, v0
	s_lshl_b32 s1, s15, 10
	s_mov_b32 s3, exec_lo
	s_waitcnt lgkmcnt(0)
	s_sub_i32 s2, s2, s1
	v_dual_mov_b32 v1, s5 :: v_dual_mov_b32 v4, s4
	v_cmp_gt_i32_e32 vcc_lo, s2, v3
	s_delay_alu instid0(VALU_DEP_2) | instskip(NEXT) | instid1(VALU_DEP_3)
	v_cndmask_b32_e32 v2, s7, v1, vcc_lo
	v_cndmask_b32_e32 v1, s6, v4, vcc_lo
	v_cmpx_gt_i32_e64 s2, v0
	s_cbranch_execnz .LBB28_5
; %bb.1:
	s_or_b32 exec_lo, exec_lo, s3
	s_delay_alu instid0(SALU_CYCLE_1)
	s_mov_b32 s0, exec_lo
	v_cmpx_gt_i32_e64 s2, v0
	s_cbranch_execnz .LBB28_6
.LBB28_2:
	s_or_b32 exec_lo, exec_lo, s0
	s_delay_alu instid0(SALU_CYCLE_1)
	s_mov_b32 s0, exec_lo
	v_cmpx_gt_i32_e64 s2, v0
	s_cbranch_execnz .LBB28_7
.LBB28_3:
	s_or_b32 exec_lo, exec_lo, s0
	s_delay_alu instid0(SALU_CYCLE_1)
	s_mov_b32 s0, exec_lo
	v_cmpx_gt_i32_e64 s2, v0
	s_cbranch_execnz .LBB28_8
.LBB28_4:
	s_nop 0
	s_sendmsg sendmsg(MSG_DEALLOC_VGPRS)
	s_endpgm
.LBB28_5:
	v_or_b32_e32 v4, s1, v0
	v_dual_mov_b32 v5, 0 :: v_dual_mov_b32 v6, s5
	v_mov_b32_e32 v0, v3
	s_delay_alu instid0(VALU_DEP_2) | instskip(NEXT) | instid1(VALU_DEP_1)
	v_lshlrev_b64 v[4:5], 3, v[4:5]
	v_add_co_u32 v7, vcc_lo, s6, v4
	s_delay_alu instid0(VALU_DEP_2) | instskip(SKIP_3) | instid1(SALU_CYCLE_1)
	v_add_co_ci_u32_e32 v8, vcc_lo, s7, v5, vcc_lo
	v_mov_b32_e32 v5, s4
	global_store_b64 v[7:8], v[5:6], off
	s_or_b32 exec_lo, exec_lo, s3
	s_mov_b32 s0, exec_lo
	v_cmpx_gt_i32_e64 s2, v0
	s_cbranch_execz .LBB28_2
.LBB28_6:
	v_dual_mov_b32 v4, 0 :: v_dual_add_nc_u32 v3, s1, v0
	v_add_nc_u32_e32 v0, 0x100, v0
	s_delay_alu instid0(VALU_DEP_2) | instskip(NEXT) | instid1(VALU_DEP_1)
	v_lshlrev_b64 v[3:4], 3, v[3:4]
	v_add_co_u32 v3, vcc_lo, s6, v3
	s_delay_alu instid0(VALU_DEP_2) | instskip(SKIP_2) | instid1(SALU_CYCLE_1)
	v_add_co_ci_u32_e32 v4, vcc_lo, s7, v4, vcc_lo
	global_store_b64 v[3:4], v[1:2], off
	s_or_b32 exec_lo, exec_lo, s0
	s_mov_b32 s0, exec_lo
	v_cmpx_gt_i32_e64 s2, v0
	s_cbranch_execz .LBB28_3
.LBB28_7:
	v_dual_mov_b32 v2, 0 :: v_dual_add_nc_u32 v1, s1, v0
	v_dual_mov_b32 v3, s5 :: v_dual_add_nc_u32 v0, 0x100, v0
	s_delay_alu instid0(VALU_DEP_2) | instskip(NEXT) | instid1(VALU_DEP_1)
	v_lshlrev_b64 v[1:2], 3, v[1:2]
	v_add_co_u32 v4, vcc_lo, s6, v1
	s_delay_alu instid0(VALU_DEP_2) | instskip(SKIP_3) | instid1(SALU_CYCLE_1)
	v_add_co_ci_u32_e32 v5, vcc_lo, s7, v2, vcc_lo
	v_mov_b32_e32 v2, s4
	global_store_b64 v[4:5], v[2:3], off
	s_or_b32 exec_lo, exec_lo, s0
	s_mov_b32 s0, exec_lo
	v_cmpx_gt_i32_e64 s2, v0
	s_cbranch_execz .LBB28_4
.LBB28_8:
	v_dual_mov_b32 v1, 0 :: v_dual_add_nc_u32 v0, s1, v0
	v_mov_b32_e32 v2, s5
	s_delay_alu instid0(VALU_DEP_2) | instskip(NEXT) | instid1(VALU_DEP_1)
	v_lshlrev_b64 v[0:1], 3, v[0:1]
	v_add_co_u32 v3, vcc_lo, s6, v0
	s_delay_alu instid0(VALU_DEP_2)
	v_add_co_ci_u32_e32 v4, vcc_lo, s7, v1, vcc_lo
	v_mov_b32_e32 v1, s4
	global_store_b64 v[3:4], v[1:2], off
	s_nop 0
	s_sendmsg sendmsg(MSG_DEALLOC_VGPRS)
	s_endpgm
	.section	.rodata,"a",@progbits
	.p2align	6, 0x0
	.amdhsa_kernel _ZN2at6native27unrolled_elementwise_kernelINS0_11FillFunctorIlEESt5arrayIPcLm1EELi4E23TrivialOffsetCalculatorILi0EjES7_ILi1EjENS0_6memory15LoadWithoutCastENSA_16StoreWithoutCastEEEviT_T0_T2_T3_T4_T5_
		.amdhsa_group_segment_fixed_size 0
		.amdhsa_private_segment_fixed_size 0
		.amdhsa_kernarg_size 28
		.amdhsa_user_sgpr_count 15
		.amdhsa_user_sgpr_dispatch_ptr 0
		.amdhsa_user_sgpr_queue_ptr 0
		.amdhsa_user_sgpr_kernarg_segment_ptr 1
		.amdhsa_user_sgpr_dispatch_id 0
		.amdhsa_user_sgpr_private_segment_size 0
		.amdhsa_wavefront_size32 1
		.amdhsa_uses_dynamic_stack 0
		.amdhsa_enable_private_segment 0
		.amdhsa_system_sgpr_workgroup_id_x 1
		.amdhsa_system_sgpr_workgroup_id_y 0
		.amdhsa_system_sgpr_workgroup_id_z 0
		.amdhsa_system_sgpr_workgroup_info 0
		.amdhsa_system_vgpr_workitem_id 0
		.amdhsa_next_free_vgpr 9
		.amdhsa_next_free_sgpr 16
		.amdhsa_reserve_vcc 1
		.amdhsa_float_round_mode_32 0
		.amdhsa_float_round_mode_16_64 0
		.amdhsa_float_denorm_mode_32 3
		.amdhsa_float_denorm_mode_16_64 3
		.amdhsa_dx10_clamp 1
		.amdhsa_ieee_mode 1
		.amdhsa_fp16_overflow 0
		.amdhsa_workgroup_processor_mode 1
		.amdhsa_memory_ordered 1
		.amdhsa_forward_progress 0
		.amdhsa_shared_vgpr_count 0
		.amdhsa_exception_fp_ieee_invalid_op 0
		.amdhsa_exception_fp_denorm_src 0
		.amdhsa_exception_fp_ieee_div_zero 0
		.amdhsa_exception_fp_ieee_overflow 0
		.amdhsa_exception_fp_ieee_underflow 0
		.amdhsa_exception_fp_ieee_inexact 0
		.amdhsa_exception_int_div_zero 0
	.end_amdhsa_kernel
	.section	.text._ZN2at6native27unrolled_elementwise_kernelINS0_11FillFunctorIlEESt5arrayIPcLm1EELi4E23TrivialOffsetCalculatorILi0EjES7_ILi1EjENS0_6memory15LoadWithoutCastENSA_16StoreWithoutCastEEEviT_T0_T2_T3_T4_T5_,"axG",@progbits,_ZN2at6native27unrolled_elementwise_kernelINS0_11FillFunctorIlEESt5arrayIPcLm1EELi4E23TrivialOffsetCalculatorILi0EjES7_ILi1EjENS0_6memory15LoadWithoutCastENSA_16StoreWithoutCastEEEviT_T0_T2_T3_T4_T5_,comdat
.Lfunc_end28:
	.size	_ZN2at6native27unrolled_elementwise_kernelINS0_11FillFunctorIlEESt5arrayIPcLm1EELi4E23TrivialOffsetCalculatorILi0EjES7_ILi1EjENS0_6memory15LoadWithoutCastENSA_16StoreWithoutCastEEEviT_T0_T2_T3_T4_T5_, .Lfunc_end28-_ZN2at6native27unrolled_elementwise_kernelINS0_11FillFunctorIlEESt5arrayIPcLm1EELi4E23TrivialOffsetCalculatorILi0EjES7_ILi1EjENS0_6memory15LoadWithoutCastENSA_16StoreWithoutCastEEEviT_T0_T2_T3_T4_T5_
                                        ; -- End function
	.section	.AMDGPU.csdata,"",@progbits
; Kernel info:
; codeLenInByte = 456
; NumSgprs: 18
; NumVgprs: 9
; ScratchSize: 0
; MemoryBound: 0
; FloatMode: 240
; IeeeMode: 1
; LDSByteSize: 0 bytes/workgroup (compile time only)
; SGPRBlocks: 2
; VGPRBlocks: 1
; NumSGPRsForWavesPerEU: 18
; NumVGPRsForWavesPerEU: 9
; Occupancy: 16
; WaveLimiterHint : 0
; COMPUTE_PGM_RSRC2:SCRATCH_EN: 0
; COMPUTE_PGM_RSRC2:USER_SGPR: 15
; COMPUTE_PGM_RSRC2:TRAP_HANDLER: 0
; COMPUTE_PGM_RSRC2:TGID_X_EN: 1
; COMPUTE_PGM_RSRC2:TGID_Y_EN: 0
; COMPUTE_PGM_RSRC2:TGID_Z_EN: 0
; COMPUTE_PGM_RSRC2:TIDIG_COMP_CNT: 0
	.section	.text._ZN2at6native32elementwise_kernel_manual_unrollILi128ELi4EZNS0_22gpu_kernel_impl_nocastINS0_11FillFunctorIlEEEEvRNS_18TensorIteratorBaseERKT_EUlibE_EEviT1_,"axG",@progbits,_ZN2at6native32elementwise_kernel_manual_unrollILi128ELi4EZNS0_22gpu_kernel_impl_nocastINS0_11FillFunctorIlEEEEvRNS_18TensorIteratorBaseERKT_EUlibE_EEviT1_,comdat
	.protected	_ZN2at6native32elementwise_kernel_manual_unrollILi128ELi4EZNS0_22gpu_kernel_impl_nocastINS0_11FillFunctorIlEEEEvRNS_18TensorIteratorBaseERKT_EUlibE_EEviT1_ ; -- Begin function _ZN2at6native32elementwise_kernel_manual_unrollILi128ELi4EZNS0_22gpu_kernel_impl_nocastINS0_11FillFunctorIlEEEEvRNS_18TensorIteratorBaseERKT_EUlibE_EEviT1_
	.globl	_ZN2at6native32elementwise_kernel_manual_unrollILi128ELi4EZNS0_22gpu_kernel_impl_nocastINS0_11FillFunctorIlEEEEvRNS_18TensorIteratorBaseERKT_EUlibE_EEviT1_
	.p2align	8
	.type	_ZN2at6native32elementwise_kernel_manual_unrollILi128ELi4EZNS0_22gpu_kernel_impl_nocastINS0_11FillFunctorIlEEEEvRNS_18TensorIteratorBaseERKT_EUlibE_EEviT1_,@function
_ZN2at6native32elementwise_kernel_manual_unrollILi128ELi4EZNS0_22gpu_kernel_impl_nocastINS0_11FillFunctorIlEEEEvRNS_18TensorIteratorBaseERKT_EUlibE_EEviT1_: ; @_ZN2at6native32elementwise_kernel_manual_unrollILi128ELi4EZNS0_22gpu_kernel_impl_nocastINS0_11FillFunctorIlEEEEvRNS_18TensorIteratorBaseERKT_EUlibE_EEviT1_
; %bb.0:
	s_clause 0x1
	s_load_b32 s20, s[0:1], 0x8
	s_load_b32 s25, s[0:1], 0x0
	v_lshl_or_b32 v2, s15, 9, v0
	s_or_b32 s0, s0, 8
	s_mov_b32 s2, exec_lo
	s_delay_alu instid0(VALU_DEP_1) | instskip(SKIP_2) | instid1(SALU_CYCLE_1)
	v_or_b32_e32 v4, 0x180, v2
	s_waitcnt lgkmcnt(0)
	s_add_i32 s21, s20, -1
	s_cmp_gt_u32 s21, 1
	s_cselect_b32 s22, -1, 0
	v_cmpx_le_i32_e64 s25, v4
	s_xor_b32 s23, exec_lo, s2
	s_cbranch_execz .LBB29_7
; %bb.1:
	s_clause 0x3
	s_load_b128 s[8:11], s[0:1], 0x4
	s_load_b64 s[12:13], s[0:1], 0x14
	s_load_b64 s[2:3], s[0:1], 0xc4
	s_load_b128 s[4:7], s[0:1], 0x108
	s_cmp_lg_u32 s20, 0
	s_mov_b32 s28, exec_lo
	s_cselect_b32 s27, -1, 0
	s_add_u32 s14, s0, 0xc4
	s_addc_u32 s15, s1, 0
	s_min_u32 s26, s21, 15
	s_cmp_gt_u32 s20, 1
	s_cselect_b32 s24, -1, 0
	v_cmpx_gt_i32_e64 s25, v2
	s_cbranch_execz .LBB29_14
; %bb.2:
	s_and_not1_b32 vcc_lo, exec_lo, s22
	s_cbranch_vccnz .LBB29_21
; %bb.3:
	v_mov_b32_e32 v0, 0
	s_and_not1_b32 vcc_lo, exec_lo, s27
	s_cbranch_vccnz .LBB29_73
; %bb.4:
	s_add_i32 s30, s26, 1
	s_cmp_eq_u32 s21, 2
	s_mov_b32 s29, 0
	s_cbranch_scc1 .LBB29_69
; %bb.5:
	v_dual_mov_b32 v0, 0 :: v_dual_mov_b32 v1, v2
	s_and_b32 s29, s30, 28
	s_mov_b32 s31, 0
	s_mov_b64 s[16:17], s[0:1]
	s_mov_b64 s[18:19], s[14:15]
.LBB29_6:                               ; =>This Inner Loop Header: Depth=1
	s_clause 0x1
	s_load_b256 s[36:43], s[16:17], 0x4
	s_load_b128 s[44:47], s[16:17], 0x24
	s_load_b128 s[48:51], s[18:19], 0x0
	s_add_u32 s16, s16, 48
	s_addc_u32 s17, s17, 0
	s_add_i32 s31, s31, 4
	s_add_u32 s18, s18, 16
	s_addc_u32 s19, s19, 0
	s_cmp_lg_u32 s29, s31
	s_waitcnt lgkmcnt(0)
	v_mul_hi_u32 v3, s37, v1
	s_delay_alu instid0(VALU_DEP_1) | instskip(NEXT) | instid1(VALU_DEP_1)
	v_add_nc_u32_e32 v3, v1, v3
	v_lshrrev_b32_e32 v3, s38, v3
	s_delay_alu instid0(VALU_DEP_1) | instskip(SKIP_1) | instid1(VALU_DEP_2)
	v_mul_hi_u32 v4, s40, v3
	v_mul_lo_u32 v7, v3, s36
	v_add_nc_u32_e32 v4, v3, v4
	s_delay_alu instid0(VALU_DEP_2) | instskip(NEXT) | instid1(VALU_DEP_2)
	v_sub_nc_u32_e32 v7, v1, v7
	v_lshrrev_b32_e32 v4, s41, v4
	s_delay_alu instid0(VALU_DEP_2) | instskip(NEXT) | instid1(VALU_DEP_2)
	v_mul_lo_u32 v7, v7, s48
	v_mul_hi_u32 v5, s43, v4
	v_mul_lo_u32 v8, v4, s39
	s_delay_alu instid0(VALU_DEP_2) | instskip(NEXT) | instid1(VALU_DEP_2)
	v_add_nc_u32_e32 v5, v4, v5
	v_sub_nc_u32_e32 v3, v3, v8
	s_delay_alu instid0(VALU_DEP_2) | instskip(NEXT) | instid1(VALU_DEP_2)
	v_lshrrev_b32_e32 v5, s44, v5
	v_mul_lo_u32 v3, v3, s49
	s_delay_alu instid0(VALU_DEP_2) | instskip(NEXT) | instid1(VALU_DEP_2)
	v_mul_hi_u32 v6, s46, v5
	v_add3_u32 v0, v7, v0, v3
	s_delay_alu instid0(VALU_DEP_2) | instskip(NEXT) | instid1(VALU_DEP_1)
	v_add_nc_u32_e32 v6, v5, v6
	v_lshrrev_b32_e32 v1, s47, v6
	v_mul_lo_u32 v6, v5, s42
	s_delay_alu instid0(VALU_DEP_2) | instskip(NEXT) | instid1(VALU_DEP_2)
	v_mul_lo_u32 v9, v1, s45
	v_sub_nc_u32_e32 v4, v4, v6
	s_delay_alu instid0(VALU_DEP_2) | instskip(NEXT) | instid1(VALU_DEP_2)
	v_sub_nc_u32_e32 v5, v5, v9
	v_mul_lo_u32 v4, v4, s50
	s_delay_alu instid0(VALU_DEP_2) | instskip(NEXT) | instid1(VALU_DEP_1)
	v_mul_lo_u32 v5, v5, s51
	v_add3_u32 v0, v4, v0, v5
	s_cbranch_scc1 .LBB29_6
	s_branch .LBB29_70
.LBB29_7:
	s_and_not1_saveexec_b32 s2, s23
	s_cbranch_execz .LBB29_94
.LBB29_8:
	v_cndmask_b32_e64 v3, 0, 1, s22
	s_and_not1_b32 vcc_lo, exec_lo, s22
	s_cbranch_vccnz .LBB29_20
; %bb.9:
	v_mov_b32_e32 v0, 0
	s_cmp_eq_u32 s20, 0
	s_mov_b32 s6, 0
	s_cbranch_scc1 .LBB29_26
; %bb.10:
	s_min_u32 s7, s21, 15
	v_mov_b32_e32 v0, 0
	s_add_i32 s7, s7, 1
	s_cmp_eq_u32 s21, 2
	s_mov_b32 s8, 0
	s_cbranch_scc1 .LBB29_23
; %bb.11:
	v_dual_mov_b32 v0, 0 :: v_dual_mov_b32 v1, v2
	s_add_u32 s2, s0, 0xc4
	s_addc_u32 s3, s1, 0
	s_and_b32 s8, s7, 28
	s_mov_b32 s9, 0
	s_mov_b64 s[4:5], s[0:1]
.LBB29_12:                              ; =>This Inner Loop Header: Depth=1
	s_clause 0x1
	s_load_b256 s[12:19], s[4:5], 0x4
	s_load_b128 s[24:27], s[4:5], 0x24
	s_load_b128 s[28:31], s[2:3], 0x0
	s_add_u32 s4, s4, 48
	s_addc_u32 s5, s5, 0
	s_add_i32 s9, s9, 4
	s_add_u32 s2, s2, 16
	s_addc_u32 s3, s3, 0
	s_cmp_lg_u32 s8, s9
	s_waitcnt lgkmcnt(0)
	v_mul_hi_u32 v5, s13, v1
	s_delay_alu instid0(VALU_DEP_1) | instskip(NEXT) | instid1(VALU_DEP_1)
	v_add_nc_u32_e32 v5, v1, v5
	v_lshrrev_b32_e32 v5, s14, v5
	s_delay_alu instid0(VALU_DEP_1) | instskip(SKIP_1) | instid1(VALU_DEP_2)
	v_mul_hi_u32 v6, s16, v5
	v_mul_lo_u32 v9, v5, s12
	v_add_nc_u32_e32 v6, v5, v6
	s_delay_alu instid0(VALU_DEP_2) | instskip(NEXT) | instid1(VALU_DEP_2)
	v_sub_nc_u32_e32 v9, v1, v9
	v_lshrrev_b32_e32 v6, s17, v6
	s_delay_alu instid0(VALU_DEP_2) | instskip(NEXT) | instid1(VALU_DEP_2)
	v_mul_lo_u32 v9, v9, s28
	v_mul_hi_u32 v7, s19, v6
	v_mul_lo_u32 v10, v6, s15
	s_delay_alu instid0(VALU_DEP_2) | instskip(NEXT) | instid1(VALU_DEP_2)
	v_add_nc_u32_e32 v7, v6, v7
	v_sub_nc_u32_e32 v5, v5, v10
	s_delay_alu instid0(VALU_DEP_2) | instskip(NEXT) | instid1(VALU_DEP_2)
	v_lshrrev_b32_e32 v7, s24, v7
	v_mul_lo_u32 v5, v5, s29
	s_delay_alu instid0(VALU_DEP_2) | instskip(NEXT) | instid1(VALU_DEP_2)
	v_mul_hi_u32 v8, s26, v7
	v_add3_u32 v0, v9, v0, v5
	s_delay_alu instid0(VALU_DEP_2) | instskip(NEXT) | instid1(VALU_DEP_1)
	v_add_nc_u32_e32 v8, v7, v8
	v_lshrrev_b32_e32 v1, s27, v8
	v_mul_lo_u32 v8, v7, s18
	s_delay_alu instid0(VALU_DEP_2) | instskip(NEXT) | instid1(VALU_DEP_2)
	v_mul_lo_u32 v11, v1, s25
	v_sub_nc_u32_e32 v6, v6, v8
	s_delay_alu instid0(VALU_DEP_2) | instskip(NEXT) | instid1(VALU_DEP_2)
	v_sub_nc_u32_e32 v7, v7, v11
	v_mul_lo_u32 v6, v6, s30
	s_delay_alu instid0(VALU_DEP_2) | instskip(NEXT) | instid1(VALU_DEP_1)
	v_mul_lo_u32 v7, v7, s31
	v_add3_u32 v0, v6, v0, v7
	s_cbranch_scc1 .LBB29_12
; %bb.13:
	s_and_b32 s7, s7, 3
	s_delay_alu instid0(SALU_CYCLE_1)
	s_cmp_eq_u32 s7, 0
	s_cbranch_scc0 .LBB29_24
	s_branch .LBB29_26
.LBB29_14:
	s_or_b32 exec_lo, exec_lo, s28
	s_delay_alu instid0(SALU_CYCLE_1)
	s_mov_b32 s28, exec_lo
	v_cmpx_gt_i32_e64 s25, v2
	s_cbranch_execz .LBB29_77
.LBB29_15:
	s_and_not1_b32 vcc_lo, exec_lo, s22
	s_cbranch_vccnz .LBB29_22
; %bb.16:
	v_mov_b32_e32 v0, 0
	s_and_not1_b32 vcc_lo, exec_lo, s27
	s_cbranch_vccnz .LBB29_88
; %bb.17:
	s_add_i32 s30, s26, 1
	s_cmp_eq_u32 s21, 2
	s_mov_b32 s29, 0
	s_cbranch_scc1 .LBB29_84
; %bb.18:
	v_dual_mov_b32 v0, 0 :: v_dual_mov_b32 v1, v2
	s_and_b32 s29, s30, 28
	s_mov_b32 s31, 0
	s_mov_b64 s[16:17], s[0:1]
	s_mov_b64 s[18:19], s[14:15]
.LBB29_19:                              ; =>This Inner Loop Header: Depth=1
	s_clause 0x1
	s_load_b256 s[36:43], s[16:17], 0x4
	s_load_b128 s[44:47], s[16:17], 0x24
	s_load_b128 s[48:51], s[18:19], 0x0
	s_add_u32 s16, s16, 48
	s_addc_u32 s17, s17, 0
	s_add_i32 s31, s31, 4
	s_add_u32 s18, s18, 16
	s_addc_u32 s19, s19, 0
	s_cmp_eq_u32 s29, s31
	s_waitcnt lgkmcnt(0)
	v_mul_hi_u32 v3, s37, v1
	s_delay_alu instid0(VALU_DEP_1) | instskip(NEXT) | instid1(VALU_DEP_1)
	v_add_nc_u32_e32 v3, v1, v3
	v_lshrrev_b32_e32 v3, s38, v3
	s_delay_alu instid0(VALU_DEP_1) | instskip(SKIP_1) | instid1(VALU_DEP_2)
	v_mul_hi_u32 v4, s40, v3
	v_mul_lo_u32 v7, v3, s36
	v_add_nc_u32_e32 v4, v3, v4
	s_delay_alu instid0(VALU_DEP_2) | instskip(NEXT) | instid1(VALU_DEP_2)
	v_sub_nc_u32_e32 v7, v1, v7
	v_lshrrev_b32_e32 v4, s41, v4
	s_delay_alu instid0(VALU_DEP_2) | instskip(NEXT) | instid1(VALU_DEP_2)
	v_mul_lo_u32 v7, v7, s48
	v_mul_hi_u32 v5, s43, v4
	v_mul_lo_u32 v8, v4, s39
	s_delay_alu instid0(VALU_DEP_2) | instskip(NEXT) | instid1(VALU_DEP_2)
	v_add_nc_u32_e32 v5, v4, v5
	v_sub_nc_u32_e32 v3, v3, v8
	s_delay_alu instid0(VALU_DEP_2) | instskip(NEXT) | instid1(VALU_DEP_2)
	v_lshrrev_b32_e32 v5, s44, v5
	v_mul_lo_u32 v3, v3, s49
	s_delay_alu instid0(VALU_DEP_2) | instskip(NEXT) | instid1(VALU_DEP_2)
	v_mul_hi_u32 v6, s46, v5
	v_add3_u32 v0, v7, v0, v3
	s_delay_alu instid0(VALU_DEP_2) | instskip(NEXT) | instid1(VALU_DEP_1)
	v_add_nc_u32_e32 v6, v5, v6
	v_lshrrev_b32_e32 v1, s47, v6
	v_mul_lo_u32 v6, v5, s42
	s_delay_alu instid0(VALU_DEP_2) | instskip(NEXT) | instid1(VALU_DEP_2)
	v_mul_lo_u32 v9, v1, s45
	v_sub_nc_u32_e32 v4, v4, v6
	s_delay_alu instid0(VALU_DEP_2) | instskip(NEXT) | instid1(VALU_DEP_2)
	v_sub_nc_u32_e32 v5, v5, v9
	v_mul_lo_u32 v4, v4, s50
	s_delay_alu instid0(VALU_DEP_2) | instskip(NEXT) | instid1(VALU_DEP_1)
	v_mul_lo_u32 v5, v5, s51
	v_add3_u32 v0, v4, v0, v5
	s_cbranch_scc0 .LBB29_19
	s_branch .LBB29_85
.LBB29_20:
	s_mov_b32 s6, -1
                                        ; implicit-def: $vgpr0
	s_branch .LBB29_26
.LBB29_21:
                                        ; implicit-def: $vgpr0
	s_branch .LBB29_74
.LBB29_22:
                                        ; implicit-def: $vgpr0
	s_branch .LBB29_89
.LBB29_23:
	v_mov_b32_e32 v1, v2
	s_and_b32 s7, s7, 3
	s_delay_alu instid0(SALU_CYCLE_1)
	s_cmp_eq_u32 s7, 0
	s_cbranch_scc1 .LBB29_26
.LBB29_24:
	s_lshl_b32 s2, s8, 2
	s_mul_i32 s4, s8, 12
	s_add_u32 s2, s2, s0
	s_addc_u32 s3, 0, s1
	s_add_u32 s2, s2, 0xc4
	s_addc_u32 s3, s3, 0
	;; [unrolled: 2-line block ×3, first 2 shown]
	.p2align	6
.LBB29_25:                              ; =>This Inner Loop Header: Depth=1
	s_clause 0x1
	s_load_b64 s[8:9], s[4:5], 0x4
	s_load_b32 s10, s[4:5], 0xc
	s_add_u32 s4, s4, 12
	s_addc_u32 s5, s5, 0
	s_waitcnt lgkmcnt(0)
	v_mul_hi_u32 v5, s9, v1
	s_load_b32 s9, s[2:3], 0x0
	s_add_u32 s2, s2, 4
	s_addc_u32 s3, s3, 0
	s_add_i32 s7, s7, -1
	s_delay_alu instid0(SALU_CYCLE_1) | instskip(NEXT) | instid1(VALU_DEP_1)
	s_cmp_lg_u32 s7, 0
	v_add_nc_u32_e32 v5, v1, v5
	s_delay_alu instid0(VALU_DEP_1) | instskip(NEXT) | instid1(VALU_DEP_1)
	v_lshrrev_b32_e32 v7, s10, v5
	v_mul_lo_u32 v5, v7, s8
	s_delay_alu instid0(VALU_DEP_1) | instskip(SKIP_1) | instid1(VALU_DEP_1)
	v_sub_nc_u32_e32 v1, v1, v5
	s_waitcnt lgkmcnt(0)
	v_mad_u64_u32 v[5:6], null, v1, s9, v[0:1]
	s_delay_alu instid0(VALU_DEP_1)
	v_dual_mov_b32 v1, v7 :: v_dual_mov_b32 v0, v5
	s_cbranch_scc1 .LBB29_25
.LBB29_26:
	s_and_not1_b32 vcc_lo, exec_lo, s6
	s_cbranch_vccnz .LBB29_29
; %bb.27:
	s_clause 0x1
	s_load_b128 s[4:7], s[0:1], 0x4
	s_load_b32 s2, s[0:1], 0xc4
	s_cmp_lt_u32 s20, 2
	s_waitcnt lgkmcnt(0)
	v_mul_hi_u32 v0, s5, v2
	s_delay_alu instid0(VALU_DEP_1) | instskip(NEXT) | instid1(VALU_DEP_1)
	v_add_nc_u32_e32 v0, v2, v0
	v_lshrrev_b32_e32 v1, s6, v0
	s_delay_alu instid0(VALU_DEP_1) | instskip(NEXT) | instid1(VALU_DEP_1)
	v_mul_lo_u32 v0, v1, s4
	v_sub_nc_u32_e32 v0, v2, v0
	s_delay_alu instid0(VALU_DEP_1)
	v_mul_lo_u32 v0, v0, s2
	s_cbranch_scc1 .LBB29_29
; %bb.28:
	s_clause 0x1
	s_load_b128 s[4:7], s[0:1], 0x10
	s_load_b32 s2, s[0:1], 0xc8
	s_waitcnt lgkmcnt(0)
	v_mul_hi_u32 v5, s5, v1
	s_delay_alu instid0(VALU_DEP_1) | instskip(NEXT) | instid1(VALU_DEP_1)
	v_add_nc_u32_e32 v5, v1, v5
	v_lshrrev_b32_e32 v5, s6, v5
	s_delay_alu instid0(VALU_DEP_1) | instskip(NEXT) | instid1(VALU_DEP_1)
	v_mul_lo_u32 v5, v5, s4
	v_sub_nc_u32_e32 v1, v1, v5
	s_delay_alu instid0(VALU_DEP_1) | instskip(NEXT) | instid1(VALU_DEP_1)
	v_mad_u64_u32 v[5:6], null, v1, s2, v[0:1]
	v_mov_b32_e32 v0, v5
.LBB29_29:
	v_cmp_ne_u32_e32 vcc_lo, 1, v3
	v_add_nc_u32_e32 v5, 0x80, v2
	s_cbranch_vccnz .LBB29_35
; %bb.30:
	v_mov_b32_e32 v1, 0
	s_cmp_eq_u32 s20, 0
	s_mov_b32 s6, 0
	s_cbranch_scc1 .LBB29_39
; %bb.31:
	s_min_u32 s7, s21, 15
	v_mov_b32_e32 v1, 0
	s_add_i32 s7, s7, 1
	s_cmp_eq_u32 s21, 2
	s_mov_b32 s8, 0
	s_cbranch_scc1 .LBB29_36
; %bb.32:
	v_dual_mov_b32 v1, 0 :: v_dual_mov_b32 v6, v5
	s_add_u32 s2, s0, 0xc4
	s_addc_u32 s3, s1, 0
	s_and_b32 s8, s7, 28
	s_mov_b32 s9, 0
	s_mov_b64 s[4:5], s[0:1]
.LBB29_33:                              ; =>This Inner Loop Header: Depth=1
	s_clause 0x1
	s_load_b256 s[12:19], s[4:5], 0x4
	s_load_b128 s[24:27], s[4:5], 0x24
	s_load_b128 s[28:31], s[2:3], 0x0
	s_add_u32 s4, s4, 48
	s_addc_u32 s5, s5, 0
	s_add_i32 s9, s9, 4
	s_add_u32 s2, s2, 16
	s_addc_u32 s3, s3, 0
	s_cmp_lg_u32 s8, s9
	s_waitcnt lgkmcnt(0)
	v_mul_hi_u32 v7, s13, v6
	s_delay_alu instid0(VALU_DEP_1) | instskip(NEXT) | instid1(VALU_DEP_1)
	v_add_nc_u32_e32 v7, v6, v7
	v_lshrrev_b32_e32 v7, s14, v7
	s_delay_alu instid0(VALU_DEP_1) | instskip(SKIP_1) | instid1(VALU_DEP_2)
	v_mul_hi_u32 v8, s16, v7
	v_mul_lo_u32 v11, v7, s12
	v_add_nc_u32_e32 v8, v7, v8
	s_delay_alu instid0(VALU_DEP_2) | instskip(NEXT) | instid1(VALU_DEP_2)
	v_sub_nc_u32_e32 v11, v6, v11
	v_lshrrev_b32_e32 v8, s17, v8
	s_delay_alu instid0(VALU_DEP_2) | instskip(NEXT) | instid1(VALU_DEP_2)
	v_mul_lo_u32 v11, v11, s28
	v_mul_hi_u32 v9, s19, v8
	v_mul_lo_u32 v12, v8, s15
	s_delay_alu instid0(VALU_DEP_2) | instskip(NEXT) | instid1(VALU_DEP_2)
	v_add_nc_u32_e32 v9, v8, v9
	v_sub_nc_u32_e32 v7, v7, v12
	s_delay_alu instid0(VALU_DEP_2) | instskip(NEXT) | instid1(VALU_DEP_2)
	v_lshrrev_b32_e32 v9, s24, v9
	v_mul_lo_u32 v7, v7, s29
	s_delay_alu instid0(VALU_DEP_2) | instskip(NEXT) | instid1(VALU_DEP_2)
	v_mul_hi_u32 v10, s26, v9
	v_add3_u32 v1, v11, v1, v7
	s_delay_alu instid0(VALU_DEP_2) | instskip(NEXT) | instid1(VALU_DEP_1)
	v_add_nc_u32_e32 v10, v9, v10
	v_lshrrev_b32_e32 v6, s27, v10
	v_mul_lo_u32 v10, v9, s18
	s_delay_alu instid0(VALU_DEP_2) | instskip(NEXT) | instid1(VALU_DEP_2)
	v_mul_lo_u32 v13, v6, s25
	v_sub_nc_u32_e32 v8, v8, v10
	s_delay_alu instid0(VALU_DEP_2) | instskip(NEXT) | instid1(VALU_DEP_2)
	v_sub_nc_u32_e32 v9, v9, v13
	v_mul_lo_u32 v8, v8, s30
	s_delay_alu instid0(VALU_DEP_2) | instskip(NEXT) | instid1(VALU_DEP_1)
	v_mul_lo_u32 v9, v9, s31
	v_add3_u32 v1, v8, v1, v9
	s_cbranch_scc1 .LBB29_33
; %bb.34:
	s_and_b32 s7, s7, 3
	s_delay_alu instid0(SALU_CYCLE_1)
	s_cmp_eq_u32 s7, 0
	s_cbranch_scc0 .LBB29_37
	s_branch .LBB29_39
.LBB29_35:
	s_mov_b32 s6, -1
                                        ; implicit-def: $vgpr1
	s_branch .LBB29_39
.LBB29_36:
	v_mov_b32_e32 v6, v5
	s_and_b32 s7, s7, 3
	s_delay_alu instid0(SALU_CYCLE_1)
	s_cmp_eq_u32 s7, 0
	s_cbranch_scc1 .LBB29_39
.LBB29_37:
	s_lshl_b32 s2, s8, 2
	s_mul_i32 s4, s8, 12
	s_add_u32 s2, s2, s0
	s_addc_u32 s3, 0, s1
	s_add_u32 s2, s2, 0xc4
	s_addc_u32 s3, s3, 0
	;; [unrolled: 2-line block ×3, first 2 shown]
	.p2align	6
.LBB29_38:                              ; =>This Inner Loop Header: Depth=1
	s_clause 0x1
	s_load_b64 s[8:9], s[4:5], 0x4
	s_load_b32 s10, s[4:5], 0xc
	s_add_u32 s4, s4, 12
	s_addc_u32 s5, s5, 0
	s_waitcnt lgkmcnt(0)
	v_mul_hi_u32 v7, s9, v6
	s_load_b32 s9, s[2:3], 0x0
	s_add_u32 s2, s2, 4
	s_addc_u32 s3, s3, 0
	s_add_i32 s7, s7, -1
	s_delay_alu instid0(SALU_CYCLE_1) | instskip(NEXT) | instid1(VALU_DEP_1)
	s_cmp_lg_u32 s7, 0
	v_add_nc_u32_e32 v7, v6, v7
	s_delay_alu instid0(VALU_DEP_1) | instskip(NEXT) | instid1(VALU_DEP_1)
	v_lshrrev_b32_e32 v9, s10, v7
	v_mul_lo_u32 v7, v9, s8
	s_delay_alu instid0(VALU_DEP_1) | instskip(SKIP_1) | instid1(VALU_DEP_1)
	v_sub_nc_u32_e32 v6, v6, v7
	s_waitcnt lgkmcnt(0)
	v_mad_u64_u32 v[7:8], null, v6, s9, v[1:2]
	s_delay_alu instid0(VALU_DEP_1)
	v_dual_mov_b32 v6, v9 :: v_dual_mov_b32 v1, v7
	s_cbranch_scc1 .LBB29_38
.LBB29_39:
	s_and_not1_b32 vcc_lo, exec_lo, s6
	s_cbranch_vccnz .LBB29_42
; %bb.40:
	s_clause 0x1
	s_load_b128 s[4:7], s[0:1], 0x4
	s_load_b32 s2, s[0:1], 0xc4
	s_cmp_lt_u32 s20, 2
	s_waitcnt lgkmcnt(0)
	v_mul_hi_u32 v1, s5, v5
	s_delay_alu instid0(VALU_DEP_1) | instskip(NEXT) | instid1(VALU_DEP_1)
	v_add_nc_u32_e32 v1, v5, v1
	v_lshrrev_b32_e32 v6, s6, v1
	s_delay_alu instid0(VALU_DEP_1) | instskip(NEXT) | instid1(VALU_DEP_1)
	v_mul_lo_u32 v1, v6, s4
	v_sub_nc_u32_e32 v1, v5, v1
	s_delay_alu instid0(VALU_DEP_1)
	v_mul_lo_u32 v1, v1, s2
	s_cbranch_scc1 .LBB29_42
; %bb.41:
	s_clause 0x1
	s_load_b128 s[4:7], s[0:1], 0x10
	s_load_b32 s2, s[0:1], 0xc8
	s_waitcnt lgkmcnt(0)
	v_mul_hi_u32 v5, s5, v6
	s_delay_alu instid0(VALU_DEP_1) | instskip(NEXT) | instid1(VALU_DEP_1)
	v_add_nc_u32_e32 v5, v6, v5
	v_lshrrev_b32_e32 v5, s6, v5
	s_delay_alu instid0(VALU_DEP_1) | instskip(NEXT) | instid1(VALU_DEP_1)
	v_mul_lo_u32 v5, v5, s4
	v_sub_nc_u32_e32 v7, v6, v5
	s_delay_alu instid0(VALU_DEP_1) | instskip(NEXT) | instid1(VALU_DEP_1)
	v_mad_u64_u32 v[5:6], null, v7, s2, v[1:2]
	v_mov_b32_e32 v1, v5
.LBB29_42:
	v_cmp_ne_u32_e32 vcc_lo, 1, v3
	v_add_nc_u32_e32 v5, 0x100, v2
	s_cbranch_vccnz .LBB29_48
; %bb.43:
	v_mov_b32_e32 v2, 0
	s_cmp_eq_u32 s20, 0
	s_mov_b32 s6, 0
	s_cbranch_scc1 .LBB29_52
; %bb.44:
	s_min_u32 s7, s21, 15
	v_mov_b32_e32 v2, 0
	s_add_i32 s7, s7, 1
	s_cmp_eq_u32 s21, 2
	s_mov_b32 s8, 0
	s_cbranch_scc1 .LBB29_49
; %bb.45:
	v_mov_b32_e32 v2, 0
	v_mov_b32_e32 v6, v5
	s_add_u32 s2, s0, 0xc4
	s_addc_u32 s3, s1, 0
	s_and_b32 s8, s7, 28
	s_mov_b32 s9, 0
	s_mov_b64 s[4:5], s[0:1]
.LBB29_46:                              ; =>This Inner Loop Header: Depth=1
	s_clause 0x1
	s_load_b256 s[12:19], s[4:5], 0x4
	s_load_b128 s[24:27], s[4:5], 0x24
	s_load_b128 s[28:31], s[2:3], 0x0
	s_add_u32 s4, s4, 48
	s_addc_u32 s5, s5, 0
	s_add_i32 s9, s9, 4
	s_add_u32 s2, s2, 16
	s_addc_u32 s3, s3, 0
	s_cmp_lg_u32 s8, s9
	s_waitcnt lgkmcnt(0)
	v_mul_hi_u32 v7, s13, v6
	s_delay_alu instid0(VALU_DEP_1) | instskip(NEXT) | instid1(VALU_DEP_1)
	v_add_nc_u32_e32 v7, v6, v7
	v_lshrrev_b32_e32 v7, s14, v7
	s_delay_alu instid0(VALU_DEP_1) | instskip(SKIP_1) | instid1(VALU_DEP_2)
	v_mul_hi_u32 v8, s16, v7
	v_mul_lo_u32 v11, v7, s12
	v_add_nc_u32_e32 v8, v7, v8
	s_delay_alu instid0(VALU_DEP_2) | instskip(NEXT) | instid1(VALU_DEP_2)
	v_sub_nc_u32_e32 v11, v6, v11
	v_lshrrev_b32_e32 v8, s17, v8
	s_delay_alu instid0(VALU_DEP_2) | instskip(NEXT) | instid1(VALU_DEP_2)
	v_mul_lo_u32 v11, v11, s28
	v_mul_hi_u32 v9, s19, v8
	v_mul_lo_u32 v12, v8, s15
	s_delay_alu instid0(VALU_DEP_2) | instskip(NEXT) | instid1(VALU_DEP_2)
	v_add_nc_u32_e32 v9, v8, v9
	v_sub_nc_u32_e32 v7, v7, v12
	s_delay_alu instid0(VALU_DEP_2) | instskip(NEXT) | instid1(VALU_DEP_2)
	v_lshrrev_b32_e32 v9, s24, v9
	v_mul_lo_u32 v7, v7, s29
	s_delay_alu instid0(VALU_DEP_2) | instskip(NEXT) | instid1(VALU_DEP_2)
	v_mul_hi_u32 v10, s26, v9
	v_add3_u32 v2, v11, v2, v7
	s_delay_alu instid0(VALU_DEP_2) | instskip(NEXT) | instid1(VALU_DEP_1)
	v_add_nc_u32_e32 v10, v9, v10
	v_lshrrev_b32_e32 v6, s27, v10
	v_mul_lo_u32 v10, v9, s18
	s_delay_alu instid0(VALU_DEP_2) | instskip(NEXT) | instid1(VALU_DEP_2)
	v_mul_lo_u32 v13, v6, s25
	v_sub_nc_u32_e32 v8, v8, v10
	s_delay_alu instid0(VALU_DEP_2) | instskip(NEXT) | instid1(VALU_DEP_2)
	v_sub_nc_u32_e32 v9, v9, v13
	v_mul_lo_u32 v8, v8, s30
	s_delay_alu instid0(VALU_DEP_2) | instskip(NEXT) | instid1(VALU_DEP_1)
	v_mul_lo_u32 v9, v9, s31
	v_add3_u32 v2, v8, v2, v9
	s_cbranch_scc1 .LBB29_46
; %bb.47:
	s_and_b32 s7, s7, 3
	s_delay_alu instid0(SALU_CYCLE_1)
	s_cmp_eq_u32 s7, 0
	s_cbranch_scc0 .LBB29_50
	s_branch .LBB29_52
.LBB29_48:
	s_mov_b32 s6, -1
                                        ; implicit-def: $vgpr2
	s_branch .LBB29_52
.LBB29_49:
	v_mov_b32_e32 v6, v5
	s_and_b32 s7, s7, 3
	s_delay_alu instid0(SALU_CYCLE_1)
	s_cmp_eq_u32 s7, 0
	s_cbranch_scc1 .LBB29_52
.LBB29_50:
	s_lshl_b32 s2, s8, 2
	s_mul_i32 s4, s8, 12
	s_add_u32 s2, s2, s0
	s_addc_u32 s3, 0, s1
	s_add_u32 s2, s2, 0xc4
	s_addc_u32 s3, s3, 0
	;; [unrolled: 2-line block ×3, first 2 shown]
	.p2align	6
.LBB29_51:                              ; =>This Inner Loop Header: Depth=1
	s_clause 0x1
	s_load_b64 s[8:9], s[4:5], 0x4
	s_load_b32 s10, s[4:5], 0xc
	s_add_u32 s4, s4, 12
	s_addc_u32 s5, s5, 0
	s_waitcnt lgkmcnt(0)
	v_mul_hi_u32 v7, s9, v6
	s_load_b32 s9, s[2:3], 0x0
	s_add_u32 s2, s2, 4
	s_addc_u32 s3, s3, 0
	s_add_i32 s7, s7, -1
	s_delay_alu instid0(SALU_CYCLE_1) | instskip(NEXT) | instid1(VALU_DEP_1)
	s_cmp_lg_u32 s7, 0
	v_add_nc_u32_e32 v7, v6, v7
	s_delay_alu instid0(VALU_DEP_1) | instskip(NEXT) | instid1(VALU_DEP_1)
	v_lshrrev_b32_e32 v9, s10, v7
	v_mul_lo_u32 v7, v9, s8
	s_delay_alu instid0(VALU_DEP_1) | instskip(SKIP_1) | instid1(VALU_DEP_1)
	v_sub_nc_u32_e32 v6, v6, v7
	s_waitcnt lgkmcnt(0)
	v_mad_u64_u32 v[7:8], null, v6, s9, v[2:3]
	v_mov_b32_e32 v6, v9
	s_delay_alu instid0(VALU_DEP_2)
	v_mov_b32_e32 v2, v7
	s_cbranch_scc1 .LBB29_51
.LBB29_52:
	s_and_not1_b32 vcc_lo, exec_lo, s6
	s_cbranch_vccnz .LBB29_55
; %bb.53:
	s_clause 0x1
	s_load_b128 s[4:7], s[0:1], 0x4
	s_load_b32 s2, s[0:1], 0xc4
	s_cmp_lt_u32 s20, 2
	s_waitcnt lgkmcnt(0)
	v_mul_hi_u32 v2, s5, v5
	s_delay_alu instid0(VALU_DEP_1) | instskip(NEXT) | instid1(VALU_DEP_1)
	v_add_nc_u32_e32 v2, v5, v2
	v_lshrrev_b32_e32 v6, s6, v2
	s_delay_alu instid0(VALU_DEP_1) | instskip(NEXT) | instid1(VALU_DEP_1)
	v_mul_lo_u32 v2, v6, s4
	v_sub_nc_u32_e32 v2, v5, v2
	s_delay_alu instid0(VALU_DEP_1)
	v_mul_lo_u32 v2, v2, s2
	s_cbranch_scc1 .LBB29_55
; %bb.54:
	s_clause 0x1
	s_load_b128 s[4:7], s[0:1], 0x10
	s_load_b32 s2, s[0:1], 0xc8
	s_waitcnt lgkmcnt(0)
	v_mul_hi_u32 v5, s5, v6
	s_delay_alu instid0(VALU_DEP_1) | instskip(NEXT) | instid1(VALU_DEP_1)
	v_add_nc_u32_e32 v5, v6, v5
	v_lshrrev_b32_e32 v5, s6, v5
	s_delay_alu instid0(VALU_DEP_1) | instskip(NEXT) | instid1(VALU_DEP_1)
	v_mul_lo_u32 v5, v5, s4
	v_sub_nc_u32_e32 v7, v6, v5
	s_delay_alu instid0(VALU_DEP_1) | instskip(NEXT) | instid1(VALU_DEP_1)
	v_mad_u64_u32 v[5:6], null, v7, s2, v[2:3]
	v_mov_b32_e32 v2, v5
.LBB29_55:
	v_cmp_ne_u32_e32 vcc_lo, 1, v3
	s_cbranch_vccnz .LBB29_61
; %bb.56:
	v_mov_b32_e32 v3, 0
	s_cmp_eq_u32 s20, 0
	s_mov_b32 s6, 0
	s_cbranch_scc1 .LBB29_65
; %bb.57:
	s_min_u32 s7, s21, 15
	v_mov_b32_e32 v3, 0
	s_add_i32 s7, s7, 1
	s_cmp_eq_u32 s21, 2
	s_mov_b32 s8, 0
	s_cbranch_scc1 .LBB29_62
; %bb.58:
	v_mov_b32_e32 v3, 0
	v_mov_b32_e32 v5, v4
	s_add_u32 s2, s0, 0xc4
	s_addc_u32 s3, s1, 0
	s_and_b32 s8, s7, 28
	s_mov_b32 s9, 0
	s_mov_b64 s[4:5], s[0:1]
.LBB29_59:                              ; =>This Inner Loop Header: Depth=1
	s_clause 0x1
	s_load_b256 s[12:19], s[4:5], 0x4
	s_load_b128 s[24:27], s[4:5], 0x24
	s_load_b128 s[28:31], s[2:3], 0x0
	s_add_u32 s4, s4, 48
	s_addc_u32 s5, s5, 0
	s_add_i32 s9, s9, 4
	s_add_u32 s2, s2, 16
	s_addc_u32 s3, s3, 0
	s_cmp_lg_u32 s8, s9
	s_waitcnt lgkmcnt(0)
	v_mul_hi_u32 v6, s13, v5
	s_delay_alu instid0(VALU_DEP_1) | instskip(NEXT) | instid1(VALU_DEP_1)
	v_add_nc_u32_e32 v6, v5, v6
	v_lshrrev_b32_e32 v6, s14, v6
	s_delay_alu instid0(VALU_DEP_1) | instskip(SKIP_1) | instid1(VALU_DEP_2)
	v_mul_hi_u32 v7, s16, v6
	v_mul_lo_u32 v10, v6, s12
	v_add_nc_u32_e32 v7, v6, v7
	s_delay_alu instid0(VALU_DEP_2) | instskip(NEXT) | instid1(VALU_DEP_2)
	v_sub_nc_u32_e32 v10, v5, v10
	v_lshrrev_b32_e32 v7, s17, v7
	s_delay_alu instid0(VALU_DEP_2) | instskip(NEXT) | instid1(VALU_DEP_2)
	v_mul_lo_u32 v10, v10, s28
	v_mul_hi_u32 v8, s19, v7
	v_mul_lo_u32 v11, v7, s15
	s_delay_alu instid0(VALU_DEP_2) | instskip(NEXT) | instid1(VALU_DEP_2)
	v_add_nc_u32_e32 v8, v7, v8
	v_sub_nc_u32_e32 v6, v6, v11
	s_delay_alu instid0(VALU_DEP_2) | instskip(NEXT) | instid1(VALU_DEP_2)
	v_lshrrev_b32_e32 v8, s24, v8
	v_mul_lo_u32 v6, v6, s29
	s_delay_alu instid0(VALU_DEP_2) | instskip(NEXT) | instid1(VALU_DEP_2)
	v_mul_hi_u32 v9, s26, v8
	v_add3_u32 v3, v10, v3, v6
	s_delay_alu instid0(VALU_DEP_2) | instskip(NEXT) | instid1(VALU_DEP_1)
	v_add_nc_u32_e32 v9, v8, v9
	v_lshrrev_b32_e32 v5, s27, v9
	v_mul_lo_u32 v9, v8, s18
	s_delay_alu instid0(VALU_DEP_2) | instskip(NEXT) | instid1(VALU_DEP_2)
	v_mul_lo_u32 v12, v5, s25
	v_sub_nc_u32_e32 v7, v7, v9
	s_delay_alu instid0(VALU_DEP_2) | instskip(NEXT) | instid1(VALU_DEP_2)
	v_sub_nc_u32_e32 v8, v8, v12
	v_mul_lo_u32 v7, v7, s30
	s_delay_alu instid0(VALU_DEP_2) | instskip(NEXT) | instid1(VALU_DEP_1)
	v_mul_lo_u32 v8, v8, s31
	v_add3_u32 v3, v7, v3, v8
	s_cbranch_scc1 .LBB29_59
; %bb.60:
	s_and_b32 s7, s7, 3
	s_delay_alu instid0(SALU_CYCLE_1)
	s_cmp_eq_u32 s7, 0
	s_cbranch_scc0 .LBB29_63
	s_branch .LBB29_65
.LBB29_61:
	s_mov_b32 s6, -1
                                        ; implicit-def: $vgpr3
	s_branch .LBB29_65
.LBB29_62:
	v_mov_b32_e32 v5, v4
	s_and_b32 s7, s7, 3
	s_delay_alu instid0(SALU_CYCLE_1)
	s_cmp_eq_u32 s7, 0
	s_cbranch_scc1 .LBB29_65
.LBB29_63:
	s_lshl_b32 s2, s8, 2
	s_mul_i32 s4, s8, 12
	s_add_u32 s2, s2, s0
	s_addc_u32 s3, 0, s1
	s_add_u32 s2, s2, 0xc4
	s_addc_u32 s3, s3, 0
	;; [unrolled: 2-line block ×3, first 2 shown]
	.p2align	6
.LBB29_64:                              ; =>This Inner Loop Header: Depth=1
	s_clause 0x1
	s_load_b64 s[8:9], s[4:5], 0x4
	s_load_b32 s10, s[4:5], 0xc
	s_add_u32 s4, s4, 12
	s_addc_u32 s5, s5, 0
	s_waitcnt lgkmcnt(0)
	v_mul_hi_u32 v6, s9, v5
	s_load_b32 s9, s[2:3], 0x0
	s_add_u32 s2, s2, 4
	s_addc_u32 s3, s3, 0
	s_add_i32 s7, s7, -1
	s_delay_alu instid0(SALU_CYCLE_1) | instskip(NEXT) | instid1(VALU_DEP_1)
	s_cmp_lg_u32 s7, 0
	v_add_nc_u32_e32 v6, v5, v6
	s_delay_alu instid0(VALU_DEP_1) | instskip(NEXT) | instid1(VALU_DEP_1)
	v_lshrrev_b32_e32 v8, s10, v6
	v_mul_lo_u32 v6, v8, s8
	s_delay_alu instid0(VALU_DEP_1) | instskip(SKIP_1) | instid1(VALU_DEP_1)
	v_sub_nc_u32_e32 v5, v5, v6
	s_waitcnt lgkmcnt(0)
	v_mad_u64_u32 v[6:7], null, v5, s9, v[3:4]
	v_mov_b32_e32 v5, v8
	s_delay_alu instid0(VALU_DEP_2)
	v_mov_b32_e32 v3, v6
	s_cbranch_scc1 .LBB29_64
.LBB29_65:
	s_and_not1_b32 vcc_lo, exec_lo, s6
	s_cbranch_vccnz .LBB29_68
; %bb.66:
	s_clause 0x1
	s_load_b128 s[4:7], s[0:1], 0x4
	s_load_b32 s2, s[0:1], 0xc4
	s_cmp_lt_u32 s20, 2
	s_waitcnt lgkmcnt(0)
	v_mul_hi_u32 v3, s5, v4
	s_delay_alu instid0(VALU_DEP_1) | instskip(NEXT) | instid1(VALU_DEP_1)
	v_add_nc_u32_e32 v3, v4, v3
	v_lshrrev_b32_e32 v5, s6, v3
	s_delay_alu instid0(VALU_DEP_1) | instskip(NEXT) | instid1(VALU_DEP_1)
	v_mul_lo_u32 v3, v5, s4
	v_sub_nc_u32_e32 v3, v4, v3
	s_delay_alu instid0(VALU_DEP_1)
	v_mul_lo_u32 v3, v3, s2
	s_cbranch_scc1 .LBB29_68
; %bb.67:
	s_clause 0x1
	s_load_b128 s[4:7], s[0:1], 0x10
	s_load_b32 s2, s[0:1], 0xc8
	s_waitcnt lgkmcnt(0)
	v_mul_hi_u32 v4, s5, v5
	s_delay_alu instid0(VALU_DEP_1) | instskip(NEXT) | instid1(VALU_DEP_1)
	v_add_nc_u32_e32 v4, v5, v4
	v_lshrrev_b32_e32 v4, s6, v4
	s_delay_alu instid0(VALU_DEP_1) | instskip(NEXT) | instid1(VALU_DEP_1)
	v_mul_lo_u32 v4, v4, s4
	v_sub_nc_u32_e32 v6, v5, v4
	s_delay_alu instid0(VALU_DEP_1) | instskip(NEXT) | instid1(VALU_DEP_1)
	v_mad_u64_u32 v[4:5], null, v6, s2, v[3:4]
	v_mov_b32_e32 v3, v4
.LBB29_68:
	s_load_b128 s[0:3], s[0:1], 0x108
	s_waitcnt lgkmcnt(0)
	v_dual_mov_b32 v5, s3 :: v_dual_mov_b32 v4, s2
	s_clause 0x3
	global_store_b64 v0, v[4:5], s[0:1]
	global_store_b64 v1, v[4:5], s[0:1]
	;; [unrolled: 1-line block ×4, first 2 shown]
	s_nop 0
	s_sendmsg sendmsg(MSG_DEALLOC_VGPRS)
	s_endpgm
.LBB29_69:
	v_mov_b32_e32 v1, v2
.LBB29_70:
	s_and_b32 s30, s30, 3
	s_delay_alu instid0(SALU_CYCLE_1)
	s_cmp_eq_u32 s30, 0
	s_cbranch_scc1 .LBB29_73
; %bb.71:
	s_lshl_b32 s16, s29, 2
	s_mul_i32 s18, s29, 12
	s_add_u32 s16, s16, s0
	s_addc_u32 s17, s1, 0
	s_add_u32 s16, s16, 0xc4
	s_addc_u32 s17, s17, 0
	;; [unrolled: 2-line block ×3, first 2 shown]
	.p2align	6
.LBB29_72:                              ; =>This Inner Loop Header: Depth=1
	s_clause 0x1
	s_load_b64 s[34:35], s[18:19], 0x4
	s_load_b32 s29, s[18:19], 0xc
	s_load_b32 s31, s[16:17], 0x0
	s_add_u32 s18, s18, 12
	s_addc_u32 s19, s19, 0
	s_add_u32 s16, s16, 4
	s_addc_u32 s17, s17, 0
	s_add_i32 s30, s30, -1
	s_delay_alu instid0(SALU_CYCLE_1) | instskip(SKIP_2) | instid1(VALU_DEP_1)
	s_cmp_lg_u32 s30, 0
	s_waitcnt lgkmcnt(0)
	v_mul_hi_u32 v3, s35, v1
	v_add_nc_u32_e32 v3, v1, v3
	s_delay_alu instid0(VALU_DEP_1) | instskip(NEXT) | instid1(VALU_DEP_1)
	v_lshrrev_b32_e32 v5, s29, v3
	v_mul_lo_u32 v3, v5, s34
	s_delay_alu instid0(VALU_DEP_1) | instskip(NEXT) | instid1(VALU_DEP_1)
	v_sub_nc_u32_e32 v1, v1, v3
	v_mad_u64_u32 v[3:4], null, v1, s31, v[0:1]
	s_delay_alu instid0(VALU_DEP_1)
	v_dual_mov_b32 v1, v5 :: v_dual_mov_b32 v0, v3
	s_cbranch_scc1 .LBB29_72
.LBB29_73:
	s_cbranch_execnz .LBB29_76
.LBB29_74:
	s_waitcnt lgkmcnt(0)
	v_mul_hi_u32 v0, s9, v2
	s_and_not1_b32 vcc_lo, exec_lo, s24
	s_delay_alu instid0(VALU_DEP_1) | instskip(NEXT) | instid1(VALU_DEP_1)
	v_add_nc_u32_e32 v0, v2, v0
	v_lshrrev_b32_e32 v1, s10, v0
	s_delay_alu instid0(VALU_DEP_1) | instskip(NEXT) | instid1(VALU_DEP_1)
	v_mul_lo_u32 v0, v1, s8
	v_sub_nc_u32_e32 v0, v2, v0
	s_delay_alu instid0(VALU_DEP_1)
	v_mul_lo_u32 v0, v0, s2
	s_cbranch_vccnz .LBB29_76
; %bb.75:
	v_mul_hi_u32 v3, s12, v1
	s_delay_alu instid0(VALU_DEP_1) | instskip(NEXT) | instid1(VALU_DEP_1)
	v_add_nc_u32_e32 v3, v1, v3
	v_lshrrev_b32_e32 v3, s13, v3
	s_delay_alu instid0(VALU_DEP_1) | instskip(NEXT) | instid1(VALU_DEP_1)
	v_mul_lo_u32 v3, v3, s11
	v_sub_nc_u32_e32 v1, v1, v3
	s_delay_alu instid0(VALU_DEP_1) | instskip(NEXT) | instid1(VALU_DEP_1)
	v_mad_u64_u32 v[3:4], null, v1, s3, v[0:1]
	v_mov_b32_e32 v0, v3
.LBB29_76:
	s_waitcnt lgkmcnt(0)
	v_dual_mov_b32 v3, s6 :: v_dual_mov_b32 v4, s7
	v_add_nc_u32_e32 v2, 0x80, v2
	global_store_b64 v0, v[3:4], s[4:5]
	s_or_b32 exec_lo, exec_lo, s28
	s_delay_alu instid0(SALU_CYCLE_1)
	s_mov_b32 s28, exec_lo
	v_cmpx_gt_i32_e64 s25, v2
	s_cbranch_execnz .LBB29_15
.LBB29_77:
	s_or_b32 exec_lo, exec_lo, s28
	s_delay_alu instid0(SALU_CYCLE_1)
	s_mov_b32 s28, exec_lo
	v_cmpx_gt_i32_e64 s25, v2
	s_cbranch_execz .LBB29_92
.LBB29_78:
	s_and_not1_b32 vcc_lo, exec_lo, s22
	s_cbranch_vccnz .LBB29_83
; %bb.79:
	v_mov_b32_e32 v0, 0
	s_and_not1_b32 vcc_lo, exec_lo, s27
	s_cbranch_vccnz .LBB29_99
; %bb.80:
	s_add_i32 s30, s26, 1
	s_cmp_eq_u32 s21, 2
	s_mov_b32 s29, 0
	s_cbranch_scc1 .LBB29_95
; %bb.81:
	v_dual_mov_b32 v0, 0 :: v_dual_mov_b32 v1, v2
	s_and_b32 s29, s30, 28
	s_mov_b32 s31, 0
	s_mov_b64 s[16:17], s[0:1]
	s_mov_b64 s[18:19], s[14:15]
.LBB29_82:                              ; =>This Inner Loop Header: Depth=1
	s_clause 0x1
	s_load_b256 s[36:43], s[16:17], 0x4
	s_load_b128 s[44:47], s[16:17], 0x24
	s_load_b128 s[48:51], s[18:19], 0x0
	s_add_u32 s16, s16, 48
	s_addc_u32 s17, s17, 0
	s_add_i32 s31, s31, 4
	s_add_u32 s18, s18, 16
	s_addc_u32 s19, s19, 0
	s_cmp_eq_u32 s29, s31
	s_waitcnt lgkmcnt(0)
	v_mul_hi_u32 v3, s37, v1
	s_delay_alu instid0(VALU_DEP_1) | instskip(NEXT) | instid1(VALU_DEP_1)
	v_add_nc_u32_e32 v3, v1, v3
	v_lshrrev_b32_e32 v3, s38, v3
	s_delay_alu instid0(VALU_DEP_1) | instskip(SKIP_1) | instid1(VALU_DEP_2)
	v_mul_hi_u32 v4, s40, v3
	v_mul_lo_u32 v7, v3, s36
	v_add_nc_u32_e32 v4, v3, v4
	s_delay_alu instid0(VALU_DEP_2) | instskip(NEXT) | instid1(VALU_DEP_2)
	v_sub_nc_u32_e32 v7, v1, v7
	v_lshrrev_b32_e32 v4, s41, v4
	s_delay_alu instid0(VALU_DEP_2) | instskip(NEXT) | instid1(VALU_DEP_2)
	v_mul_lo_u32 v7, v7, s48
	v_mul_hi_u32 v5, s43, v4
	v_mul_lo_u32 v8, v4, s39
	s_delay_alu instid0(VALU_DEP_2) | instskip(NEXT) | instid1(VALU_DEP_2)
	v_add_nc_u32_e32 v5, v4, v5
	v_sub_nc_u32_e32 v3, v3, v8
	s_delay_alu instid0(VALU_DEP_2) | instskip(NEXT) | instid1(VALU_DEP_2)
	v_lshrrev_b32_e32 v5, s44, v5
	v_mul_lo_u32 v3, v3, s49
	s_delay_alu instid0(VALU_DEP_2) | instskip(NEXT) | instid1(VALU_DEP_2)
	v_mul_hi_u32 v6, s46, v5
	v_add3_u32 v0, v7, v0, v3
	s_delay_alu instid0(VALU_DEP_2) | instskip(NEXT) | instid1(VALU_DEP_1)
	v_add_nc_u32_e32 v6, v5, v6
	v_lshrrev_b32_e32 v1, s47, v6
	v_mul_lo_u32 v6, v5, s42
	s_delay_alu instid0(VALU_DEP_2) | instskip(NEXT) | instid1(VALU_DEP_2)
	v_mul_lo_u32 v9, v1, s45
	v_sub_nc_u32_e32 v4, v4, v6
	s_delay_alu instid0(VALU_DEP_2) | instskip(NEXT) | instid1(VALU_DEP_2)
	v_sub_nc_u32_e32 v5, v5, v9
	v_mul_lo_u32 v4, v4, s50
	s_delay_alu instid0(VALU_DEP_2) | instskip(NEXT) | instid1(VALU_DEP_1)
	v_mul_lo_u32 v5, v5, s51
	v_add3_u32 v0, v4, v0, v5
	s_cbranch_scc0 .LBB29_82
	s_branch .LBB29_96
.LBB29_83:
                                        ; implicit-def: $vgpr0
	s_branch .LBB29_100
.LBB29_84:
	v_mov_b32_e32 v1, v2
.LBB29_85:
	s_and_b32 s30, s30, 3
	s_delay_alu instid0(SALU_CYCLE_1)
	s_cmp_eq_u32 s30, 0
	s_cbranch_scc1 .LBB29_88
; %bb.86:
	s_lshl_b32 s16, s29, 2
	s_mul_i32 s18, s29, 12
	s_add_u32 s16, s16, s0
	s_addc_u32 s17, s1, 0
	s_add_u32 s16, s16, 0xc4
	s_addc_u32 s17, s17, 0
	s_add_u32 s18, s0, s18
	s_addc_u32 s19, s1, 0
	.p2align	6
.LBB29_87:                              ; =>This Inner Loop Header: Depth=1
	s_clause 0x1
	s_load_b64 s[34:35], s[18:19], 0x4
	s_load_b32 s29, s[18:19], 0xc
	s_load_b32 s31, s[16:17], 0x0
	s_add_u32 s18, s18, 12
	s_addc_u32 s19, s19, 0
	s_add_u32 s16, s16, 4
	s_addc_u32 s17, s17, 0
	s_add_i32 s30, s30, -1
	s_delay_alu instid0(SALU_CYCLE_1) | instskip(SKIP_2) | instid1(VALU_DEP_1)
	s_cmp_lg_u32 s30, 0
	s_waitcnt lgkmcnt(0)
	v_mul_hi_u32 v3, s35, v1
	v_add_nc_u32_e32 v3, v1, v3
	s_delay_alu instid0(VALU_DEP_1) | instskip(NEXT) | instid1(VALU_DEP_1)
	v_lshrrev_b32_e32 v5, s29, v3
	v_mul_lo_u32 v3, v5, s34
	s_delay_alu instid0(VALU_DEP_1) | instskip(NEXT) | instid1(VALU_DEP_1)
	v_sub_nc_u32_e32 v1, v1, v3
	v_mad_u64_u32 v[3:4], null, v1, s31, v[0:1]
	s_delay_alu instid0(VALU_DEP_1)
	v_dual_mov_b32 v1, v5 :: v_dual_mov_b32 v0, v3
	s_cbranch_scc1 .LBB29_87
.LBB29_88:
	s_cbranch_execnz .LBB29_91
.LBB29_89:
	s_waitcnt lgkmcnt(0)
	v_mul_hi_u32 v0, s9, v2
	s_and_not1_b32 vcc_lo, exec_lo, s24
	s_delay_alu instid0(VALU_DEP_1) | instskip(NEXT) | instid1(VALU_DEP_1)
	v_add_nc_u32_e32 v0, v2, v0
	v_lshrrev_b32_e32 v1, s10, v0
	s_delay_alu instid0(VALU_DEP_1) | instskip(NEXT) | instid1(VALU_DEP_1)
	v_mul_lo_u32 v0, v1, s8
	v_sub_nc_u32_e32 v0, v2, v0
	s_delay_alu instid0(VALU_DEP_1)
	v_mul_lo_u32 v0, v0, s2
	s_cbranch_vccnz .LBB29_91
; %bb.90:
	v_mul_hi_u32 v3, s12, v1
	s_delay_alu instid0(VALU_DEP_1) | instskip(NEXT) | instid1(VALU_DEP_1)
	v_add_nc_u32_e32 v3, v1, v3
	v_lshrrev_b32_e32 v3, s13, v3
	s_delay_alu instid0(VALU_DEP_1) | instskip(NEXT) | instid1(VALU_DEP_1)
	v_mul_lo_u32 v3, v3, s11
	v_sub_nc_u32_e32 v1, v1, v3
	s_delay_alu instid0(VALU_DEP_1) | instskip(NEXT) | instid1(VALU_DEP_1)
	v_mad_u64_u32 v[3:4], null, v1, s3, v[0:1]
	v_mov_b32_e32 v0, v3
.LBB29_91:
	s_waitcnt lgkmcnt(0)
	v_dual_mov_b32 v3, s6 :: v_dual_mov_b32 v4, s7
	v_add_nc_u32_e32 v2, 0x80, v2
	global_store_b64 v0, v[3:4], s[4:5]
	s_or_b32 exec_lo, exec_lo, s28
	s_delay_alu instid0(SALU_CYCLE_1)
	s_mov_b32 s28, exec_lo
	v_cmpx_gt_i32_e64 s25, v2
	s_cbranch_execnz .LBB29_78
.LBB29_92:
	s_or_b32 exec_lo, exec_lo, s28
	s_delay_alu instid0(SALU_CYCLE_1)
	s_mov_b32 s18, exec_lo
	v_cmpx_gt_i32_e64 s25, v2
	s_cbranch_execnz .LBB29_103
.LBB29_93:
	s_or_b32 exec_lo, exec_lo, s18
                                        ; implicit-def: $vgpr4
                                        ; implicit-def: $vgpr2
	s_waitcnt lgkmcnt(0)
	s_and_not1_saveexec_b32 s2, s23
	s_cbranch_execnz .LBB29_8
.LBB29_94:
	s_nop 0
	s_sendmsg sendmsg(MSG_DEALLOC_VGPRS)
	s_endpgm
.LBB29_95:
	v_mov_b32_e32 v1, v2
.LBB29_96:
	s_and_b32 s30, s30, 3
	s_delay_alu instid0(SALU_CYCLE_1)
	s_cmp_eq_u32 s30, 0
	s_cbranch_scc1 .LBB29_99
; %bb.97:
	s_lshl_b32 s16, s29, 2
	s_mul_i32 s18, s29, 12
	s_add_u32 s16, s16, s0
	s_addc_u32 s17, s1, 0
	s_add_u32 s16, s16, 0xc4
	s_addc_u32 s17, s17, 0
	;; [unrolled: 2-line block ×3, first 2 shown]
	.p2align	6
.LBB29_98:                              ; =>This Inner Loop Header: Depth=1
	s_clause 0x1
	s_load_b64 s[34:35], s[18:19], 0x4
	s_load_b32 s29, s[18:19], 0xc
	s_load_b32 s31, s[16:17], 0x0
	s_add_u32 s18, s18, 12
	s_addc_u32 s19, s19, 0
	s_add_u32 s16, s16, 4
	s_addc_u32 s17, s17, 0
	s_add_i32 s30, s30, -1
	s_delay_alu instid0(SALU_CYCLE_1) | instskip(SKIP_2) | instid1(VALU_DEP_1)
	s_cmp_lg_u32 s30, 0
	s_waitcnt lgkmcnt(0)
	v_mul_hi_u32 v3, s35, v1
	v_add_nc_u32_e32 v3, v1, v3
	s_delay_alu instid0(VALU_DEP_1) | instskip(NEXT) | instid1(VALU_DEP_1)
	v_lshrrev_b32_e32 v5, s29, v3
	v_mul_lo_u32 v3, v5, s34
	s_delay_alu instid0(VALU_DEP_1) | instskip(NEXT) | instid1(VALU_DEP_1)
	v_sub_nc_u32_e32 v1, v1, v3
	v_mad_u64_u32 v[3:4], null, v1, s31, v[0:1]
	s_delay_alu instid0(VALU_DEP_1)
	v_dual_mov_b32 v1, v5 :: v_dual_mov_b32 v0, v3
	s_cbranch_scc1 .LBB29_98
.LBB29_99:
	s_cbranch_execnz .LBB29_102
.LBB29_100:
	s_waitcnt lgkmcnt(0)
	v_mul_hi_u32 v0, s9, v2
	s_and_not1_b32 vcc_lo, exec_lo, s24
	s_delay_alu instid0(VALU_DEP_1) | instskip(NEXT) | instid1(VALU_DEP_1)
	v_add_nc_u32_e32 v0, v2, v0
	v_lshrrev_b32_e32 v1, s10, v0
	s_delay_alu instid0(VALU_DEP_1) | instskip(NEXT) | instid1(VALU_DEP_1)
	v_mul_lo_u32 v0, v1, s8
	v_sub_nc_u32_e32 v0, v2, v0
	s_delay_alu instid0(VALU_DEP_1)
	v_mul_lo_u32 v0, v0, s2
	s_cbranch_vccnz .LBB29_102
; %bb.101:
	v_mul_hi_u32 v3, s12, v1
	s_delay_alu instid0(VALU_DEP_1) | instskip(NEXT) | instid1(VALU_DEP_1)
	v_add_nc_u32_e32 v3, v1, v3
	v_lshrrev_b32_e32 v3, s13, v3
	s_delay_alu instid0(VALU_DEP_1) | instskip(NEXT) | instid1(VALU_DEP_1)
	v_mul_lo_u32 v3, v3, s11
	v_sub_nc_u32_e32 v1, v1, v3
	s_delay_alu instid0(VALU_DEP_1) | instskip(NEXT) | instid1(VALU_DEP_1)
	v_mad_u64_u32 v[3:4], null, v1, s3, v[0:1]
	v_mov_b32_e32 v0, v3
.LBB29_102:
	s_waitcnt lgkmcnt(0)
	v_dual_mov_b32 v3, s6 :: v_dual_mov_b32 v4, s7
	v_add_nc_u32_e32 v2, 0x80, v2
	global_store_b64 v0, v[3:4], s[4:5]
	s_or_b32 exec_lo, exec_lo, s28
	s_delay_alu instid0(SALU_CYCLE_1)
	s_mov_b32 s18, exec_lo
	v_cmpx_gt_i32_e64 s25, v2
	s_cbranch_execz .LBB29_93
.LBB29_103:
	s_and_not1_b32 vcc_lo, exec_lo, s22
	s_cbranch_vccnz .LBB29_108
; %bb.104:
	v_mov_b32_e32 v0, 0
	s_and_not1_b32 vcc_lo, exec_lo, s27
	s_cbranch_vccnz .LBB29_113
; %bb.105:
	s_add_i32 s26, s26, 1
	s_cmp_eq_u32 s21, 2
	s_mov_b32 s19, 0
	s_cbranch_scc1 .LBB29_109
; %bb.106:
	v_dual_mov_b32 v0, 0 :: v_dual_mov_b32 v1, v2
	s_and_b32 s19, s26, 28
	s_mov_b32 s25, 0
	s_mov_b64 s[16:17], s[0:1]
.LBB29_107:                             ; =>This Inner Loop Header: Depth=1
	s_clause 0x1
	s_load_b256 s[36:43], s[16:17], 0x4
	s_load_b128 s[28:31], s[16:17], 0x24
	s_load_b128 s[44:47], s[14:15], 0x0
	s_add_u32 s16, s16, 48
	s_addc_u32 s17, s17, 0
	s_add_i32 s25, s25, 4
	s_add_u32 s14, s14, 16
	s_addc_u32 s15, s15, 0
	s_cmp_eq_u32 s19, s25
	s_waitcnt lgkmcnt(0)
	v_mul_hi_u32 v3, s37, v1
	s_delay_alu instid0(VALU_DEP_1) | instskip(NEXT) | instid1(VALU_DEP_1)
	v_add_nc_u32_e32 v3, v1, v3
	v_lshrrev_b32_e32 v3, s38, v3
	s_delay_alu instid0(VALU_DEP_1) | instskip(SKIP_1) | instid1(VALU_DEP_2)
	v_mul_hi_u32 v4, s40, v3
	v_mul_lo_u32 v7, v3, s36
	v_add_nc_u32_e32 v4, v3, v4
	s_delay_alu instid0(VALU_DEP_2) | instskip(NEXT) | instid1(VALU_DEP_2)
	v_sub_nc_u32_e32 v7, v1, v7
	v_lshrrev_b32_e32 v4, s41, v4
	s_delay_alu instid0(VALU_DEP_2) | instskip(NEXT) | instid1(VALU_DEP_2)
	v_mul_lo_u32 v7, v7, s44
	v_mul_hi_u32 v5, s43, v4
	v_mul_lo_u32 v8, v4, s39
	s_delay_alu instid0(VALU_DEP_2) | instskip(NEXT) | instid1(VALU_DEP_2)
	v_add_nc_u32_e32 v5, v4, v5
	v_sub_nc_u32_e32 v3, v3, v8
	s_delay_alu instid0(VALU_DEP_2) | instskip(NEXT) | instid1(VALU_DEP_2)
	v_lshrrev_b32_e32 v5, s28, v5
	v_mul_lo_u32 v3, v3, s45
	s_delay_alu instid0(VALU_DEP_2) | instskip(NEXT) | instid1(VALU_DEP_2)
	v_mul_hi_u32 v6, s30, v5
	v_add3_u32 v0, v7, v0, v3
	s_delay_alu instid0(VALU_DEP_2) | instskip(NEXT) | instid1(VALU_DEP_1)
	v_add_nc_u32_e32 v6, v5, v6
	v_lshrrev_b32_e32 v1, s31, v6
	v_mul_lo_u32 v6, v5, s42
	s_delay_alu instid0(VALU_DEP_2) | instskip(NEXT) | instid1(VALU_DEP_2)
	v_mul_lo_u32 v9, v1, s29
	v_sub_nc_u32_e32 v4, v4, v6
	s_delay_alu instid0(VALU_DEP_2) | instskip(NEXT) | instid1(VALU_DEP_2)
	v_sub_nc_u32_e32 v5, v5, v9
	v_mul_lo_u32 v4, v4, s46
	s_delay_alu instid0(VALU_DEP_2) | instskip(NEXT) | instid1(VALU_DEP_1)
	v_mul_lo_u32 v5, v5, s47
	v_add3_u32 v0, v4, v0, v5
	s_cbranch_scc0 .LBB29_107
	s_branch .LBB29_110
.LBB29_108:
                                        ; implicit-def: $vgpr0
	s_branch .LBB29_114
.LBB29_109:
	v_mov_b32_e32 v1, v2
.LBB29_110:
	s_and_b32 s25, s26, 3
	s_delay_alu instid0(SALU_CYCLE_1)
	s_cmp_eq_u32 s25, 0
	s_cbranch_scc1 .LBB29_113
; %bb.111:
	s_lshl_b32 s14, s19, 2
	s_mul_i32 s16, s19, 12
	s_add_u32 s14, s14, s0
	s_addc_u32 s15, s1, 0
	s_add_u32 s14, s14, 0xc4
	s_addc_u32 s15, s15, 0
	;; [unrolled: 2-line block ×3, first 2 shown]
	.p2align	6
.LBB29_112:                             ; =>This Inner Loop Header: Depth=1
	s_clause 0x1
	s_load_b64 s[26:27], s[16:17], 0x4
	s_load_b32 s19, s[16:17], 0xc
	s_add_u32 s16, s16, 12
	s_addc_u32 s17, s17, 0
	s_waitcnt lgkmcnt(0)
	v_mul_hi_u32 v3, s27, v1
	s_load_b32 s27, s[14:15], 0x0
	s_add_u32 s14, s14, 4
	s_addc_u32 s15, s15, 0
	s_add_i32 s25, s25, -1
	s_delay_alu instid0(SALU_CYCLE_1) | instskip(NEXT) | instid1(VALU_DEP_1)
	s_cmp_lg_u32 s25, 0
	v_add_nc_u32_e32 v3, v1, v3
	s_delay_alu instid0(VALU_DEP_1) | instskip(NEXT) | instid1(VALU_DEP_1)
	v_lshrrev_b32_e32 v5, s19, v3
	v_mul_lo_u32 v3, v5, s26
	s_delay_alu instid0(VALU_DEP_1) | instskip(SKIP_1) | instid1(VALU_DEP_1)
	v_sub_nc_u32_e32 v1, v1, v3
	s_waitcnt lgkmcnt(0)
	v_mad_u64_u32 v[3:4], null, v1, s27, v[0:1]
	s_delay_alu instid0(VALU_DEP_1)
	v_dual_mov_b32 v1, v5 :: v_dual_mov_b32 v0, v3
	s_cbranch_scc1 .LBB29_112
.LBB29_113:
	s_cbranch_execnz .LBB29_116
.LBB29_114:
	s_waitcnt lgkmcnt(0)
	v_mul_hi_u32 v0, s9, v2
	s_and_not1_b32 vcc_lo, exec_lo, s24
	s_delay_alu instid0(VALU_DEP_1) | instskip(NEXT) | instid1(VALU_DEP_1)
	v_add_nc_u32_e32 v0, v2, v0
	v_lshrrev_b32_e32 v1, s10, v0
	s_delay_alu instid0(VALU_DEP_1) | instskip(NEXT) | instid1(VALU_DEP_1)
	v_mul_lo_u32 v0, v1, s8
	v_sub_nc_u32_e32 v0, v2, v0
	s_delay_alu instid0(VALU_DEP_1)
	v_mul_lo_u32 v0, v0, s2
	s_cbranch_vccnz .LBB29_116
; %bb.115:
	v_mul_hi_u32 v2, s12, v1
	s_delay_alu instid0(VALU_DEP_1) | instskip(NEXT) | instid1(VALU_DEP_1)
	v_add_nc_u32_e32 v2, v1, v2
	v_lshrrev_b32_e32 v2, s13, v2
	s_delay_alu instid0(VALU_DEP_1) | instskip(NEXT) | instid1(VALU_DEP_1)
	v_mul_lo_u32 v2, v2, s11
	v_sub_nc_u32_e32 v3, v1, v2
	s_delay_alu instid0(VALU_DEP_1) | instskip(NEXT) | instid1(VALU_DEP_1)
	v_mad_u64_u32 v[1:2], null, v3, s3, v[0:1]
	v_mov_b32_e32 v0, v1
.LBB29_116:
	s_waitcnt lgkmcnt(0)
	v_dual_mov_b32 v1, s6 :: v_dual_mov_b32 v2, s7
	global_store_b64 v0, v[1:2], s[4:5]
	s_or_b32 exec_lo, exec_lo, s18
                                        ; implicit-def: $vgpr4
                                        ; implicit-def: $vgpr2
	s_and_not1_saveexec_b32 s2, s23
	s_cbranch_execz .LBB29_94
	s_branch .LBB29_8
	.section	.rodata,"a",@progbits
	.p2align	6, 0x0
	.amdhsa_kernel _ZN2at6native32elementwise_kernel_manual_unrollILi128ELi4EZNS0_22gpu_kernel_impl_nocastINS0_11FillFunctorIlEEEEvRNS_18TensorIteratorBaseERKT_EUlibE_EEviT1_
		.amdhsa_group_segment_fixed_size 0
		.amdhsa_private_segment_fixed_size 0
		.amdhsa_kernarg_size 288
		.amdhsa_user_sgpr_count 15
		.amdhsa_user_sgpr_dispatch_ptr 0
		.amdhsa_user_sgpr_queue_ptr 0
		.amdhsa_user_sgpr_kernarg_segment_ptr 1
		.amdhsa_user_sgpr_dispatch_id 0
		.amdhsa_user_sgpr_private_segment_size 0
		.amdhsa_wavefront_size32 1
		.amdhsa_uses_dynamic_stack 0
		.amdhsa_enable_private_segment 0
		.amdhsa_system_sgpr_workgroup_id_x 1
		.amdhsa_system_sgpr_workgroup_id_y 0
		.amdhsa_system_sgpr_workgroup_id_z 0
		.amdhsa_system_sgpr_workgroup_info 0
		.amdhsa_system_vgpr_workitem_id 0
		.amdhsa_next_free_vgpr 14
		.amdhsa_next_free_sgpr 52
		.amdhsa_reserve_vcc 1
		.amdhsa_float_round_mode_32 0
		.amdhsa_float_round_mode_16_64 0
		.amdhsa_float_denorm_mode_32 3
		.amdhsa_float_denorm_mode_16_64 3
		.amdhsa_dx10_clamp 1
		.amdhsa_ieee_mode 1
		.amdhsa_fp16_overflow 0
		.amdhsa_workgroup_processor_mode 1
		.amdhsa_memory_ordered 1
		.amdhsa_forward_progress 0
		.amdhsa_shared_vgpr_count 0
		.amdhsa_exception_fp_ieee_invalid_op 0
		.amdhsa_exception_fp_denorm_src 0
		.amdhsa_exception_fp_ieee_div_zero 0
		.amdhsa_exception_fp_ieee_overflow 0
		.amdhsa_exception_fp_ieee_underflow 0
		.amdhsa_exception_fp_ieee_inexact 0
		.amdhsa_exception_int_div_zero 0
	.end_amdhsa_kernel
	.section	.text._ZN2at6native32elementwise_kernel_manual_unrollILi128ELi4EZNS0_22gpu_kernel_impl_nocastINS0_11FillFunctorIlEEEEvRNS_18TensorIteratorBaseERKT_EUlibE_EEviT1_,"axG",@progbits,_ZN2at6native32elementwise_kernel_manual_unrollILi128ELi4EZNS0_22gpu_kernel_impl_nocastINS0_11FillFunctorIlEEEEvRNS_18TensorIteratorBaseERKT_EUlibE_EEviT1_,comdat
.Lfunc_end29:
	.size	_ZN2at6native32elementwise_kernel_manual_unrollILi128ELi4EZNS0_22gpu_kernel_impl_nocastINS0_11FillFunctorIlEEEEvRNS_18TensorIteratorBaseERKT_EUlibE_EEviT1_, .Lfunc_end29-_ZN2at6native32elementwise_kernel_manual_unrollILi128ELi4EZNS0_22gpu_kernel_impl_nocastINS0_11FillFunctorIlEEEEvRNS_18TensorIteratorBaseERKT_EUlibE_EEviT1_
                                        ; -- End function
	.section	.AMDGPU.csdata,"",@progbits
; Kernel info:
; codeLenInByte = 5916
; NumSgprs: 54
; NumVgprs: 14
; ScratchSize: 0
; MemoryBound: 0
; FloatMode: 240
; IeeeMode: 1
; LDSByteSize: 0 bytes/workgroup (compile time only)
; SGPRBlocks: 6
; VGPRBlocks: 1
; NumSGPRsForWavesPerEU: 54
; NumVGPRsForWavesPerEU: 14
; Occupancy: 16
; WaveLimiterHint : 1
; COMPUTE_PGM_RSRC2:SCRATCH_EN: 0
; COMPUTE_PGM_RSRC2:USER_SGPR: 15
; COMPUTE_PGM_RSRC2:TRAP_HANDLER: 0
; COMPUTE_PGM_RSRC2:TGID_X_EN: 1
; COMPUTE_PGM_RSRC2:TGID_Y_EN: 0
; COMPUTE_PGM_RSRC2:TGID_Z_EN: 0
; COMPUTE_PGM_RSRC2:TIDIG_COMP_CNT: 0
	.section	.text._ZN2at6native32elementwise_kernel_manual_unrollILi128ELi4EZNS0_15gpu_kernel_implINS0_11FillFunctorIlEEEEvRNS_18TensorIteratorBaseERKT_EUlibE_EEviT1_,"axG",@progbits,_ZN2at6native32elementwise_kernel_manual_unrollILi128ELi4EZNS0_15gpu_kernel_implINS0_11FillFunctorIlEEEEvRNS_18TensorIteratorBaseERKT_EUlibE_EEviT1_,comdat
	.protected	_ZN2at6native32elementwise_kernel_manual_unrollILi128ELi4EZNS0_15gpu_kernel_implINS0_11FillFunctorIlEEEEvRNS_18TensorIteratorBaseERKT_EUlibE_EEviT1_ ; -- Begin function _ZN2at6native32elementwise_kernel_manual_unrollILi128ELi4EZNS0_15gpu_kernel_implINS0_11FillFunctorIlEEEEvRNS_18TensorIteratorBaseERKT_EUlibE_EEviT1_
	.globl	_ZN2at6native32elementwise_kernel_manual_unrollILi128ELi4EZNS0_15gpu_kernel_implINS0_11FillFunctorIlEEEEvRNS_18TensorIteratorBaseERKT_EUlibE_EEviT1_
	.p2align	8
	.type	_ZN2at6native32elementwise_kernel_manual_unrollILi128ELi4EZNS0_15gpu_kernel_implINS0_11FillFunctorIlEEEEvRNS_18TensorIteratorBaseERKT_EUlibE_EEviT1_,@function
_ZN2at6native32elementwise_kernel_manual_unrollILi128ELi4EZNS0_15gpu_kernel_implINS0_11FillFunctorIlEEEEvRNS_18TensorIteratorBaseERKT_EUlibE_EEviT1_: ; @_ZN2at6native32elementwise_kernel_manual_unrollILi128ELi4EZNS0_15gpu_kernel_implINS0_11FillFunctorIlEEEEvRNS_18TensorIteratorBaseERKT_EUlibE_EEviT1_
; %bb.0:
	s_clause 0x4
	s_load_b32 s28, s[0:1], 0x0
	s_load_b64 s[4:5], s[0:1], 0x8
	s_load_b32 s6, s[0:1], 0x10
	s_load_b64 s[2:3], s[0:1], 0x18
	s_load_b32 s9, s[0:1], 0x20
	v_lshl_or_b32 v15, s15, 9, v0
	s_mov_b32 s8, 0
	s_mov_b32 s1, 0
	s_mov_b32 s0, exec_lo
	s_delay_alu instid0(VALU_DEP_1) | instskip(SKIP_1) | instid1(VALU_DEP_1)
	v_or_b32_e32 v0, 0x180, v15
	s_waitcnt lgkmcnt(0)
	v_cmpx_le_i32_e64 s28, v0
	s_xor_b32 s7, exec_lo, s0
	s_cbranch_execz .LBB30_151
; %bb.1:
	v_cvt_f64_i32_e32 v[0:1], s3
	s_xor_b32 s1, s2, s3
	s_cls_i32 s0, s3
	s_ashr_i32 s1, s1, 31
	s_add_i32 s0, s0, -1
	s_add_i32 s1, s1, 32
	s_mov_b32 s33, -1
	s_min_u32 s10, s0, s1
	s_mov_b32 s31, 0
	s_lshl_b64 s[0:1], s[2:3], s10
	s_mov_b32 s29, 0
	s_min_u32 s0, s0, 1
	s_mov_b32 s30, exec_lo
	s_or_b32 s0, s1, s0
	s_delay_alu instid0(SALU_CYCLE_1)
	v_cvt_f32_i32_e32 v2, s0
	s_sub_i32 s0, 32, s10
	s_delay_alu instid0(VALU_DEP_1) | instid1(SALU_CYCLE_1)
	v_ldexp_f32 v4, v2, s0
	s_delay_alu instid0(VALU_DEP_1)
	v_bfe_u32 v5, v4, 23, 8
	v_and_b32_e32 v2, 0x3fffff, v4
	v_and_b32_e32 v3, 0x400000, v4
	v_readfirstlane_b32 s1, v4
	v_add_f32_e64 v14, 0x46000000, |v4|
	v_add_f32_e64 v13, 0x42800000, |v4|
	v_or_b32_e32 v2, v5, v2
	v_cmp_ne_u32_e32 vcc_lo, 0, v3
	s_and_b32 s15, s1, 0x7fffffff
	v_lshrrev_b32_e32 v6, 23, v4
	v_readfirstlane_b32 s13, v13
	v_cmp_ne_u32_e64 s0, 0, v2
	v_cvt_f64_u32_e32 v[2:3], s2
	v_ldexp_f64 v[0:1], v[0:1], 32
	v_cvt_f16_f32_e32 v8, v4
	s_delay_alu instid0(VALU_DEP_4)
	s_and_b32 s11, vcc_lo, s0
	s_cmp_lt_u32 s15, 0x43800000
	v_readfirstlane_b32 s0, v14
	s_cselect_b32 s26, -1, 0
	s_cmp_gt_u32 s15, 0x3bffffff
	v_and_b32_e32 v9, 0xffff, v8
	s_cselect_b32 s24, -1, 0
	s_bfe_u32 s10, s1, 0x10014
	s_and_b32 s0, s0, 0xff
	s_add_i32 s12, s1, s10
	s_delay_alu instid0(SALU_CYCLE_1) | instskip(NEXT) | instid1(SALU_CYCLE_1)
	s_add_i32 s10, s12, 0x487ffff
	s_lshr_b32 s25, s10, 20
	s_cmp_lg_u32 s0, 0
	s_cselect_b32 s27, -1, 0
	s_cmp_gt_u32 s15, 0x477fffff
	s_cselect_b32 s10, -1, 0
	s_cmp_lt_u32 s15, 0x47800000
	s_cselect_b32 s21, -1, 0
	s_cmp_gt_u32 s15, 0x37ffffff
	s_cselect_b32 s17, -1, 0
	s_bfe_u32 s0, s1, 0x10015
	s_and_b32 s13, s13, 0xff
	s_add_i32 s1, s1, s0
	s_delay_alu instid0(SALU_CYCLE_1) | instskip(NEXT) | instid1(SALU_CYCLE_1)
	s_add_i32 s0, s1, 0x88fffff
	s_lshr_b32 s19, s0, 21
	s_cmp_lg_u32 s13, 0
	v_cmp_eq_u32_e64 s0, 0xff, v5
	v_add_f64 v[0:1], v[0:1], v[2:3]
	s_cselect_b32 s23, -1, 0
	s_cmp_gt_u32 s15, 0x43efffff
	v_cndmask_b32_e64 v2, 0, 1, s11
	s_cselect_b32 s13, -1, 0
	s_cmp_lt_u32 s15, 0x3c800000
	v_lshrrev_b32_e32 v3, 24, v4
	s_cselect_b32 s14, -1, 0
	s_add_i32 s12, s12, 0x407ffff
	v_add_nc_u32_e32 v16, v6, v2
	s_and_b32 s11, s12, 0xff00000
	s_lshr_b32 s12, s12, 20
	s_cmp_lg_u32 s11, 0x7f00000
	v_bfe_u32 v2, v4, 16, 1
	s_cselect_b32 s18, s12, 0x7e
	s_cmp_lt_u32 s15, 0x38800000
	v_and_b32_e32 v12, 0x80, v3
	s_cselect_b32 s11, -1, 0
	s_add_i32 s1, s1, 0x80fffff
	v_add_nc_u32_e32 v2, v4, v2
	s_lshr_b32 s12, s1, 21
	s_cmp_gt_u32 s15, 0x7f800000
	s_movk_i32 s1, 0x7f
	v_add_f32_e64 v3, 0x46800000, |v4|
	s_cselect_b32 s20, s1, 0x7e
	s_movk_i32 s1, 0x7c
	v_add_f32_e64 v5, 0x43000000, |v4|
	v_add_nc_u32_e32 v2, 0x7fff, v2
	s_cselect_b32 s15, 0x7f, s1
	s_cmp_lg_u64 s[2:3], 0
	v_readfirstlane_b32 s22, v3
	s_cselect_b32 s1, -1, 0
	v_readfirstlane_b32 s16, v5
	v_lshrrev_b32_e32 v11, 16, v2
	v_cndmask_b32_e64 v10, 0, 1, s1
	v_cmpx_gt_i32_e64 s28, v15
	s_cbranch_execz .LBB30_100
; %bb.2:
	v_mul_lo_u32 v2, v15, s6
	v_and_b32_e64 v17, 0xff, s9
	s_delay_alu instid0(VALU_DEP_1) | instskip(NEXT) | instid1(VALU_DEP_3)
	v_cmp_gt_i16_e32 vcc_lo, 11, v17
	v_ashrrev_i32_e32 v3, 31, v2
	v_add_co_u32 v6, s1, s4, v2
	s_delay_alu instid0(VALU_DEP_1)
	v_add_co_ci_u32_e64 v7, s1, s5, v3, s1
	s_cbranch_vccnz .LBB30_9
; %bb.3:
	v_cmp_lt_i16_e32 vcc_lo, 25, v17
	s_cbranch_vccz .LBB30_12
; %bb.4:
	v_cmp_lt_i16_e32 vcc_lo, 28, v17
	s_cbranch_vccz .LBB30_13
; %bb.5:
	v_cmp_lt_i16_e32 vcc_lo, 43, v17
	s_cbranch_vccz .LBB30_14
; %bb.6:
	v_cmp_lt_i16_e32 vcc_lo, 45, v17
	s_cbranch_vccz .LBB30_15
; %bb.7:
	v_cmp_eq_u16_e32 vcc_lo, 46, v17
	s_mov_b32 s33, 0
	s_mov_b32 s1, -1
	s_cbranch_vccz .LBB30_16
; %bb.8:
	s_mov_b32 s29, -1
	s_mov_b32 s1, 0
	global_store_b32 v[6:7], v11, off
	s_branch .LBB30_16
.LBB30_9:
	s_mov_b32 s1, 0
	s_and_b32 vcc_lo, exec_lo, s33
	s_cbranch_vccnz .LBB30_60
.LBB30_10:
	s_and_not1_b32 vcc_lo, exec_lo, s29
	s_cbranch_vccnz .LBB30_98
.LBB30_11:
	v_add_nc_u32_e32 v15, 0x80, v15
	s_mov_b32 s33, -1
	s_branch .LBB30_99
.LBB30_12:
	s_mov_b32 s1, 0
	s_and_b32 vcc_lo, exec_lo, s33
	s_cbranch_vccnz .LBB30_38
	s_branch .LBB30_59
.LBB30_13:
	s_mov_b32 s1, 0
	s_branch .LBB30_24
.LBB30_14:
	s_mov_b32 s1, 0
	s_branch .LBB30_20
.LBB30_15:
	s_mov_b32 s1, 0
.LBB30_16:
	s_and_b32 vcc_lo, exec_lo, s33
	s_cbranch_vccz .LBB30_19
; %bb.17:
	v_cmp_eq_u16_e32 vcc_lo, 44, v17
	s_mov_b32 s1, -1
	s_cbranch_vccz .LBB30_19
; %bb.18:
	v_cndmask_b32_e64 v2, v16, 0xff, s0
	s_mov_b32 s29, -1
	s_mov_b32 s1, 0
	s_mov_b32 s33, 0
	global_store_b8 v[6:7], v2, off
	s_branch .LBB30_20
.LBB30_19:
	s_mov_b32 s33, 0
.LBB30_20:
	s_delay_alu instid0(SALU_CYCLE_1)
	s_and_b32 vcc_lo, exec_lo, s33
	s_cbranch_vccz .LBB30_23
; %bb.21:
	v_cmp_eq_u16_e32 vcc_lo, 29, v17
	s_mov_b32 s1, -1
	s_cbranch_vccz .LBB30_23
; %bb.22:
	v_dual_mov_b32 v2, s2 :: v_dual_mov_b32 v3, s3
	s_mov_b32 s29, -1
	s_mov_b32 s1, 0
	s_mov_b32 s33, 0
	global_store_b64 v[6:7], v[2:3], off
	s_branch .LBB30_24
.LBB30_23:
	s_mov_b32 s33, 0
.LBB30_24:
	s_delay_alu instid0(SALU_CYCLE_1)
	s_and_b32 vcc_lo, exec_lo, s33
	s_cbranch_vccz .LBB30_37
; %bb.25:
	v_cmp_gt_i16_e32 vcc_lo, 27, v17
	s_mov_b32 s29, -1
	s_cbranch_vccnz .LBB30_31
; %bb.26:
	v_cmp_lt_i16_e32 vcc_lo, 27, v17
	s_cbranch_vccz .LBB30_28
; %bb.27:
	v_mov_b32_e32 v2, s2
	s_mov_b32 s29, 0
	global_store_b32 v[6:7], v2, off
.LBB30_28:
	s_and_not1_b32 vcc_lo, exec_lo, s29
	s_cbranch_vccnz .LBB30_30
; %bb.29:
	v_mov_b32_e32 v2, s2
	global_store_b16 v[6:7], v2, off
.LBB30_30:
	s_mov_b32 s29, 0
.LBB30_31:
	s_delay_alu instid0(SALU_CYCLE_1)
	s_and_not1_b32 vcc_lo, exec_lo, s29
	s_cbranch_vccnz .LBB30_36
; %bb.32:
	v_mov_b32_e32 v2, 0x80
	s_and_not1_b32 vcc_lo, exec_lo, s26
	s_cbranch_vccnz .LBB30_35
; %bb.33:
	v_mov_b32_e32 v2, 0
	s_or_b32 s29, s24, s27
	s_delay_alu instid0(SALU_CYCLE_1)
	s_and_not1_b32 vcc_lo, exec_lo, s29
	s_cbranch_vccnz .LBB30_35
; %bb.34:
	v_cndmask_b32_e64 v2, v14, s25, s24
	s_delay_alu instid0(VALU_DEP_1)
	v_or_b32_e32 v2, v2, v12
.LBB30_35:
	global_store_b8 v[6:7], v2, off
.LBB30_36:
	s_mov_b32 s29, -1
.LBB30_37:
	s_branch .LBB30_59
.LBB30_38:
	v_cmp_lt_i16_e32 vcc_lo, 22, v17
	s_mov_b32 s33, -1
	s_cbranch_vccz .LBB30_51
; %bb.39:
	v_cmp_gt_i16_e32 vcc_lo, 24, v17
	s_mov_b32 s29, -1
	s_cbranch_vccnz .LBB30_48
; %bb.40:
	v_cmp_lt_i16_e32 vcc_lo, 24, v17
	s_cbranch_vccz .LBB30_45
; %bb.41:
	v_mov_b32_e32 v2, 0x80
	s_and_not1_b32 vcc_lo, exec_lo, s21
	s_cbranch_vccnz .LBB30_44
; %bb.42:
	v_mov_b32_e32 v2, 0
	s_or_b32 s29, s17, s23
	s_delay_alu instid0(SALU_CYCLE_1)
	s_and_not1_b32 vcc_lo, exec_lo, s29
	s_cbranch_vccnz .LBB30_44
; %bb.43:
	v_cndmask_b32_e64 v2, v13, s19, s17
	s_delay_alu instid0(VALU_DEP_1)
	v_or_b32_e32 v2, v2, v12
.LBB30_44:
	s_mov_b32 s29, 0
	global_store_b8 v[6:7], v2, off
.LBB30_45:
	s_and_b32 vcc_lo, exec_lo, s29
	s_cbranch_vccz .LBB30_47
; %bb.46:
	s_and_b32 s29, s14, exec_lo
	s_cselect_b32 s29, s22, s18
	s_and_b32 s33, s13, exec_lo
	s_cselect_b32 s29, s20, s29
	s_delay_alu instid0(SALU_CYCLE_1)
	v_or_b32_e32 v2, s29, v12
	global_store_b8 v[6:7], v2, off
.LBB30_47:
	s_mov_b32 s29, 0
.LBB30_48:
	s_delay_alu instid0(SALU_CYCLE_1)
	s_and_not1_b32 vcc_lo, exec_lo, s29
	s_cbranch_vccnz .LBB30_50
; %bb.49:
	s_and_b32 s29, s11, exec_lo
	s_cselect_b32 s29, s16, s12
	s_and_b32 s33, s10, exec_lo
	s_cselect_b32 s29, s15, s29
	s_delay_alu instid0(SALU_CYCLE_1)
	v_or_b32_e32 v2, s29, v12
	global_store_b8 v[6:7], v2, off
.LBB30_50:
	s_mov_b32 s33, 0
	s_mov_b32 s29, -1
.LBB30_51:
	s_and_not1_b32 vcc_lo, exec_lo, s33
	s_cbranch_vccnz .LBB30_59
; %bb.52:
	v_cmp_lt_i16_e32 vcc_lo, 14, v17
	s_mov_b32 s33, -1
	s_cbranch_vccz .LBB30_56
; %bb.53:
	v_cmp_eq_u16_e32 vcc_lo, 15, v17
	s_mov_b32 s1, -1
	s_cbranch_vccz .LBB30_55
; %bb.54:
	s_mov_b32 s29, -1
	s_mov_b32 s1, 0
	global_store_b16 v[6:7], v11, off
.LBB30_55:
	s_mov_b32 s33, 0
.LBB30_56:
	s_delay_alu instid0(SALU_CYCLE_1)
	s_and_b32 vcc_lo, exec_lo, s33
	s_cbranch_vccz .LBB30_59
; %bb.57:
	v_cmp_eq_u16_e32 vcc_lo, 11, v17
	s_mov_b32 s1, -1
	s_cbranch_vccz .LBB30_59
; %bb.58:
	s_mov_b32 s29, -1
	s_mov_b32 s1, 0
	global_store_b8 v[6:7], v10, off
.LBB30_59:
	s_branch .LBB30_10
.LBB30_60:
	v_cmp_gt_i16_e32 vcc_lo, 5, v17
	s_mov_b32 s29, -1
	s_cbranch_vccnz .LBB30_81
; %bb.61:
	v_cmp_gt_i16_e32 vcc_lo, 8, v17
	s_cbranch_vccnz .LBB30_71
; %bb.62:
	v_cmp_gt_i16_e32 vcc_lo, 9, v17
	s_cbranch_vccnz .LBB30_68
; %bb.63:
	v_cmp_lt_i16_e32 vcc_lo, 9, v17
	s_cbranch_vccz .LBB30_65
; %bb.64:
	v_mov_b32_e32 v2, 0
	s_mov_b32 s29, 0
	s_delay_alu instid0(VALU_DEP_1)
	v_mov_b32_e32 v3, v2
	global_store_b128 v[6:7], v[0:3], off
.LBB30_65:
	s_and_not1_b32 vcc_lo, exec_lo, s29
	s_cbranch_vccnz .LBB30_67
; %bb.66:
	v_mov_b32_e32 v5, 0
	global_store_b64 v[6:7], v[4:5], off
.LBB30_67:
	s_mov_b32 s29, 0
.LBB30_68:
	s_delay_alu instid0(SALU_CYCLE_1)
	s_and_not1_b32 vcc_lo, exec_lo, s29
	s_cbranch_vccnz .LBB30_70
; %bb.69:
	global_store_b32 v[6:7], v9, off
.LBB30_70:
	s_mov_b32 s29, 0
.LBB30_71:
	s_delay_alu instid0(SALU_CYCLE_1)
	s_and_not1_b32 vcc_lo, exec_lo, s29
	s_cbranch_vccnz .LBB30_80
; %bb.72:
	v_cmp_gt_i16_e32 vcc_lo, 6, v17
	s_mov_b32 s29, -1
	s_cbranch_vccnz .LBB30_78
; %bb.73:
	v_cmp_lt_i16_e32 vcc_lo, 6, v17
	s_cbranch_vccz .LBB30_75
; %bb.74:
	s_mov_b32 s29, 0
	global_store_b64 v[6:7], v[0:1], off
.LBB30_75:
	s_and_not1_b32 vcc_lo, exec_lo, s29
	s_cbranch_vccnz .LBB30_77
; %bb.76:
	global_store_b32 v[6:7], v4, off
.LBB30_77:
	s_mov_b32 s29, 0
.LBB30_78:
	s_delay_alu instid0(SALU_CYCLE_1)
	s_and_not1_b32 vcc_lo, exec_lo, s29
	s_cbranch_vccnz .LBB30_80
; %bb.79:
	global_store_b16 v[6:7], v8, off
.LBB30_80:
	s_mov_b32 s29, 0
.LBB30_81:
	s_delay_alu instid0(SALU_CYCLE_1)
	s_and_not1_b32 vcc_lo, exec_lo, s29
	s_cbranch_vccnz .LBB30_97
; %bb.82:
	v_cmp_gt_i16_e32 vcc_lo, 2, v17
	s_mov_b32 s29, -1
	s_cbranch_vccnz .LBB30_92
; %bb.83:
	v_cmp_gt_i16_e32 vcc_lo, 3, v17
	s_cbranch_vccnz .LBB30_89
; %bb.84:
	v_cmp_lt_i16_e32 vcc_lo, 3, v17
	s_cbranch_vccz .LBB30_86
; %bb.85:
	v_dual_mov_b32 v2, s2 :: v_dual_mov_b32 v3, s3
	s_mov_b32 s29, 0
	global_store_b64 v[6:7], v[2:3], off
.LBB30_86:
	s_and_not1_b32 vcc_lo, exec_lo, s29
	s_cbranch_vccnz .LBB30_88
; %bb.87:
	v_mov_b32_e32 v2, s2
	global_store_b32 v[6:7], v2, off
.LBB30_88:
	s_mov_b32 s29, 0
.LBB30_89:
	s_delay_alu instid0(SALU_CYCLE_1)
	s_and_not1_b32 vcc_lo, exec_lo, s29
	s_cbranch_vccnz .LBB30_91
; %bb.90:
	v_mov_b32_e32 v2, s2
	global_store_b16 v[6:7], v2, off
.LBB30_91:
	s_mov_b32 s29, 0
.LBB30_92:
	s_delay_alu instid0(SALU_CYCLE_1)
	s_and_not1_b32 vcc_lo, exec_lo, s29
	s_cbranch_vccnz .LBB30_97
; %bb.93:
	v_cmp_lt_i16_e32 vcc_lo, 0, v17
	s_mov_b32 s29, -1
	s_cbranch_vccz .LBB30_95
; %bb.94:
	v_mov_b32_e32 v2, s2
	s_mov_b32 s29, 0
	global_store_b8 v[6:7], v2, off
.LBB30_95:
	s_and_not1_b32 vcc_lo, exec_lo, s29
	s_cbranch_vccnz .LBB30_97
; %bb.96:
	v_mov_b32_e32 v2, s2
	global_store_b8 v[6:7], v2, off
.LBB30_97:
	s_branch .LBB30_11
.LBB30_98:
	s_mov_b32 s33, 0
                                        ; implicit-def: $vgpr15
.LBB30_99:
	s_and_b32 s29, s1, exec_lo
	s_or_not1_b32 s33, s33, exec_lo
.LBB30_100:
	s_or_b32 exec_lo, exec_lo, s30
	s_mov_b32 s1, 0
                                        ; implicit-def: $vgpr17
                                        ; implicit-def: $vgpr6_vgpr7
	s_and_saveexec_b32 s30, s33
	s_cbranch_execz .LBB30_109
; %bb.101:
	s_mov_b32 s1, -1
	s_mov_b32 s31, s29
	s_mov_b32 s33, exec_lo
	v_cmpx_gt_i32_e64 s28, v15
	s_cbranch_execz .LBB30_326
; %bb.102:
	v_mul_lo_u32 v2, v15, s6
	v_and_b32_e64 v17, 0xff, s9
	s_delay_alu instid0(VALU_DEP_1) | instskip(NEXT) | instid1(VALU_DEP_3)
	v_cmp_gt_i16_e32 vcc_lo, 11, v17
	v_ashrrev_i32_e32 v3, 31, v2
	v_add_co_u32 v6, s1, s4, v2
	s_delay_alu instid0(VALU_DEP_1)
	v_add_co_ci_u32_e64 v7, s1, s5, v3, s1
	s_cbranch_vccnz .LBB30_219
; %bb.103:
	v_cmp_lt_i16_e32 vcc_lo, 25, v17
	s_cbranch_vccz .LBB30_222
; %bb.104:
	v_cmp_lt_i16_e32 vcc_lo, 28, v17
	s_cbranch_vccz .LBB30_223
	;; [unrolled: 3-line block ×4, first 2 shown]
; %bb.107:
	v_cmp_eq_u16_e32 vcc_lo, 46, v17
	s_mov_b32 s34, 0
	s_mov_b32 s1, -1
	s_mov_b32 s31, 0
	s_cbranch_vccz .LBB30_241
; %bb.108:
	s_mov_b32 s31, -1
	s_mov_b32 s1, 0
	global_store_b32 v[6:7], v11, off
	s_branch .LBB30_241
.LBB30_109:
	s_or_b32 exec_lo, exec_lo, s30
	s_mov_b32 s0, 0
	s_and_saveexec_b32 s10, s29
	s_cbranch_execnz .LBB30_791
.LBB30_110:
	s_or_b32 exec_lo, exec_lo, s10
	s_and_saveexec_b32 s10, s31
	s_delay_alu instid0(SALU_CYCLE_1)
	s_xor_b32 s10, exec_lo, s10
	s_cbranch_execz .LBB30_112
.LBB30_111:
	global_store_b8 v[6:7], v10, off
.LBB30_112:
	s_or_b32 exec_lo, exec_lo, s10
	s_and_saveexec_b32 s10, s1
	s_delay_alu instid0(SALU_CYCLE_1)
	s_xor_b32 s1, exec_lo, s10
	s_cbranch_execz .LBB30_150
; %bb.113:
	v_cmp_gt_i16_e32 vcc_lo, 5, v17
	s_mov_b32 s10, -1
	s_cbranch_vccnz .LBB30_134
; %bb.114:
	v_cmp_gt_i16_e32 vcc_lo, 8, v17
	s_cbranch_vccnz .LBB30_124
; %bb.115:
	v_cmp_gt_i16_e32 vcc_lo, 9, v17
	s_cbranch_vccnz .LBB30_121
; %bb.116:
	v_cmp_lt_i16_e32 vcc_lo, 9, v17
	s_cbranch_vccz .LBB30_118
; %bb.117:
	v_mov_b32_e32 v2, 0
	s_mov_b32 s10, 0
	s_delay_alu instid0(VALU_DEP_1)
	v_mov_b32_e32 v3, v2
	global_store_b128 v[6:7], v[0:3], off
.LBB30_118:
	s_and_not1_b32 vcc_lo, exec_lo, s10
	s_cbranch_vccnz .LBB30_120
; %bb.119:
	v_mov_b32_e32 v5, 0
	global_store_b64 v[6:7], v[4:5], off
.LBB30_120:
	s_mov_b32 s10, 0
.LBB30_121:
	s_delay_alu instid0(SALU_CYCLE_1)
	s_and_not1_b32 vcc_lo, exec_lo, s10
	s_cbranch_vccnz .LBB30_123
; %bb.122:
	global_store_b32 v[6:7], v9, off
.LBB30_123:
	s_mov_b32 s10, 0
.LBB30_124:
	s_delay_alu instid0(SALU_CYCLE_1)
	s_and_not1_b32 vcc_lo, exec_lo, s10
	s_cbranch_vccnz .LBB30_133
; %bb.125:
	v_cmp_gt_i16_e32 vcc_lo, 6, v17
	s_mov_b32 s10, -1
	s_cbranch_vccnz .LBB30_131
; %bb.126:
	v_cmp_lt_i16_e32 vcc_lo, 6, v17
	s_cbranch_vccz .LBB30_128
; %bb.127:
	s_mov_b32 s10, 0
	global_store_b64 v[6:7], v[0:1], off
.LBB30_128:
	s_and_not1_b32 vcc_lo, exec_lo, s10
	s_cbranch_vccnz .LBB30_130
; %bb.129:
	global_store_b32 v[6:7], v4, off
.LBB30_130:
	s_mov_b32 s10, 0
.LBB30_131:
	s_delay_alu instid0(SALU_CYCLE_1)
	s_and_not1_b32 vcc_lo, exec_lo, s10
	s_cbranch_vccnz .LBB30_133
; %bb.132:
	global_store_b16 v[6:7], v8, off
.LBB30_133:
	s_mov_b32 s10, 0
.LBB30_134:
	s_delay_alu instid0(SALU_CYCLE_1)
	s_and_not1_b32 vcc_lo, exec_lo, s10
	s_cbranch_vccnz .LBB30_150
; %bb.135:
	v_cmp_gt_i16_e32 vcc_lo, 2, v17
	s_mov_b32 s10, -1
	s_cbranch_vccnz .LBB30_145
; %bb.136:
	v_cmp_gt_i16_e32 vcc_lo, 3, v17
	s_cbranch_vccnz .LBB30_142
; %bb.137:
	v_cmp_lt_i16_e32 vcc_lo, 3, v17
	s_cbranch_vccz .LBB30_139
; %bb.138:
	v_dual_mov_b32 v0, s2 :: v_dual_mov_b32 v1, s3
	s_mov_b32 s10, 0
	global_store_b64 v[6:7], v[0:1], off
.LBB30_139:
	s_and_not1_b32 vcc_lo, exec_lo, s10
	s_cbranch_vccnz .LBB30_141
; %bb.140:
	v_mov_b32_e32 v0, s2
	global_store_b32 v[6:7], v0, off
.LBB30_141:
	s_mov_b32 s10, 0
.LBB30_142:
	s_delay_alu instid0(SALU_CYCLE_1)
	s_and_not1_b32 vcc_lo, exec_lo, s10
	s_cbranch_vccnz .LBB30_144
; %bb.143:
	v_mov_b32_e32 v0, s2
	global_store_b16 v[6:7], v0, off
.LBB30_144:
	s_mov_b32 s10, 0
.LBB30_145:
	s_delay_alu instid0(SALU_CYCLE_1)
	s_and_not1_b32 vcc_lo, exec_lo, s10
	s_cbranch_vccnz .LBB30_150
; %bb.146:
	v_cmp_lt_i16_e32 vcc_lo, 0, v17
	s_mov_b32 s10, -1
	s_cbranch_vccz .LBB30_148
; %bb.147:
	v_mov_b32_e32 v0, s2
	s_mov_b32 s10, 0
	global_store_b8 v[6:7], v0, off
.LBB30_148:
	s_and_not1_b32 vcc_lo, exec_lo, s10
	s_cbranch_vccnz .LBB30_150
; %bb.149:
	v_mov_b32_e32 v0, s2
	global_store_b8 v[6:7], v0, off
.LBB30_150:
	s_or_b32 exec_lo, exec_lo, s1
	s_delay_alu instid0(SALU_CYCLE_1)
	s_and_b32 s1, s0, exec_lo
                                        ; implicit-def: $vgpr15
.LBB30_151:
	s_or_saveexec_b32 s7, s7
	s_mov_b32 s0, 0
                                        ; implicit-def: $vgpr2
                                        ; implicit-def: $vgpr0_vgpr1
	s_xor_b32 exec_lo, exec_lo, s7
	s_cbranch_execz .LBB30_685
; %bb.152:
	v_mul_lo_u32 v3, s6, v15
	v_and_b32_e64 v2, 0xff, s9
	s_delay_alu instid0(VALU_DEP_1) | instskip(NEXT) | instid1(VALU_DEP_3)
	v_cmp_gt_i16_e32 vcc_lo, 11, v2
	v_ashrrev_i32_e32 v1, 31, v3
	v_add_co_u32 v0, s0, s4, v3
	s_delay_alu instid0(VALU_DEP_1)
	v_add_co_ci_u32_e64 v1, s0, s5, v1, s0
	s_cbranch_vccnz .LBB30_180
; %bb.153:
	v_cmp_lt_i16_e32 vcc_lo, 25, v2
	s_mov_b32 s8, -1
	s_mov_b32 s9, 0
	s_mov_b32 s10, 0
	s_mov_b32 s0, 0
	s_cbranch_vccz .LBB30_233
; %bb.154:
	v_cmp_lt_i16_e32 vcc_lo, 28, v2
	s_cbranch_vccz .LBB30_169
; %bb.155:
	v_cmp_lt_i16_e32 vcc_lo, 43, v2
	;; [unrolled: 3-line block ×3, first 2 shown]
	s_cbranch_vccz .LBB30_159
; %bb.157:
	v_cmp_eq_u16_e32 vcc_lo, 46, v2
	s_mov_b32 s0, -1
	s_mov_b32 s8, 0
	s_cbranch_vccz .LBB30_159
; %bb.158:
	s_xor_b32 s0, s2, s3
	s_cls_i32 s10, s3
	s_ashr_i32 s0, s0, 31
	s_add_i32 s10, s10, -1
	s_add_i32 s0, s0, 32
	s_delay_alu instid0(SALU_CYCLE_1) | instskip(NEXT) | instid1(SALU_CYCLE_1)
	s_min_u32 s0, s10, s0
	s_lshl_b64 s[10:11], s[2:3], s0
	s_sub_i32 s0, 32, s0
	s_min_u32 s10, s10, 1
	s_delay_alu instid0(SALU_CYCLE_1) | instskip(NEXT) | instid1(SALU_CYCLE_1)
	s_or_b32 s10, s11, s10
	v_cvt_f32_i32_e32 v4, s10
	s_mov_b32 s10, -1
	s_delay_alu instid0(VALU_DEP_1) | instskip(SKIP_1) | instid1(VALU_DEP_1)
	v_ldexp_f32 v4, v4, s0
	s_mov_b32 s0, 0
	v_bfe_u32 v5, v4, 16, 1
	s_delay_alu instid0(VALU_DEP_1) | instskip(NEXT) | instid1(VALU_DEP_1)
	v_add_nc_u32_e32 v4, v4, v5
	v_add_nc_u32_e32 v4, 0x7fff, v4
	s_delay_alu instid0(VALU_DEP_1)
	v_lshrrev_b32_e32 v4, 16, v4
	global_store_b32 v[0:1], v4, off
.LBB30_159:
	s_and_b32 vcc_lo, exec_lo, s8
	s_cbranch_vccz .LBB30_164
; %bb.160:
	v_cmp_eq_u16_e32 vcc_lo, 44, v2
	s_mov_b32 s0, -1
	s_cbranch_vccz .LBB30_164
; %bb.161:
	s_xor_b32 s0, s2, s3
	s_cls_i32 s8, s3
	s_ashr_i32 s0, s0, 31
	s_add_i32 s8, s8, -1
	s_add_i32 s0, s0, 32
	v_mov_b32_e32 v5, 0xff
	s_min_u32 s0, s8, s0
	s_delay_alu instid0(SALU_CYCLE_1) | instskip(SKIP_4) | instid1(SALU_CYCLE_1)
	s_lshl_b64 s[10:11], s[2:3], s0
	s_sub_i32 s0, 32, s0
	s_min_u32 s8, s10, 1
	s_mov_b32 s10, -1
	s_or_b32 s8, s11, s8
	v_cvt_f32_i32_e32 v4, s8
	s_delay_alu instid0(VALU_DEP_1) | instskip(NEXT) | instid1(VALU_DEP_1)
	v_ldexp_f32 v4, v4, s0
	v_readfirstlane_b32 s0, v4
	s_delay_alu instid0(VALU_DEP_1) | instskip(NEXT) | instid1(SALU_CYCLE_1)
	s_bfe_u32 s8, s0, 0x80017
	s_cmpk_eq_i32 s8, 0xff
	s_cbranch_scc1 .LBB30_163
; %bb.162:
	s_bitcmp1_b32 s0, 22
	v_lshrrev_b32_e32 v4, 23, v4
	s_cselect_b32 s11, -1, 0
	s_and_b32 s0, s0, 0x3fffff
	s_delay_alu instid0(SALU_CYCLE_1) | instskip(NEXT) | instid1(SALU_CYCLE_1)
	s_or_b32 s0, s8, s0
	s_cmp_lg_u32 s0, 0
	s_cselect_b32 s0, -1, 0
	s_delay_alu instid0(SALU_CYCLE_1) | instskip(NEXT) | instid1(SALU_CYCLE_1)
	s_and_b32 s0, s11, s0
	v_cndmask_b32_e64 v5, 0, 1, s0
	s_delay_alu instid0(VALU_DEP_1)
	v_add_nc_u32_e32 v5, v4, v5
.LBB30_163:
	s_mov_b32 s0, 0
	global_store_b8 v[0:1], v5, off
.LBB30_164:
	s_mov_b32 s8, 0
.LBB30_165:
	s_delay_alu instid0(SALU_CYCLE_1)
	s_and_b32 vcc_lo, exec_lo, s8
	s_cbranch_vccz .LBB30_168
; %bb.166:
	v_cmp_eq_u16_e32 vcc_lo, 29, v2
	s_mov_b32 s0, -1
	s_cbranch_vccz .LBB30_168
; %bb.167:
	v_dual_mov_b32 v5, s3 :: v_dual_mov_b32 v4, s2
	s_mov_b32 s0, 0
	s_mov_b32 s10, -1
	global_store_b64 v[0:1], v[4:5], off
.LBB30_168:
	s_mov_b32 s8, 0
.LBB30_169:
	s_delay_alu instid0(SALU_CYCLE_1)
	s_and_b32 vcc_lo, exec_lo, s8
	s_cbranch_vccz .LBB30_232
; %bb.170:
	v_cmp_gt_i16_e32 vcc_lo, 27, v2
	s_mov_b32 s8, -1
	s_cbranch_vccnz .LBB30_176
; %bb.171:
	v_cmp_lt_i16_e32 vcc_lo, 27, v2
	s_cbranch_vccz .LBB30_173
; %bb.172:
	v_mov_b32_e32 v4, s2
	s_mov_b32 s8, 0
	global_store_b32 v[0:1], v4, off
.LBB30_173:
	s_and_not1_b32 vcc_lo, exec_lo, s8
	s_cbranch_vccnz .LBB30_175
; %bb.174:
	v_mov_b32_e32 v4, s2
	global_store_b16 v[0:1], v4, off
.LBB30_175:
	s_mov_b32 s8, 0
.LBB30_176:
	s_delay_alu instid0(SALU_CYCLE_1)
	s_and_not1_b32 vcc_lo, exec_lo, s8
	s_cbranch_vccnz .LBB30_231
; %bb.177:
	s_xor_b32 s8, s2, s3
	s_cls_i32 s10, s3
	s_ashr_i32 s8, s8, 31
	s_add_i32 s10, s10, -1
	s_add_i32 s8, s8, 32
	v_mov_b32_e32 v5, 0x80
	s_min_u32 s8, s10, s8
	s_delay_alu instid0(SALU_CYCLE_1) | instskip(SKIP_2) | instid1(SALU_CYCLE_1)
	s_lshl_b64 s[10:11], s[2:3], s8
	s_sub_i32 s8, 32, s8
	s_min_u32 s10, s10, 1
	s_or_b32 s10, s11, s10
	s_mov_b32 s11, -1
	v_cvt_f32_i32_e32 v4, s10
	s_delay_alu instid0(VALU_DEP_1) | instskip(NEXT) | instid1(VALU_DEP_1)
	v_ldexp_f32 v4, v4, s8
	v_readfirstlane_b32 s8, v4
	s_delay_alu instid0(VALU_DEP_1) | instskip(NEXT) | instid1(SALU_CYCLE_1)
	s_and_b32 s10, s8, 0x7fffffff
	s_cmp_gt_u32 s10, 0x437fffff
	s_cbranch_scc1 .LBB30_230
; %bb.178:
	s_cmp_gt_u32 s10, 0x3bffffff
	s_cbranch_scc0 .LBB30_225
; %bb.179:
	s_bfe_u32 s10, s8, 0x10014
	s_mov_b32 s11, 0
	s_add_i32 s10, s8, s10
	s_delay_alu instid0(SALU_CYCLE_1) | instskip(NEXT) | instid1(SALU_CYCLE_1)
	s_add_i32 s10, s10, 0x487ffff
	s_lshr_b32 s12, s10, 20
	s_mov_b32 s10, -1
	s_branch .LBB30_226
.LBB30_180:
	s_mov_b32 s10, 0
	s_mov_b32 s8, s1
	s_cbranch_execz .LBB30_382
; %bb.181:
	v_cmp_gt_i16_e32 vcc_lo, 5, v2
	s_mov_b32 s0, -1
	s_cbranch_vccnz .LBB30_202
; %bb.182:
	v_cmp_gt_i16_e32 vcc_lo, 8, v2
	s_cbranch_vccnz .LBB30_192
; %bb.183:
	v_cmp_gt_i16_e32 vcc_lo, 9, v2
	s_cbranch_vccnz .LBB30_189
; %bb.184:
	v_cmp_lt_i16_e32 vcc_lo, 9, v2
	s_cbranch_vccz .LBB30_186
; %bb.185:
	v_cvt_f64_i32_e32 v[4:5], s3
	v_cvt_f64_u32_e32 v[6:7], s2
	s_mov_b32 s0, 0
	s_delay_alu instid0(VALU_DEP_2) | instskip(NEXT) | instid1(VALU_DEP_1)
	v_ldexp_f64 v[4:5], v[4:5], 32
	v_add_f64 v[4:5], v[4:5], v[6:7]
	v_mov_b32_e32 v6, 0
	s_delay_alu instid0(VALU_DEP_1)
	v_mov_b32_e32 v7, v6
	global_store_b128 v[0:1], v[4:7], off
.LBB30_186:
	s_and_not1_b32 vcc_lo, exec_lo, s0
	s_cbranch_vccnz .LBB30_188
; %bb.187:
	s_xor_b32 s0, s2, s3
	s_cls_i32 s9, s3
	s_ashr_i32 s0, s0, 31
	s_add_i32 s9, s9, -1
	s_add_i32 s0, s0, 32
	v_mov_b32_e32 v5, 0
	s_min_u32 s0, s9, s0
	s_delay_alu instid0(SALU_CYCLE_1) | instskip(SKIP_2) | instid1(SALU_CYCLE_1)
	s_lshl_b64 s[10:11], s[2:3], s0
	s_sub_i32 s0, 32, s0
	s_min_u32 s9, s10, 1
	s_or_b32 s9, s11, s9
	s_delay_alu instid0(SALU_CYCLE_1) | instskip(NEXT) | instid1(VALU_DEP_1)
	v_cvt_f32_i32_e32 v4, s9
	v_ldexp_f32 v4, v4, s0
	global_store_b64 v[0:1], v[4:5], off
.LBB30_188:
	s_mov_b32 s0, 0
.LBB30_189:
	s_delay_alu instid0(SALU_CYCLE_1)
	s_and_not1_b32 vcc_lo, exec_lo, s0
	s_cbranch_vccnz .LBB30_191
; %bb.190:
	s_xor_b32 s0, s2, s3
	s_cls_i32 s9, s3
	s_ashr_i32 s0, s0, 31
	s_add_i32 s9, s9, -1
	s_add_i32 s0, s0, 32
	s_delay_alu instid0(SALU_CYCLE_1) | instskip(NEXT) | instid1(SALU_CYCLE_1)
	s_min_u32 s0, s9, s0
	s_lshl_b64 s[10:11], s[2:3], s0
	s_sub_i32 s0, 32, s0
	s_min_u32 s9, s10, 1
	s_delay_alu instid0(SALU_CYCLE_1) | instskip(NEXT) | instid1(SALU_CYCLE_1)
	s_or_b32 s9, s11, s9
	v_cvt_f32_i32_e32 v4, s9
	s_delay_alu instid0(VALU_DEP_1) | instskip(NEXT) | instid1(VALU_DEP_1)
	v_ldexp_f32 v4, v4, s0
	v_cvt_f16_f32_e32 v4, v4
	s_delay_alu instid0(VALU_DEP_1)
	v_and_b32_e32 v4, 0xffff, v4
	global_store_b32 v[0:1], v4, off
.LBB30_191:
	s_mov_b32 s0, 0
.LBB30_192:
	s_delay_alu instid0(SALU_CYCLE_1)
	s_and_not1_b32 vcc_lo, exec_lo, s0
	s_cbranch_vccnz .LBB30_201
; %bb.193:
	v_cmp_gt_i16_e32 vcc_lo, 6, v2
	s_mov_b32 s0, -1
	s_cbranch_vccnz .LBB30_199
; %bb.194:
	v_cmp_lt_i16_e32 vcc_lo, 6, v2
	s_cbranch_vccz .LBB30_196
; %bb.195:
	v_cvt_f64_i32_e32 v[4:5], s3
	v_cvt_f64_u32_e32 v[6:7], s2
	s_mov_b32 s0, 0
	s_delay_alu instid0(VALU_DEP_2) | instskip(NEXT) | instid1(VALU_DEP_1)
	v_ldexp_f64 v[4:5], v[4:5], 32
	v_add_f64 v[4:5], v[4:5], v[6:7]
	global_store_b64 v[0:1], v[4:5], off
.LBB30_196:
	s_and_not1_b32 vcc_lo, exec_lo, s0
	s_cbranch_vccnz .LBB30_198
; %bb.197:
	s_xor_b32 s0, s2, s3
	s_cls_i32 s9, s3
	s_ashr_i32 s0, s0, 31
	s_add_i32 s9, s9, -1
	s_add_i32 s0, s0, 32
	s_delay_alu instid0(SALU_CYCLE_1) | instskip(NEXT) | instid1(SALU_CYCLE_1)
	s_min_u32 s0, s9, s0
	s_lshl_b64 s[10:11], s[2:3], s0
	s_sub_i32 s0, 32, s0
	s_min_u32 s9, s10, 1
	s_delay_alu instid0(SALU_CYCLE_1) | instskip(NEXT) | instid1(SALU_CYCLE_1)
	s_or_b32 s9, s11, s9
	v_cvt_f32_i32_e32 v4, s9
	s_delay_alu instid0(VALU_DEP_1)
	v_ldexp_f32 v4, v4, s0
	global_store_b32 v[0:1], v4, off
.LBB30_198:
	s_mov_b32 s0, 0
.LBB30_199:
	s_delay_alu instid0(SALU_CYCLE_1)
	s_and_not1_b32 vcc_lo, exec_lo, s0
	s_cbranch_vccnz .LBB30_201
; %bb.200:
	s_xor_b32 s0, s2, s3
	s_cls_i32 s9, s3
	s_ashr_i32 s0, s0, 31
	s_add_i32 s9, s9, -1
	s_add_i32 s0, s0, 32
	s_delay_alu instid0(SALU_CYCLE_1) | instskip(NEXT) | instid1(SALU_CYCLE_1)
	s_min_u32 s0, s9, s0
	s_lshl_b64 s[10:11], s[2:3], s0
	s_sub_i32 s0, 32, s0
	s_min_u32 s9, s10, 1
	s_delay_alu instid0(SALU_CYCLE_1) | instskip(NEXT) | instid1(SALU_CYCLE_1)
	s_or_b32 s9, s11, s9
	v_cvt_f32_i32_e32 v4, s9
	s_delay_alu instid0(VALU_DEP_1) | instskip(NEXT) | instid1(VALU_DEP_1)
	v_ldexp_f32 v4, v4, s0
	v_cvt_f16_f32_e32 v4, v4
	global_store_b16 v[0:1], v4, off
.LBB30_201:
	s_mov_b32 s0, 0
.LBB30_202:
	s_delay_alu instid0(SALU_CYCLE_1)
	s_and_not1_b32 vcc_lo, exec_lo, s0
	s_cbranch_vccnz .LBB30_218
; %bb.203:
	v_cmp_gt_i16_e32 vcc_lo, 2, v2
	s_mov_b32 s0, -1
	s_cbranch_vccnz .LBB30_213
; %bb.204:
	v_cmp_gt_i16_e32 vcc_lo, 3, v2
	s_cbranch_vccnz .LBB30_210
; %bb.205:
	v_cmp_lt_i16_e32 vcc_lo, 3, v2
	s_cbranch_vccz .LBB30_207
; %bb.206:
	v_dual_mov_b32 v5, s3 :: v_dual_mov_b32 v4, s2
	s_mov_b32 s0, 0
	global_store_b64 v[0:1], v[4:5], off
.LBB30_207:
	s_and_not1_b32 vcc_lo, exec_lo, s0
	s_cbranch_vccnz .LBB30_209
; %bb.208:
	v_mov_b32_e32 v4, s2
	global_store_b32 v[0:1], v4, off
.LBB30_209:
	s_mov_b32 s0, 0
.LBB30_210:
	s_delay_alu instid0(SALU_CYCLE_1)
	s_and_not1_b32 vcc_lo, exec_lo, s0
	s_cbranch_vccnz .LBB30_212
; %bb.211:
	v_mov_b32_e32 v4, s2
	global_store_b16 v[0:1], v4, off
.LBB30_212:
	s_mov_b32 s0, 0
.LBB30_213:
	s_delay_alu instid0(SALU_CYCLE_1)
	s_and_not1_b32 vcc_lo, exec_lo, s0
	s_cbranch_vccnz .LBB30_218
; %bb.214:
	v_cmp_lt_i16_e32 vcc_lo, 0, v2
	s_mov_b32 s0, -1
	s_cbranch_vccz .LBB30_216
; %bb.215:
	v_mov_b32_e32 v4, s2
	s_mov_b32 s0, 0
	global_store_b8 v[0:1], v4, off
.LBB30_216:
	s_and_not1_b32 vcc_lo, exec_lo, s0
	s_cbranch_vccnz .LBB30_218
; %bb.217:
	v_mov_b32_e32 v4, s2
	global_store_b8 v[0:1], v4, off
.LBB30_218:
	s_branch .LBB30_383
.LBB30_219:
	s_mov_b32 s31, 0
	s_mov_b32 s1, s29
	s_cbranch_execnz .LBB30_286
.LBB30_220:
	s_and_not1_b32 vcc_lo, exec_lo, s31
	s_cbranch_vccnz .LBB30_324
.LBB30_221:
	v_add_nc_u32_e32 v15, 0x80, v15
	s_mov_b32 s34, -1
	s_branch .LBB30_325
.LBB30_222:
	s_mov_b32 s34, -1
	s_mov_b32 s31, 0
	s_mov_b32 s1, s29
	s_branch .LBB30_263
.LBB30_223:
	s_mov_b32 s34, -1
	s_mov_b32 s31, 0
	s_mov_b32 s1, s29
	s_branch .LBB30_249
.LBB30_224:
	s_mov_b32 s34, -1
	s_mov_b32 s31, 0
	s_mov_b32 s1, s29
	s_branch .LBB30_245
.LBB30_225:
	s_mov_b32 s10, 0
                                        ; implicit-def: $sgpr12
.LBB30_226:
	v_mov_b32_e32 v4, s12
	s_and_not1_b32 vcc_lo, exec_lo, s11
                                        ; implicit-def: $sgpr11
	s_cbranch_vccnz .LBB30_228
; %bb.227:
	v_add_f32_e64 v4, 0x46000000, |s8|
	s_mov_b32 s11, 0
	s_delay_alu instid0(VALU_DEP_1) | instskip(NEXT) | instid1(VALU_DEP_1)
	v_and_b32_e32 v4, 0xff, v4
	v_cmp_ne_u32_e64 s10, 0, v4
.LBB30_228:
	v_mov_b32_e32 v5, s11
	s_delay_alu instid0(VALU_DEP_2)
	s_and_not1_b32 vcc_lo, exec_lo, s10
	s_cbranch_vccnz .LBB30_230
; %bb.229:
	s_lshr_b32 s8, s8, 24
	s_delay_alu instid0(SALU_CYCLE_1) | instskip(NEXT) | instid1(SALU_CYCLE_1)
	s_and_b32 s8, s8, 0x80
	v_or_b32_e32 v5, s8, v4
.LBB30_230:
	global_store_b8 v[0:1], v5, off
.LBB30_231:
	s_mov_b32 s10, -1
.LBB30_232:
	s_mov_b32 s8, 0
.LBB30_233:
	s_delay_alu instid0(SALU_CYCLE_1)
	s_and_b32 vcc_lo, exec_lo, s8
	s_cbranch_vccz .LBB30_378
; %bb.234:
	v_cmp_lt_i16_e32 vcc_lo, 22, v2
	s_mov_b32 s8, -1
	s_cbranch_vccz .LBB30_371
; %bb.235:
	v_cmp_gt_i16_e32 vcc_lo, 24, v2
	s_cbranch_vccnz .LBB30_358
; %bb.236:
	v_cmp_lt_i16_e32 vcc_lo, 24, v2
	s_cbranch_vccz .LBB30_345
; %bb.237:
	s_xor_b32 s8, s2, s3
	s_cls_i32 s9, s3
	s_ashr_i32 s8, s8, 31
	s_add_i32 s9, s9, -1
	s_add_i32 s8, s8, 32
	v_mov_b32_e32 v5, 0x80
	s_min_u32 s10, s9, s8
	s_delay_alu instid0(SALU_CYCLE_1) | instskip(NEXT) | instid1(SALU_CYCLE_1)
	s_lshl_b64 s[8:9], s[2:3], s10
	s_min_u32 s8, s8, 1
	s_delay_alu instid0(SALU_CYCLE_1) | instskip(NEXT) | instid1(SALU_CYCLE_1)
	s_or_b32 s8, s9, s8
	v_cvt_f32_i32_e32 v4, s8
	s_sub_i32 s8, 32, s10
	s_mov_b32 s10, -1
	s_delay_alu instid0(VALU_DEP_1) | instskip(NEXT) | instid1(VALU_DEP_1)
	v_ldexp_f32 v4, v4, s8
	v_readfirstlane_b32 s8, v4
	s_delay_alu instid0(VALU_DEP_1) | instskip(NEXT) | instid1(SALU_CYCLE_1)
	s_and_b32 s9, s8, 0x7fffffff
	s_cmp_gt_u32 s9, 0x477fffff
	s_cbranch_scc1 .LBB30_344
; %bb.238:
	s_cmp_gt_u32 s9, 0x37ffffff
	s_cbranch_scc0 .LBB30_339
; %bb.239:
	s_bfe_u32 s9, s8, 0x10015
	s_mov_b32 s10, 0
	s_add_i32 s9, s8, s9
	s_delay_alu instid0(SALU_CYCLE_1) | instskip(NEXT) | instid1(SALU_CYCLE_1)
	s_add_i32 s9, s9, 0x88fffff
	s_lshr_b32 s11, s9, 21
	s_mov_b32 s9, -1
	s_branch .LBB30_340
.LBB30_240:
	s_mov_b32 s34, -1
	s_mov_b32 s31, 0
	s_mov_b32 s1, s29
.LBB30_241:
	s_and_b32 vcc_lo, exec_lo, s34
	s_cbranch_vccz .LBB30_244
; %bb.242:
	v_cmp_eq_u16_e32 vcc_lo, 44, v17
	s_mov_b32 s1, -1
	s_cbranch_vccz .LBB30_244
; %bb.243:
	v_cndmask_b32_e64 v2, v16, 0xff, s0
	s_mov_b32 s31, -1
	s_mov_b32 s1, 0
	global_store_b8 v[6:7], v2, off
.LBB30_244:
	s_mov_b32 s34, 0
.LBB30_245:
	s_delay_alu instid0(SALU_CYCLE_1)
	s_and_b32 vcc_lo, exec_lo, s34
	s_cbranch_vccz .LBB30_248
; %bb.246:
	v_cmp_eq_u16_e32 vcc_lo, 29, v17
	s_mov_b32 s1, -1
	s_cbranch_vccz .LBB30_248
; %bb.247:
	v_dual_mov_b32 v2, s2 :: v_dual_mov_b32 v3, s3
	s_mov_b32 s31, -1
	s_mov_b32 s1, 0
	s_mov_b32 s34, 0
	global_store_b64 v[6:7], v[2:3], off
	s_branch .LBB30_249
.LBB30_248:
	s_mov_b32 s34, 0
.LBB30_249:
	s_delay_alu instid0(SALU_CYCLE_1)
	s_and_b32 vcc_lo, exec_lo, s34
	s_cbranch_vccz .LBB30_262
; %bb.250:
	v_cmp_gt_i16_e32 vcc_lo, 27, v17
	s_mov_b32 s31, -1
	s_cbranch_vccnz .LBB30_256
; %bb.251:
	v_cmp_lt_i16_e32 vcc_lo, 27, v17
	s_cbranch_vccz .LBB30_253
; %bb.252:
	v_mov_b32_e32 v2, s2
	s_mov_b32 s31, 0
	global_store_b32 v[6:7], v2, off
.LBB30_253:
	s_and_not1_b32 vcc_lo, exec_lo, s31
	s_cbranch_vccnz .LBB30_255
; %bb.254:
	v_mov_b32_e32 v2, s2
	global_store_b16 v[6:7], v2, off
.LBB30_255:
	s_mov_b32 s31, 0
.LBB30_256:
	s_delay_alu instid0(SALU_CYCLE_1)
	s_and_not1_b32 vcc_lo, exec_lo, s31
	s_cbranch_vccnz .LBB30_261
; %bb.257:
	v_mov_b32_e32 v2, 0x80
	s_and_not1_b32 vcc_lo, exec_lo, s26
	s_cbranch_vccnz .LBB30_260
; %bb.258:
	v_mov_b32_e32 v2, 0
	s_or_b32 s31, s24, s27
	s_delay_alu instid0(SALU_CYCLE_1)
	s_and_not1_b32 vcc_lo, exec_lo, s31
	s_cbranch_vccnz .LBB30_260
; %bb.259:
	v_cndmask_b32_e64 v2, v14, s25, s24
	s_delay_alu instid0(VALU_DEP_1)
	v_or_b32_e32 v2, v2, v12
.LBB30_260:
	global_store_b8 v[6:7], v2, off
.LBB30_261:
	s_mov_b32 s31, -1
.LBB30_262:
	s_mov_b32 s34, 0
.LBB30_263:
	s_delay_alu instid0(SALU_CYCLE_1)
	s_and_b32 vcc_lo, exec_lo, s34
	s_cbranch_vccz .LBB30_285
; %bb.264:
	v_cmp_lt_i16_e32 vcc_lo, 22, v17
	s_mov_b32 s34, -1
	s_cbranch_vccz .LBB30_277
; %bb.265:
	v_cmp_gt_i16_e32 vcc_lo, 24, v17
	s_mov_b32 s31, -1
	s_cbranch_vccnz .LBB30_274
; %bb.266:
	v_cmp_lt_i16_e32 vcc_lo, 24, v17
	s_cbranch_vccz .LBB30_271
; %bb.267:
	v_mov_b32_e32 v2, 0x80
	s_and_not1_b32 vcc_lo, exec_lo, s21
	s_cbranch_vccnz .LBB30_270
; %bb.268:
	v_mov_b32_e32 v2, 0
	s_or_b32 s31, s17, s23
	s_delay_alu instid0(SALU_CYCLE_1)
	s_and_not1_b32 vcc_lo, exec_lo, s31
	s_cbranch_vccnz .LBB30_270
; %bb.269:
	v_cndmask_b32_e64 v2, v13, s19, s17
	s_delay_alu instid0(VALU_DEP_1)
	v_or_b32_e32 v2, v2, v12
.LBB30_270:
	s_mov_b32 s31, 0
	global_store_b8 v[6:7], v2, off
.LBB30_271:
	s_and_b32 vcc_lo, exec_lo, s31
	s_cbranch_vccz .LBB30_273
; %bb.272:
	s_and_b32 s31, s14, exec_lo
	s_cselect_b32 s31, s22, s18
	s_and_b32 s34, s13, exec_lo
	s_cselect_b32 s31, s20, s31
	s_delay_alu instid0(SALU_CYCLE_1)
	v_or_b32_e32 v2, s31, v12
	global_store_b8 v[6:7], v2, off
.LBB30_273:
	s_mov_b32 s31, 0
.LBB30_274:
	s_delay_alu instid0(SALU_CYCLE_1)
	s_and_not1_b32 vcc_lo, exec_lo, s31
	s_cbranch_vccnz .LBB30_276
; %bb.275:
	s_and_b32 s31, s11, exec_lo
	s_cselect_b32 s31, s16, s12
	s_and_b32 s34, s10, exec_lo
	s_cselect_b32 s31, s15, s31
	s_delay_alu instid0(SALU_CYCLE_1)
	v_or_b32_e32 v2, s31, v12
	global_store_b8 v[6:7], v2, off
.LBB30_276:
	s_mov_b32 s34, 0
	s_mov_b32 s31, -1
.LBB30_277:
	s_and_not1_b32 vcc_lo, exec_lo, s34
	s_cbranch_vccnz .LBB30_285
; %bb.278:
	v_cmp_lt_i16_e32 vcc_lo, 14, v17
	s_mov_b32 s34, -1
	s_cbranch_vccz .LBB30_282
; %bb.279:
	v_cmp_eq_u16_e32 vcc_lo, 15, v17
	s_mov_b32 s1, -1
	s_cbranch_vccz .LBB30_281
; %bb.280:
	s_mov_b32 s31, -1
	s_mov_b32 s1, 0
	global_store_b16 v[6:7], v11, off
.LBB30_281:
	s_mov_b32 s34, 0
.LBB30_282:
	s_delay_alu instid0(SALU_CYCLE_1)
	s_and_b32 vcc_lo, exec_lo, s34
	s_cbranch_vccz .LBB30_285
; %bb.283:
	v_cmp_eq_u16_e32 vcc_lo, 11, v17
	s_mov_b32 s1, -1
	s_cbranch_vccz .LBB30_285
; %bb.284:
	s_mov_b32 s31, -1
	s_mov_b32 s1, 0
	global_store_b8 v[6:7], v10, off
.LBB30_285:
	s_branch .LBB30_220
.LBB30_286:
	v_cmp_gt_i16_e32 vcc_lo, 5, v17
	s_mov_b32 s31, -1
	s_cbranch_vccnz .LBB30_307
; %bb.287:
	v_cmp_gt_i16_e32 vcc_lo, 8, v17
	s_cbranch_vccnz .LBB30_297
; %bb.288:
	v_cmp_gt_i16_e32 vcc_lo, 9, v17
	s_cbranch_vccnz .LBB30_294
; %bb.289:
	v_cmp_lt_i16_e32 vcc_lo, 9, v17
	s_cbranch_vccz .LBB30_291
; %bb.290:
	v_mov_b32_e32 v2, 0
	s_mov_b32 s31, 0
	s_delay_alu instid0(VALU_DEP_1)
	v_mov_b32_e32 v3, v2
	global_store_b128 v[6:7], v[0:3], off
.LBB30_291:
	s_and_not1_b32 vcc_lo, exec_lo, s31
	s_cbranch_vccnz .LBB30_293
; %bb.292:
	v_mov_b32_e32 v5, 0
	global_store_b64 v[6:7], v[4:5], off
.LBB30_293:
	s_mov_b32 s31, 0
.LBB30_294:
	s_delay_alu instid0(SALU_CYCLE_1)
	s_and_not1_b32 vcc_lo, exec_lo, s31
	s_cbranch_vccnz .LBB30_296
; %bb.295:
	global_store_b32 v[6:7], v9, off
.LBB30_296:
	s_mov_b32 s31, 0
.LBB30_297:
	s_delay_alu instid0(SALU_CYCLE_1)
	s_and_not1_b32 vcc_lo, exec_lo, s31
	s_cbranch_vccnz .LBB30_306
; %bb.298:
	v_cmp_gt_i16_e32 vcc_lo, 6, v17
	s_mov_b32 s31, -1
	s_cbranch_vccnz .LBB30_304
; %bb.299:
	v_cmp_lt_i16_e32 vcc_lo, 6, v17
	s_cbranch_vccz .LBB30_301
; %bb.300:
	s_mov_b32 s31, 0
	global_store_b64 v[6:7], v[0:1], off
.LBB30_301:
	s_and_not1_b32 vcc_lo, exec_lo, s31
	s_cbranch_vccnz .LBB30_303
; %bb.302:
	global_store_b32 v[6:7], v4, off
.LBB30_303:
	s_mov_b32 s31, 0
.LBB30_304:
	s_delay_alu instid0(SALU_CYCLE_1)
	s_and_not1_b32 vcc_lo, exec_lo, s31
	s_cbranch_vccnz .LBB30_306
; %bb.305:
	global_store_b16 v[6:7], v8, off
.LBB30_306:
	s_mov_b32 s31, 0
.LBB30_307:
	s_delay_alu instid0(SALU_CYCLE_1)
	s_and_not1_b32 vcc_lo, exec_lo, s31
	s_cbranch_vccnz .LBB30_323
; %bb.308:
	v_cmp_gt_i16_e32 vcc_lo, 2, v17
	s_mov_b32 s31, -1
	s_cbranch_vccnz .LBB30_318
; %bb.309:
	v_cmp_gt_i16_e32 vcc_lo, 3, v17
	s_cbranch_vccnz .LBB30_315
; %bb.310:
	v_cmp_lt_i16_e32 vcc_lo, 3, v17
	s_cbranch_vccz .LBB30_312
; %bb.311:
	v_dual_mov_b32 v2, s2 :: v_dual_mov_b32 v3, s3
	s_mov_b32 s31, 0
	global_store_b64 v[6:7], v[2:3], off
.LBB30_312:
	s_and_not1_b32 vcc_lo, exec_lo, s31
	s_cbranch_vccnz .LBB30_314
; %bb.313:
	v_mov_b32_e32 v2, s2
	global_store_b32 v[6:7], v2, off
.LBB30_314:
	s_mov_b32 s31, 0
.LBB30_315:
	s_delay_alu instid0(SALU_CYCLE_1)
	s_and_not1_b32 vcc_lo, exec_lo, s31
	s_cbranch_vccnz .LBB30_317
; %bb.316:
	v_mov_b32_e32 v2, s2
	global_store_b16 v[6:7], v2, off
.LBB30_317:
	s_mov_b32 s31, 0
.LBB30_318:
	s_delay_alu instid0(SALU_CYCLE_1)
	s_and_not1_b32 vcc_lo, exec_lo, s31
	s_cbranch_vccnz .LBB30_323
; %bb.319:
	v_cmp_lt_i16_e32 vcc_lo, 0, v17
	s_mov_b32 s31, -1
	s_cbranch_vccz .LBB30_321
; %bb.320:
	v_mov_b32_e32 v2, s2
	s_mov_b32 s31, 0
	global_store_b8 v[6:7], v2, off
.LBB30_321:
	s_and_not1_b32 vcc_lo, exec_lo, s31
	s_cbranch_vccnz .LBB30_323
; %bb.322:
	v_mov_b32_e32 v2, s2
	global_store_b8 v[6:7], v2, off
.LBB30_323:
	s_branch .LBB30_221
.LBB30_324:
	s_mov_b32 s34, 0
                                        ; implicit-def: $vgpr15
.LBB30_325:
	s_and_not1_b32 s31, s29, exec_lo
	s_and_b32 s1, s1, exec_lo
	s_delay_alu instid0(SALU_CYCLE_1)
	s_or_b32 s31, s31, s1
	s_or_not1_b32 s1, s34, exec_lo
.LBB30_326:
	s_or_b32 exec_lo, exec_lo, s33
	s_mov_b32 s34, 0
	s_mov_b32 s36, 0
                                        ; implicit-def: $vgpr17
                                        ; implicit-def: $vgpr6_vgpr7
	s_and_saveexec_b32 s33, s1
	s_cbranch_execz .LBB30_790
; %bb.327:
	s_mov_b32 s37, -1
	s_mov_b32 s35, s31
	s_mov_b32 s34, exec_lo
	v_cmpx_gt_i32_e64 s28, v15
	s_cbranch_execz .LBB30_558
; %bb.328:
	v_mul_lo_u32 v2, v15, s6
	v_and_b32_e64 v17, 0xff, s9
	s_delay_alu instid0(VALU_DEP_1) | instskip(NEXT) | instid1(VALU_DEP_3)
	v_cmp_gt_i16_e32 vcc_lo, 11, v17
	v_ashrrev_i32_e32 v3, 31, v2
	v_add_co_u32 v6, s1, s4, v2
	s_delay_alu instid0(VALU_DEP_1)
	v_add_co_ci_u32_e64 v7, s1, s5, v3, s1
	s_cbranch_vccnz .LBB30_335
; %bb.329:
	v_cmp_lt_i16_e32 vcc_lo, 25, v17
	s_cbranch_vccz .LBB30_336
; %bb.330:
	v_cmp_lt_i16_e32 vcc_lo, 28, v17
	s_cbranch_vccz .LBB30_337
	;; [unrolled: 3-line block ×4, first 2 shown]
; %bb.333:
	v_cmp_eq_u16_e32 vcc_lo, 46, v17
	s_mov_b32 s1, -1
	s_mov_b32 s35, 0
	s_cbranch_vccz .LBB30_470
; %bb.334:
	s_mov_b32 s35, -1
	s_mov_b32 s1, 0
	global_store_b32 v[6:7], v11, off
	s_branch .LBB30_470
.LBB30_335:
	s_mov_b32 s36, -1
	s_mov_b32 s35, 0
	s_mov_b32 s1, s31
	s_branch .LBB30_515
.LBB30_336:
	s_mov_b32 s36, -1
	s_mov_b32 s35, 0
	s_mov_b32 s1, s31
	s_branch .LBB30_492
.LBB30_337:
	s_mov_b32 s36, -1
	s_mov_b32 s35, 0
	s_mov_b32 s1, s31
	s_branch .LBB30_478
.LBB30_338:
	s_mov_b32 s36, -1
	s_mov_b32 s35, 0
	s_mov_b32 s1, s31
	s_branch .LBB30_474
.LBB30_339:
	s_mov_b32 s9, 0
                                        ; implicit-def: $sgpr11
.LBB30_340:
	v_mov_b32_e32 v4, s11
	s_and_not1_b32 vcc_lo, exec_lo, s10
                                        ; implicit-def: $sgpr10
	s_cbranch_vccnz .LBB30_342
; %bb.341:
	v_add_f32_e64 v4, 0x42800000, |s8|
	s_mov_b32 s10, 0
	s_delay_alu instid0(VALU_DEP_1) | instskip(NEXT) | instid1(VALU_DEP_1)
	v_and_b32_e32 v4, 0xff, v4
	v_cmp_ne_u32_e64 s9, 0, v4
.LBB30_342:
	v_mov_b32_e32 v5, s10
	s_delay_alu instid0(VALU_DEP_2)
	s_and_not1_b32 vcc_lo, exec_lo, s9
	s_cbranch_vccnz .LBB30_344
; %bb.343:
	s_lshr_b32 s8, s8, 24
	s_delay_alu instid0(SALU_CYCLE_1) | instskip(NEXT) | instid1(SALU_CYCLE_1)
	s_and_b32 s8, s8, 0x80
	v_or_b32_e32 v5, s8, v4
.LBB30_344:
	s_mov_b32 s8, 0
	global_store_b8 v[0:1], v5, off
.LBB30_345:
	s_and_b32 vcc_lo, exec_lo, s8
	s_cbranch_vccz .LBB30_357
; %bb.346:
	s_xor_b32 s8, s2, s3
	s_cls_i32 s9, s3
	s_ashr_i32 s8, s8, 31
	s_add_i32 s9, s9, -1
	s_add_i32 s8, s8, 32
	s_delay_alu instid0(SALU_CYCLE_1) | instskip(NEXT) | instid1(SALU_CYCLE_1)
	s_min_u32 s10, s9, s8
	s_lshl_b64 s[8:9], s[2:3], s10
	s_delay_alu instid0(SALU_CYCLE_1) | instskip(NEXT) | instid1(SALU_CYCLE_1)
	s_min_u32 s8, s8, 1
	s_or_b32 s8, s9, s8
	s_delay_alu instid0(SALU_CYCLE_1) | instskip(SKIP_2) | instid1(VALU_DEP_1)
	v_cvt_f32_i32_e32 v4, s8
	s_sub_i32 s8, 32, s10
	s_mov_b32 s10, -1
	v_ldexp_f32 v4, v4, s8
	s_delay_alu instid0(VALU_DEP_1) | instskip(NEXT) | instid1(VALU_DEP_1)
	v_readfirstlane_b32 s8, v4
	s_and_b32 s9, s8, 0x7fffffff
	s_delay_alu instid0(SALU_CYCLE_1)
	s_cmp_lt_u32 s9, 0x43f00000
	s_cbranch_scc0 .LBB30_349
; %bb.347:
	s_cmp_gt_u32 s9, 0x3c7fffff
	s_cbranch_scc0 .LBB30_350
; %bb.348:
	s_bfe_u32 s10, s8, 0x10014
	s_delay_alu instid0(SALU_CYCLE_1) | instskip(NEXT) | instid1(SALU_CYCLE_1)
	s_add_i32 s10, s8, s10
	s_add_i32 s10, s10, 0x407ffff
	s_delay_alu instid0(SALU_CYCLE_1)
	s_and_b32 s11, s10, 0xff00000
	s_lshr_b32 s10, s10, 20
	s_cmp_lg_u32 s11, 0x7f00000
	s_cselect_b32 s11, s10, 0x7e
	s_mov_b32 s10, 0
	s_branch .LBB30_351
.LBB30_349:
                                        ; implicit-def: $vgpr5
	s_branch .LBB30_354
.LBB30_350:
                                        ; implicit-def: $sgpr11
.LBB30_351:
	v_mov_b32_e32 v5, s11
	s_and_not1_b32 vcc_lo, exec_lo, s10
	s_cbranch_vccnz .LBB30_353
; %bb.352:
	v_add_f32_e64 v5, 0x46800000, |v4|
.LBB30_353:
	s_mov_b32 s10, 0
.LBB30_354:
	s_delay_alu instid0(SALU_CYCLE_1)
	s_and_not1_b32 vcc_lo, exec_lo, s10
	s_cbranch_vccnz .LBB30_356
; %bb.355:
	s_cmp_gt_u32 s9, 0x7f800000
	s_movk_i32 s9, 0x7f
	s_delay_alu instid0(SALU_CYCLE_1) | instskip(NEXT) | instid1(SALU_CYCLE_1)
	s_cselect_b32 s9, s9, 0x7e
	v_mov_b32_e32 v5, s9
.LBB30_356:
	s_lshr_b32 s8, s8, 24
	s_delay_alu instid0(SALU_CYCLE_1)
	s_and_b32 s8, s8, 0x80
	s_delay_alu instid0(VALU_DEP_1) | instid1(SALU_CYCLE_1)
	v_or_b32_e32 v4, s8, v5
	global_store_b8 v[0:1], v4, off
.LBB30_357:
	s_mov_b32 s8, 0
.LBB30_358:
	s_delay_alu instid0(SALU_CYCLE_1)
	s_and_not1_b32 vcc_lo, exec_lo, s8
	s_cbranch_vccnz .LBB30_370
; %bb.359:
	s_xor_b32 s8, s2, s3
	s_cls_i32 s9, s3
	s_ashr_i32 s8, s8, 31
	s_add_i32 s9, s9, -1
	s_add_i32 s8, s8, 32
	s_delay_alu instid0(SALU_CYCLE_1) | instskip(NEXT) | instid1(SALU_CYCLE_1)
	s_min_u32 s10, s9, s8
	s_lshl_b64 s[8:9], s[2:3], s10
	s_delay_alu instid0(SALU_CYCLE_1) | instskip(NEXT) | instid1(SALU_CYCLE_1)
	s_min_u32 s8, s8, 1
	s_or_b32 s8, s9, s8
	s_delay_alu instid0(SALU_CYCLE_1) | instskip(SKIP_2) | instid1(VALU_DEP_1)
	v_cvt_f32_i32_e32 v4, s8
	s_sub_i32 s8, 32, s10
	s_mov_b32 s10, -1
	v_ldexp_f32 v4, v4, s8
	s_delay_alu instid0(VALU_DEP_1) | instskip(NEXT) | instid1(VALU_DEP_1)
	v_readfirstlane_b32 s8, v4
	s_and_b32 s9, s8, 0x7fffffff
	s_delay_alu instid0(SALU_CYCLE_1)
	s_cmp_lt_u32 s9, 0x47800000
	s_cbranch_scc0 .LBB30_362
; %bb.360:
	s_cmp_gt_u32 s9, 0x387fffff
	s_cbranch_scc0 .LBB30_363
; %bb.361:
	s_bfe_u32 s10, s8, 0x10015
	s_delay_alu instid0(SALU_CYCLE_1) | instskip(NEXT) | instid1(SALU_CYCLE_1)
	s_add_i32 s10, s8, s10
	s_add_i32 s10, s10, 0x80fffff
	s_delay_alu instid0(SALU_CYCLE_1)
	s_lshr_b32 s11, s10, 21
	s_mov_b32 s10, 0
	s_branch .LBB30_364
.LBB30_362:
                                        ; implicit-def: $vgpr5
	s_branch .LBB30_367
.LBB30_363:
                                        ; implicit-def: $sgpr11
.LBB30_364:
	v_mov_b32_e32 v5, s11
	s_and_not1_b32 vcc_lo, exec_lo, s10
	s_cbranch_vccnz .LBB30_366
; %bb.365:
	v_add_f32_e64 v5, 0x43000000, |v4|
.LBB30_366:
	s_mov_b32 s10, 0
.LBB30_367:
	s_delay_alu instid0(SALU_CYCLE_1)
	s_and_not1_b32 vcc_lo, exec_lo, s10
	s_cbranch_vccnz .LBB30_369
; %bb.368:
	s_cmp_gt_u32 s9, 0x7f800000
	s_movk_i32 s9, 0x7f
	s_delay_alu instid0(SALU_CYCLE_1) | instskip(NEXT) | instid1(SALU_CYCLE_1)
	s_cselect_b32 s9, s9, 0x7c
	v_mov_b32_e32 v5, s9
.LBB30_369:
	s_lshr_b32 s8, s8, 24
	s_delay_alu instid0(SALU_CYCLE_1)
	s_and_b32 s8, s8, 0x80
	s_delay_alu instid0(VALU_DEP_1) | instid1(SALU_CYCLE_1)
	v_or_b32_e32 v4, s8, v5
	global_store_b8 v[0:1], v4, off
.LBB30_370:
	s_mov_b32 s8, 0
	s_mov_b32 s10, -1
.LBB30_371:
	s_and_not1_b32 vcc_lo, exec_lo, s8
	s_mov_b32 s9, 0
	s_cbranch_vccnz .LBB30_378
; %bb.372:
	v_cmp_lt_i16_e32 vcc_lo, 14, v2
	s_mov_b32 s8, -1
	s_cbranch_vccz .LBB30_376
; %bb.373:
	v_cmp_eq_u16_e32 vcc_lo, 15, v2
	s_mov_b32 s0, -1
	s_cbranch_vccz .LBB30_375
; %bb.374:
	s_xor_b32 s0, s2, s3
	s_cls_i32 s8, s3
	s_ashr_i32 s0, s0, 31
	s_add_i32 s8, s8, -1
	s_add_i32 s0, s0, 32
	s_mov_b32 s10, -1
	s_min_u32 s0, s8, s0
	s_delay_alu instid0(SALU_CYCLE_1) | instskip(SKIP_2) | instid1(SALU_CYCLE_1)
	s_lshl_b64 s[8:9], s[2:3], s0
	s_sub_i32 s0, 32, s0
	s_min_u32 s8, s8, 1
	s_or_b32 s8, s9, s8
	s_delay_alu instid0(SALU_CYCLE_1) | instskip(NEXT) | instid1(VALU_DEP_1)
	v_cvt_f32_i32_e32 v4, s8
	v_ldexp_f32 v4, v4, s0
	s_mov_b32 s0, 0
	s_delay_alu instid0(VALU_DEP_1) | instskip(NEXT) | instid1(VALU_DEP_1)
	v_bfe_u32 v5, v4, 16, 1
	v_add_nc_u32_e32 v4, v4, v5
	s_delay_alu instid0(VALU_DEP_1)
	v_add_nc_u32_e32 v4, 0x7fff, v4
	global_store_d16_hi_b16 v[0:1], v4, off
.LBB30_375:
	s_mov_b32 s8, 0
.LBB30_376:
	s_delay_alu instid0(SALU_CYCLE_1)
	s_and_b32 vcc_lo, exec_lo, s8
	s_mov_b32 s9, 0
	s_cbranch_vccz .LBB30_378
; %bb.377:
	v_cmp_ne_u16_e64 s0, 11, v2
	s_mov_b32 s9, -1
.LBB30_378:
	s_delay_alu instid0(VALU_DEP_1)
	s_and_b32 vcc_lo, exec_lo, s0
	s_mov_b32 s8, s1
	s_cbranch_vccnz .LBB30_450
; %bb.379:
	s_and_not1_b32 vcc_lo, exec_lo, s9
	s_cbranch_vccnz .LBB30_381
.LBB30_380:
	s_cmp_lg_u64 s[2:3], 0
	s_mov_b32 s10, -1
	s_cselect_b32 s0, -1, 0
	s_delay_alu instid0(SALU_CYCLE_1)
	v_cndmask_b32_e64 v4, 0, 1, s0
	global_store_b8 v[0:1], v4, off
.LBB30_381:
.LBB30_382:
	s_and_not1_b32 vcc_lo, exec_lo, s10
	s_cbranch_vccnz .LBB30_683
.LBB30_383:
	s_lshl_b32 s6, s6, 7
	v_cmp_gt_i16_e32 vcc_lo, 11, v2
	v_add_nc_u32_e32 v3, s6, v3
	s_delay_alu instid0(VALU_DEP_1) | instskip(SKIP_1) | instid1(VALU_DEP_1)
	v_ashrrev_i32_e32 v1, 31, v3
	v_add_co_u32 v0, s0, s4, v3
	v_add_co_ci_u32_e64 v1, s0, s5, v1, s0
	s_cbranch_vccnz .LBB30_411
; %bb.384:
	v_cmp_lt_i16_e32 vcc_lo, 25, v2
	s_mov_b32 s11, -1
	s_mov_b32 s9, 0
	s_mov_b32 s10, 0
	s_mov_b32 s0, 0
	s_cbranch_vccz .LBB30_462
; %bb.385:
	v_cmp_lt_i16_e32 vcc_lo, 28, v2
	s_cbranch_vccz .LBB30_400
; %bb.386:
	v_cmp_lt_i16_e32 vcc_lo, 43, v2
	;; [unrolled: 3-line block ×3, first 2 shown]
	s_cbranch_vccz .LBB30_390
; %bb.388:
	v_cmp_eq_u16_e32 vcc_lo, 46, v2
	s_mov_b32 s0, -1
	s_mov_b32 s11, 0
	s_cbranch_vccz .LBB30_390
; %bb.389:
	s_xor_b32 s0, s2, s3
	s_cls_i32 s10, s3
	s_ashr_i32 s0, s0, 31
	s_add_i32 s10, s10, -1
	s_add_i32 s0, s0, 32
	s_delay_alu instid0(SALU_CYCLE_1) | instskip(NEXT) | instid1(SALU_CYCLE_1)
	s_min_u32 s0, s10, s0
	s_lshl_b64 s[12:13], s[2:3], s0
	s_sub_i32 s0, 32, s0
	s_min_u32 s10, s12, 1
	s_delay_alu instid0(SALU_CYCLE_1) | instskip(NEXT) | instid1(SALU_CYCLE_1)
	s_or_b32 s10, s13, s10
	v_cvt_f32_i32_e32 v4, s10
	s_mov_b32 s10, -1
	s_delay_alu instid0(VALU_DEP_1) | instskip(SKIP_1) | instid1(VALU_DEP_1)
	v_ldexp_f32 v4, v4, s0
	s_mov_b32 s0, 0
	v_bfe_u32 v5, v4, 16, 1
	s_delay_alu instid0(VALU_DEP_1) | instskip(NEXT) | instid1(VALU_DEP_1)
	v_add_nc_u32_e32 v4, v4, v5
	v_add_nc_u32_e32 v4, 0x7fff, v4
	s_delay_alu instid0(VALU_DEP_1)
	v_lshrrev_b32_e32 v4, 16, v4
	global_store_b32 v[0:1], v4, off
.LBB30_390:
	s_and_b32 vcc_lo, exec_lo, s11
	s_cbranch_vccz .LBB30_395
; %bb.391:
	v_cmp_eq_u16_e32 vcc_lo, 44, v2
	s_mov_b32 s0, -1
	s_cbranch_vccz .LBB30_395
; %bb.392:
	s_xor_b32 s0, s2, s3
	s_cls_i32 s10, s3
	s_ashr_i32 s0, s0, 31
	s_add_i32 s10, s10, -1
	s_add_i32 s0, s0, 32
	v_mov_b32_e32 v5, 0xff
	s_min_u32 s0, s10, s0
	s_delay_alu instid0(SALU_CYCLE_1) | instskip(SKIP_2) | instid1(SALU_CYCLE_1)
	s_lshl_b64 s[10:11], s[2:3], s0
	s_sub_i32 s0, 32, s0
	s_min_u32 s10, s10, 1
	s_or_b32 s10, s11, s10
	s_delay_alu instid0(SALU_CYCLE_1) | instskip(SKIP_1) | instid1(VALU_DEP_1)
	v_cvt_f32_i32_e32 v4, s10
	s_mov_b32 s10, -1
	v_ldexp_f32 v4, v4, s0
	s_delay_alu instid0(VALU_DEP_1) | instskip(NEXT) | instid1(VALU_DEP_1)
	v_readfirstlane_b32 s0, v4
	s_bfe_u32 s11, s0, 0x80017
	s_delay_alu instid0(SALU_CYCLE_1)
	s_cmpk_eq_i32 s11, 0xff
	s_cbranch_scc1 .LBB30_394
; %bb.393:
	s_bitcmp1_b32 s0, 22
	v_lshrrev_b32_e32 v4, 23, v4
	s_cselect_b32 s12, -1, 0
	s_and_b32 s0, s0, 0x3fffff
	s_delay_alu instid0(SALU_CYCLE_1) | instskip(NEXT) | instid1(SALU_CYCLE_1)
	s_or_b32 s0, s11, s0
	s_cmp_lg_u32 s0, 0
	s_cselect_b32 s0, -1, 0
	s_delay_alu instid0(SALU_CYCLE_1) | instskip(NEXT) | instid1(SALU_CYCLE_1)
	s_and_b32 s0, s12, s0
	v_cndmask_b32_e64 v5, 0, 1, s0
	s_delay_alu instid0(VALU_DEP_1)
	v_add_nc_u32_e32 v5, v4, v5
.LBB30_394:
	s_mov_b32 s0, 0
	global_store_b8 v[0:1], v5, off
.LBB30_395:
	s_mov_b32 s11, 0
.LBB30_396:
	s_delay_alu instid0(SALU_CYCLE_1)
	s_and_b32 vcc_lo, exec_lo, s11
	s_cbranch_vccz .LBB30_399
; %bb.397:
	v_cmp_eq_u16_e32 vcc_lo, 29, v2
	s_mov_b32 s0, -1
	s_cbranch_vccz .LBB30_399
; %bb.398:
	v_dual_mov_b32 v5, s3 :: v_dual_mov_b32 v4, s2
	s_mov_b32 s0, 0
	s_mov_b32 s10, -1
	global_store_b64 v[0:1], v[4:5], off
.LBB30_399:
	s_mov_b32 s11, 0
.LBB30_400:
	s_delay_alu instid0(SALU_CYCLE_1)
	s_and_b32 vcc_lo, exec_lo, s11
	s_cbranch_vccz .LBB30_461
; %bb.401:
	v_cmp_gt_i16_e32 vcc_lo, 27, v2
	s_mov_b32 s10, -1
	s_cbranch_vccnz .LBB30_407
; %bb.402:
	v_cmp_lt_i16_e32 vcc_lo, 27, v2
	s_cbranch_vccz .LBB30_404
; %bb.403:
	v_mov_b32_e32 v4, s2
	s_mov_b32 s10, 0
	global_store_b32 v[0:1], v4, off
.LBB30_404:
	s_and_not1_b32 vcc_lo, exec_lo, s10
	s_cbranch_vccnz .LBB30_406
; %bb.405:
	v_mov_b32_e32 v4, s2
	global_store_b16 v[0:1], v4, off
.LBB30_406:
	s_mov_b32 s10, 0
.LBB30_407:
	s_delay_alu instid0(SALU_CYCLE_1)
	s_and_not1_b32 vcc_lo, exec_lo, s10
	s_cbranch_vccnz .LBB30_460
; %bb.408:
	s_xor_b32 s10, s2, s3
	s_cls_i32 s11, s3
	s_ashr_i32 s10, s10, 31
	s_add_i32 s11, s11, -1
	s_add_i32 s10, s10, 32
	v_mov_b32_e32 v5, 0x80
	s_min_u32 s12, s11, s10
	s_delay_alu instid0(SALU_CYCLE_1) | instskip(NEXT) | instid1(SALU_CYCLE_1)
	s_lshl_b64 s[10:11], s[2:3], s12
	s_min_u32 s10, s10, 1
	s_delay_alu instid0(SALU_CYCLE_1) | instskip(NEXT) | instid1(SALU_CYCLE_1)
	s_or_b32 s10, s11, s10
	v_cvt_f32_i32_e32 v4, s10
	s_sub_i32 s10, 32, s12
	s_mov_b32 s12, -1
	s_delay_alu instid0(VALU_DEP_1) | instskip(NEXT) | instid1(VALU_DEP_1)
	v_ldexp_f32 v4, v4, s10
	v_readfirstlane_b32 s10, v4
	s_delay_alu instid0(VALU_DEP_1) | instskip(NEXT) | instid1(SALU_CYCLE_1)
	s_and_b32 s11, s10, 0x7fffffff
	s_cmp_gt_u32 s11, 0x437fffff
	s_cbranch_scc1 .LBB30_459
; %bb.409:
	s_cmp_gt_u32 s11, 0x3bffffff
	s_cbranch_scc0 .LBB30_454
; %bb.410:
	s_bfe_u32 s11, s10, 0x10014
	s_mov_b32 s12, 0
	s_add_i32 s11, s10, s11
	s_delay_alu instid0(SALU_CYCLE_1) | instskip(NEXT) | instid1(SALU_CYCLE_1)
	s_add_i32 s11, s11, 0x487ffff
	s_lshr_b32 s13, s11, 20
	s_mov_b32 s11, -1
	s_branch .LBB30_455
.LBB30_411:
	s_mov_b32 s10, 0
	s_cbranch_execz .LBB30_615
; %bb.412:
	v_cmp_gt_i16_e32 vcc_lo, 5, v2
	s_mov_b32 s0, -1
	s_cbranch_vccnz .LBB30_433
; %bb.413:
	v_cmp_gt_i16_e32 vcc_lo, 8, v2
	s_cbranch_vccnz .LBB30_423
; %bb.414:
	v_cmp_gt_i16_e32 vcc_lo, 9, v2
	s_cbranch_vccnz .LBB30_420
; %bb.415:
	v_cmp_lt_i16_e32 vcc_lo, 9, v2
	s_cbranch_vccz .LBB30_417
; %bb.416:
	v_cvt_f64_i32_e32 v[4:5], s3
	v_cvt_f64_u32_e32 v[6:7], s2
	s_mov_b32 s0, 0
	s_delay_alu instid0(VALU_DEP_2) | instskip(NEXT) | instid1(VALU_DEP_1)
	v_ldexp_f64 v[4:5], v[4:5], 32
	v_add_f64 v[4:5], v[4:5], v[6:7]
	v_mov_b32_e32 v6, 0
	s_delay_alu instid0(VALU_DEP_1)
	v_mov_b32_e32 v7, v6
	global_store_b128 v[0:1], v[4:7], off
.LBB30_417:
	s_and_not1_b32 vcc_lo, exec_lo, s0
	s_cbranch_vccnz .LBB30_419
; %bb.418:
	s_xor_b32 s0, s2, s3
	s_cls_i32 s9, s3
	s_ashr_i32 s0, s0, 31
	s_add_i32 s9, s9, -1
	s_add_i32 s0, s0, 32
	v_mov_b32_e32 v5, 0
	s_min_u32 s0, s9, s0
	s_delay_alu instid0(SALU_CYCLE_1) | instskip(SKIP_2) | instid1(SALU_CYCLE_1)
	s_lshl_b64 s[10:11], s[2:3], s0
	s_sub_i32 s0, 32, s0
	s_min_u32 s9, s10, 1
	s_or_b32 s9, s11, s9
	s_delay_alu instid0(SALU_CYCLE_1) | instskip(NEXT) | instid1(VALU_DEP_1)
	v_cvt_f32_i32_e32 v4, s9
	v_ldexp_f32 v4, v4, s0
	global_store_b64 v[0:1], v[4:5], off
.LBB30_419:
	s_mov_b32 s0, 0
.LBB30_420:
	s_delay_alu instid0(SALU_CYCLE_1)
	s_and_not1_b32 vcc_lo, exec_lo, s0
	s_cbranch_vccnz .LBB30_422
; %bb.421:
	s_xor_b32 s0, s2, s3
	s_cls_i32 s9, s3
	s_ashr_i32 s0, s0, 31
	s_add_i32 s9, s9, -1
	s_add_i32 s0, s0, 32
	s_delay_alu instid0(SALU_CYCLE_1) | instskip(NEXT) | instid1(SALU_CYCLE_1)
	s_min_u32 s0, s9, s0
	s_lshl_b64 s[10:11], s[2:3], s0
	s_sub_i32 s0, 32, s0
	s_min_u32 s9, s10, 1
	s_delay_alu instid0(SALU_CYCLE_1) | instskip(NEXT) | instid1(SALU_CYCLE_1)
	s_or_b32 s9, s11, s9
	v_cvt_f32_i32_e32 v4, s9
	s_delay_alu instid0(VALU_DEP_1) | instskip(NEXT) | instid1(VALU_DEP_1)
	v_ldexp_f32 v4, v4, s0
	v_cvt_f16_f32_e32 v4, v4
	s_delay_alu instid0(VALU_DEP_1)
	v_and_b32_e32 v4, 0xffff, v4
	global_store_b32 v[0:1], v4, off
.LBB30_422:
	s_mov_b32 s0, 0
.LBB30_423:
	s_delay_alu instid0(SALU_CYCLE_1)
	s_and_not1_b32 vcc_lo, exec_lo, s0
	s_cbranch_vccnz .LBB30_432
; %bb.424:
	v_cmp_gt_i16_e32 vcc_lo, 6, v2
	s_mov_b32 s0, -1
	s_cbranch_vccnz .LBB30_430
; %bb.425:
	v_cmp_lt_i16_e32 vcc_lo, 6, v2
	s_cbranch_vccz .LBB30_427
; %bb.426:
	v_cvt_f64_i32_e32 v[4:5], s3
	v_cvt_f64_u32_e32 v[6:7], s2
	s_mov_b32 s0, 0
	s_delay_alu instid0(VALU_DEP_2) | instskip(NEXT) | instid1(VALU_DEP_1)
	v_ldexp_f64 v[4:5], v[4:5], 32
	v_add_f64 v[4:5], v[4:5], v[6:7]
	global_store_b64 v[0:1], v[4:5], off
.LBB30_427:
	s_and_not1_b32 vcc_lo, exec_lo, s0
	s_cbranch_vccnz .LBB30_429
; %bb.428:
	s_xor_b32 s0, s2, s3
	s_cls_i32 s9, s3
	s_ashr_i32 s0, s0, 31
	s_add_i32 s9, s9, -1
	s_add_i32 s0, s0, 32
	s_delay_alu instid0(SALU_CYCLE_1) | instskip(NEXT) | instid1(SALU_CYCLE_1)
	s_min_u32 s0, s9, s0
	s_lshl_b64 s[10:11], s[2:3], s0
	s_sub_i32 s0, 32, s0
	s_min_u32 s9, s10, 1
	s_delay_alu instid0(SALU_CYCLE_1) | instskip(NEXT) | instid1(SALU_CYCLE_1)
	s_or_b32 s9, s11, s9
	v_cvt_f32_i32_e32 v4, s9
	s_delay_alu instid0(VALU_DEP_1)
	v_ldexp_f32 v4, v4, s0
	global_store_b32 v[0:1], v4, off
.LBB30_429:
	s_mov_b32 s0, 0
.LBB30_430:
	s_delay_alu instid0(SALU_CYCLE_1)
	s_and_not1_b32 vcc_lo, exec_lo, s0
	s_cbranch_vccnz .LBB30_432
; %bb.431:
	s_xor_b32 s0, s2, s3
	s_cls_i32 s9, s3
	s_ashr_i32 s0, s0, 31
	s_add_i32 s9, s9, -1
	s_add_i32 s0, s0, 32
	s_delay_alu instid0(SALU_CYCLE_1) | instskip(NEXT) | instid1(SALU_CYCLE_1)
	s_min_u32 s0, s9, s0
	s_lshl_b64 s[10:11], s[2:3], s0
	s_sub_i32 s0, 32, s0
	s_min_u32 s9, s10, 1
	s_delay_alu instid0(SALU_CYCLE_1) | instskip(NEXT) | instid1(SALU_CYCLE_1)
	s_or_b32 s9, s11, s9
	v_cvt_f32_i32_e32 v4, s9
	s_delay_alu instid0(VALU_DEP_1) | instskip(NEXT) | instid1(VALU_DEP_1)
	v_ldexp_f32 v4, v4, s0
	v_cvt_f16_f32_e32 v4, v4
	global_store_b16 v[0:1], v4, off
.LBB30_432:
	s_mov_b32 s0, 0
.LBB30_433:
	s_delay_alu instid0(SALU_CYCLE_1)
	s_and_not1_b32 vcc_lo, exec_lo, s0
	s_cbranch_vccnz .LBB30_449
; %bb.434:
	v_cmp_gt_i16_e32 vcc_lo, 2, v2
	s_mov_b32 s0, -1
	s_cbranch_vccnz .LBB30_444
; %bb.435:
	v_cmp_gt_i16_e32 vcc_lo, 3, v2
	s_cbranch_vccnz .LBB30_441
; %bb.436:
	v_cmp_lt_i16_e32 vcc_lo, 3, v2
	s_cbranch_vccz .LBB30_438
; %bb.437:
	v_dual_mov_b32 v5, s3 :: v_dual_mov_b32 v4, s2
	s_mov_b32 s0, 0
	global_store_b64 v[0:1], v[4:5], off
.LBB30_438:
	s_and_not1_b32 vcc_lo, exec_lo, s0
	s_cbranch_vccnz .LBB30_440
; %bb.439:
	v_mov_b32_e32 v4, s2
	global_store_b32 v[0:1], v4, off
.LBB30_440:
	s_mov_b32 s0, 0
.LBB30_441:
	s_delay_alu instid0(SALU_CYCLE_1)
	s_and_not1_b32 vcc_lo, exec_lo, s0
	s_cbranch_vccnz .LBB30_443
; %bb.442:
	v_mov_b32_e32 v4, s2
	global_store_b16 v[0:1], v4, off
.LBB30_443:
	s_mov_b32 s0, 0
.LBB30_444:
	s_delay_alu instid0(SALU_CYCLE_1)
	s_and_not1_b32 vcc_lo, exec_lo, s0
	s_cbranch_vccnz .LBB30_449
; %bb.445:
	v_cmp_lt_i16_e32 vcc_lo, 0, v2
	s_mov_b32 s0, -1
	s_cbranch_vccz .LBB30_447
; %bb.446:
	v_mov_b32_e32 v4, s2
	s_mov_b32 s0, 0
	global_store_b8 v[0:1], v4, off
.LBB30_447:
	s_and_not1_b32 vcc_lo, exec_lo, s0
	s_cbranch_vccnz .LBB30_449
; %bb.448:
	v_mov_b32_e32 v4, s2
	global_store_b8 v[0:1], v4, off
.LBB30_449:
	s_branch .LBB30_616
.LBB30_450:
	s_cbranch_execnz .LBB30_452
; %bb.451:
	s_or_b32 s8, s1, exec_lo
	s_cbranch_execz .LBB30_380
	s_branch .LBB30_381
.LBB30_452:
	s_trap 2
	s_sendmsg_rtn_b32 s0, sendmsg(MSG_RTN_GET_DOORBELL)
	s_mov_b32 ttmp2, m0
	s_waitcnt lgkmcnt(0)
	s_and_b32 s0, s0, 0x3ff
	s_delay_alu instid0(SALU_CYCLE_1) | instskip(NEXT) | instid1(SALU_CYCLE_1)
	s_bitset1_b32 s0, 10
	s_mov_b32 m0, s0
	s_sendmsg sendmsg(MSG_INTERRUPT)
	s_mov_b32 m0, ttmp2
.LBB30_453:                             ; =>This Inner Loop Header: Depth=1
	s_sethalt 5
	s_branch .LBB30_453
.LBB30_454:
	s_mov_b32 s11, 0
                                        ; implicit-def: $sgpr13
.LBB30_455:
	v_mov_b32_e32 v4, s13
	s_and_not1_b32 vcc_lo, exec_lo, s12
                                        ; implicit-def: $sgpr12
	s_cbranch_vccnz .LBB30_457
; %bb.456:
	v_add_f32_e64 v4, 0x46000000, |s10|
	s_mov_b32 s12, 0
	s_delay_alu instid0(VALU_DEP_1) | instskip(NEXT) | instid1(VALU_DEP_1)
	v_and_b32_e32 v4, 0xff, v4
	v_cmp_ne_u32_e64 s11, 0, v4
.LBB30_457:
	v_mov_b32_e32 v5, s12
	s_delay_alu instid0(VALU_DEP_2)
	s_and_not1_b32 vcc_lo, exec_lo, s11
	s_cbranch_vccnz .LBB30_459
; %bb.458:
	s_lshr_b32 s10, s10, 24
	s_delay_alu instid0(SALU_CYCLE_1) | instskip(NEXT) | instid1(SALU_CYCLE_1)
	s_and_b32 s10, s10, 0x80
	v_or_b32_e32 v5, s10, v4
.LBB30_459:
	global_store_b8 v[0:1], v5, off
.LBB30_460:
	s_mov_b32 s10, -1
.LBB30_461:
	s_mov_b32 s11, 0
.LBB30_462:
	s_delay_alu instid0(SALU_CYCLE_1)
	s_and_b32 vcc_lo, exec_lo, s11
	s_cbranch_vccz .LBB30_611
; %bb.463:
	v_cmp_lt_i16_e32 vcc_lo, 22, v2
	s_mov_b32 s9, -1
	s_cbranch_vccz .LBB30_604
; %bb.464:
	v_cmp_gt_i16_e32 vcc_lo, 24, v2
	s_cbranch_vccnz .LBB30_591
; %bb.465:
	v_cmp_lt_i16_e32 vcc_lo, 24, v2
	s_cbranch_vccz .LBB30_578
; %bb.466:
	s_xor_b32 s9, s2, s3
	s_cls_i32 s10, s3
	s_ashr_i32 s9, s9, 31
	s_add_i32 s10, s10, -1
	s_add_i32 s9, s9, 32
	v_mov_b32_e32 v5, 0x80
	s_min_u32 s9, s10, s9
	s_delay_alu instid0(SALU_CYCLE_1) | instskip(SKIP_2) | instid1(SALU_CYCLE_1)
	s_lshl_b64 s[10:11], s[2:3], s9
	s_sub_i32 s9, 32, s9
	s_min_u32 s10, s10, 1
	s_or_b32 s10, s11, s10
	s_mov_b32 s11, -1
	v_cvt_f32_i32_e32 v4, s10
	s_delay_alu instid0(VALU_DEP_1) | instskip(NEXT) | instid1(VALU_DEP_1)
	v_ldexp_f32 v4, v4, s9
	v_readfirstlane_b32 s9, v4
	s_delay_alu instid0(VALU_DEP_1) | instskip(NEXT) | instid1(SALU_CYCLE_1)
	s_and_b32 s10, s9, 0x7fffffff
	s_cmp_gt_u32 s10, 0x477fffff
	s_cbranch_scc1 .LBB30_577
; %bb.467:
	s_cmp_gt_u32 s10, 0x37ffffff
	s_cbranch_scc0 .LBB30_572
; %bb.468:
	s_bfe_u32 s10, s9, 0x10015
	s_mov_b32 s11, 0
	s_add_i32 s10, s9, s10
	s_delay_alu instid0(SALU_CYCLE_1) | instskip(NEXT) | instid1(SALU_CYCLE_1)
	s_add_i32 s10, s10, 0x88fffff
	s_lshr_b32 s12, s10, 21
	s_mov_b32 s10, -1
	s_branch .LBB30_573
.LBB30_469:
	s_mov_b32 s36, -1
	s_mov_b32 s35, 0
	s_mov_b32 s1, s31
.LBB30_470:
	s_and_b32 vcc_lo, exec_lo, s36
	s_cbranch_vccz .LBB30_473
; %bb.471:
	v_cmp_eq_u16_e32 vcc_lo, 44, v17
	s_mov_b32 s1, -1
	s_cbranch_vccz .LBB30_473
; %bb.472:
	v_cndmask_b32_e64 v2, v16, 0xff, s0
	s_mov_b32 s35, -1
	s_mov_b32 s1, 0
	global_store_b8 v[6:7], v2, off
.LBB30_473:
	s_mov_b32 s36, 0
.LBB30_474:
	s_delay_alu instid0(SALU_CYCLE_1)
	s_and_b32 vcc_lo, exec_lo, s36
	s_cbranch_vccz .LBB30_477
; %bb.475:
	v_cmp_eq_u16_e32 vcc_lo, 29, v17
	s_mov_b32 s1, -1
	s_cbranch_vccz .LBB30_477
; %bb.476:
	v_dual_mov_b32 v2, s2 :: v_dual_mov_b32 v3, s3
	s_mov_b32 s35, -1
	s_mov_b32 s1, 0
	s_mov_b32 s36, 0
	global_store_b64 v[6:7], v[2:3], off
	s_branch .LBB30_478
.LBB30_477:
	s_mov_b32 s36, 0
.LBB30_478:
	s_delay_alu instid0(SALU_CYCLE_1)
	s_and_b32 vcc_lo, exec_lo, s36
	s_cbranch_vccz .LBB30_491
; %bb.479:
	v_cmp_gt_i16_e32 vcc_lo, 27, v17
	s_mov_b32 s35, -1
	s_cbranch_vccnz .LBB30_485
; %bb.480:
	v_cmp_lt_i16_e32 vcc_lo, 27, v17
	s_cbranch_vccz .LBB30_482
; %bb.481:
	v_mov_b32_e32 v2, s2
	s_mov_b32 s35, 0
	global_store_b32 v[6:7], v2, off
.LBB30_482:
	s_and_not1_b32 vcc_lo, exec_lo, s35
	s_cbranch_vccnz .LBB30_484
; %bb.483:
	v_mov_b32_e32 v2, s2
	global_store_b16 v[6:7], v2, off
.LBB30_484:
	s_mov_b32 s35, 0
.LBB30_485:
	s_delay_alu instid0(SALU_CYCLE_1)
	s_and_not1_b32 vcc_lo, exec_lo, s35
	s_cbranch_vccnz .LBB30_490
; %bb.486:
	v_mov_b32_e32 v2, 0x80
	s_and_not1_b32 vcc_lo, exec_lo, s26
	s_cbranch_vccnz .LBB30_489
; %bb.487:
	v_mov_b32_e32 v2, 0
	s_or_b32 s35, s24, s27
	s_delay_alu instid0(SALU_CYCLE_1)
	s_and_not1_b32 vcc_lo, exec_lo, s35
	s_cbranch_vccnz .LBB30_489
; %bb.488:
	v_cndmask_b32_e64 v2, v14, s25, s24
	s_delay_alu instid0(VALU_DEP_1)
	v_or_b32_e32 v2, v2, v12
.LBB30_489:
	global_store_b8 v[6:7], v2, off
.LBB30_490:
	s_mov_b32 s35, -1
.LBB30_491:
	s_mov_b32 s36, 0
.LBB30_492:
	s_delay_alu instid0(SALU_CYCLE_1)
	s_and_b32 vcc_lo, exec_lo, s36
	s_cbranch_vccz .LBB30_514
; %bb.493:
	v_cmp_lt_i16_e32 vcc_lo, 22, v17
	s_mov_b32 s36, -1
	s_cbranch_vccz .LBB30_506
; %bb.494:
	v_cmp_gt_i16_e32 vcc_lo, 24, v17
	s_mov_b32 s35, -1
	s_cbranch_vccnz .LBB30_503
; %bb.495:
	v_cmp_lt_i16_e32 vcc_lo, 24, v17
	s_cbranch_vccz .LBB30_500
; %bb.496:
	v_mov_b32_e32 v2, 0x80
	s_and_not1_b32 vcc_lo, exec_lo, s21
	s_cbranch_vccnz .LBB30_499
; %bb.497:
	v_mov_b32_e32 v2, 0
	s_or_b32 s35, s17, s23
	s_delay_alu instid0(SALU_CYCLE_1)
	s_and_not1_b32 vcc_lo, exec_lo, s35
	s_cbranch_vccnz .LBB30_499
; %bb.498:
	v_cndmask_b32_e64 v2, v13, s19, s17
	s_delay_alu instid0(VALU_DEP_1)
	v_or_b32_e32 v2, v2, v12
.LBB30_499:
	s_mov_b32 s35, 0
	global_store_b8 v[6:7], v2, off
.LBB30_500:
	s_and_b32 vcc_lo, exec_lo, s35
	s_cbranch_vccz .LBB30_502
; %bb.501:
	s_and_b32 s35, s14, exec_lo
	s_cselect_b32 s35, s22, s18
	s_and_b32 s36, s13, exec_lo
	s_cselect_b32 s35, s20, s35
	s_delay_alu instid0(SALU_CYCLE_1)
	v_or_b32_e32 v2, s35, v12
	global_store_b8 v[6:7], v2, off
.LBB30_502:
	s_mov_b32 s35, 0
.LBB30_503:
	s_delay_alu instid0(SALU_CYCLE_1)
	s_and_not1_b32 vcc_lo, exec_lo, s35
	s_cbranch_vccnz .LBB30_505
; %bb.504:
	s_and_b32 s35, s11, exec_lo
	s_cselect_b32 s35, s16, s12
	s_and_b32 s36, s10, exec_lo
	s_cselect_b32 s35, s15, s35
	s_delay_alu instid0(SALU_CYCLE_1)
	v_or_b32_e32 v2, s35, v12
	global_store_b8 v[6:7], v2, off
.LBB30_505:
	s_mov_b32 s36, 0
	s_mov_b32 s35, -1
.LBB30_506:
	s_and_not1_b32 vcc_lo, exec_lo, s36
	s_cbranch_vccnz .LBB30_514
; %bb.507:
	v_cmp_lt_i16_e32 vcc_lo, 14, v17
	s_mov_b32 s36, -1
	s_cbranch_vccz .LBB30_511
; %bb.508:
	v_cmp_eq_u16_e32 vcc_lo, 15, v17
	s_mov_b32 s1, -1
	s_cbranch_vccz .LBB30_510
; %bb.509:
	s_mov_b32 s35, -1
	s_mov_b32 s1, 0
	global_store_b16 v[6:7], v11, off
.LBB30_510:
	s_mov_b32 s36, 0
.LBB30_511:
	s_delay_alu instid0(SALU_CYCLE_1)
	s_and_b32 vcc_lo, exec_lo, s36
	s_cbranch_vccz .LBB30_514
; %bb.512:
	v_cmp_eq_u16_e32 vcc_lo, 11, v17
	s_mov_b32 s1, -1
	s_cbranch_vccz .LBB30_514
; %bb.513:
	s_mov_b32 s35, -1
	s_mov_b32 s1, 0
	global_store_b8 v[6:7], v10, off
.LBB30_514:
	s_mov_b32 s36, 0
.LBB30_515:
	s_delay_alu instid0(SALU_CYCLE_1)
	s_and_b32 vcc_lo, exec_lo, s36
	s_cbranch_vccz .LBB30_554
; %bb.516:
	v_cmp_gt_i16_e32 vcc_lo, 5, v17
	s_mov_b32 s35, -1
	s_cbranch_vccnz .LBB30_537
; %bb.517:
	v_cmp_gt_i16_e32 vcc_lo, 8, v17
	s_cbranch_vccnz .LBB30_527
; %bb.518:
	v_cmp_gt_i16_e32 vcc_lo, 9, v17
	s_cbranch_vccnz .LBB30_524
; %bb.519:
	v_cmp_lt_i16_e32 vcc_lo, 9, v17
	s_cbranch_vccz .LBB30_521
; %bb.520:
	v_mov_b32_e32 v2, 0
	s_mov_b32 s35, 0
	s_delay_alu instid0(VALU_DEP_1)
	v_mov_b32_e32 v3, v2
	global_store_b128 v[6:7], v[0:3], off
.LBB30_521:
	s_and_not1_b32 vcc_lo, exec_lo, s35
	s_cbranch_vccnz .LBB30_523
; %bb.522:
	v_mov_b32_e32 v5, 0
	global_store_b64 v[6:7], v[4:5], off
.LBB30_523:
	s_mov_b32 s35, 0
.LBB30_524:
	s_delay_alu instid0(SALU_CYCLE_1)
	s_and_not1_b32 vcc_lo, exec_lo, s35
	s_cbranch_vccnz .LBB30_526
; %bb.525:
	global_store_b32 v[6:7], v9, off
.LBB30_526:
	s_mov_b32 s35, 0
.LBB30_527:
	s_delay_alu instid0(SALU_CYCLE_1)
	s_and_not1_b32 vcc_lo, exec_lo, s35
	s_cbranch_vccnz .LBB30_536
; %bb.528:
	v_cmp_gt_i16_e32 vcc_lo, 6, v17
	s_mov_b32 s35, -1
	s_cbranch_vccnz .LBB30_534
; %bb.529:
	v_cmp_lt_i16_e32 vcc_lo, 6, v17
	s_cbranch_vccz .LBB30_531
; %bb.530:
	s_mov_b32 s35, 0
	global_store_b64 v[6:7], v[0:1], off
.LBB30_531:
	s_and_not1_b32 vcc_lo, exec_lo, s35
	s_cbranch_vccnz .LBB30_533
; %bb.532:
	global_store_b32 v[6:7], v4, off
.LBB30_533:
	s_mov_b32 s35, 0
.LBB30_534:
	s_delay_alu instid0(SALU_CYCLE_1)
	s_and_not1_b32 vcc_lo, exec_lo, s35
	s_cbranch_vccnz .LBB30_536
; %bb.535:
	global_store_b16 v[6:7], v8, off
.LBB30_536:
	s_mov_b32 s35, 0
.LBB30_537:
	s_delay_alu instid0(SALU_CYCLE_1)
	s_and_not1_b32 vcc_lo, exec_lo, s35
	s_cbranch_vccnz .LBB30_553
; %bb.538:
	v_cmp_gt_i16_e32 vcc_lo, 2, v17
	s_mov_b32 s35, -1
	s_cbranch_vccnz .LBB30_548
; %bb.539:
	v_cmp_gt_i16_e32 vcc_lo, 3, v17
	s_cbranch_vccnz .LBB30_545
; %bb.540:
	v_cmp_lt_i16_e32 vcc_lo, 3, v17
	s_cbranch_vccz .LBB30_542
; %bb.541:
	v_dual_mov_b32 v2, s2 :: v_dual_mov_b32 v3, s3
	s_mov_b32 s35, 0
	global_store_b64 v[6:7], v[2:3], off
.LBB30_542:
	s_and_not1_b32 vcc_lo, exec_lo, s35
	s_cbranch_vccnz .LBB30_544
; %bb.543:
	v_mov_b32_e32 v2, s2
	global_store_b32 v[6:7], v2, off
.LBB30_544:
	s_mov_b32 s35, 0
.LBB30_545:
	s_delay_alu instid0(SALU_CYCLE_1)
	s_and_not1_b32 vcc_lo, exec_lo, s35
	s_cbranch_vccnz .LBB30_547
; %bb.546:
	v_mov_b32_e32 v2, s2
	global_store_b16 v[6:7], v2, off
.LBB30_547:
	s_mov_b32 s35, 0
.LBB30_548:
	s_delay_alu instid0(SALU_CYCLE_1)
	s_and_not1_b32 vcc_lo, exec_lo, s35
	s_cbranch_vccnz .LBB30_553
; %bb.549:
	v_cmp_lt_i16_e32 vcc_lo, 0, v17
	s_mov_b32 s35, -1
	s_cbranch_vccz .LBB30_551
; %bb.550:
	v_mov_b32_e32 v2, s2
	s_mov_b32 s35, 0
	global_store_b8 v[6:7], v2, off
.LBB30_551:
	s_and_not1_b32 vcc_lo, exec_lo, s35
	s_cbranch_vccnz .LBB30_553
; %bb.552:
	v_mov_b32_e32 v2, s2
	global_store_b8 v[6:7], v2, off
.LBB30_553:
	s_mov_b32 s35, -1
.LBB30_554:
	s_delay_alu instid0(SALU_CYCLE_1)
	s_and_not1_b32 vcc_lo, exec_lo, s35
	s_cbranch_vccnz .LBB30_556
; %bb.555:
	v_add_nc_u32_e32 v15, 0x80, v15
	s_mov_b32 s36, -1
	s_branch .LBB30_557
.LBB30_556:
	s_mov_b32 s36, 0
                                        ; implicit-def: $vgpr15
.LBB30_557:
	s_and_not1_b32 s35, s31, exec_lo
	s_and_b32 s1, s1, exec_lo
	s_or_not1_b32 s37, s36, exec_lo
	s_or_b32 s35, s35, s1
.LBB30_558:
	s_or_b32 exec_lo, exec_lo, s34
	s_mov_b32 s1, 0
	s_mov_b32 s36, 0
                                        ; implicit-def: $vgpr17
                                        ; implicit-def: $vgpr6_vgpr7
	s_and_saveexec_b32 s34, s37
	s_cbranch_execz .LBB30_789
; %bb.559:
	v_cmp_gt_i32_e32 vcc_lo, s28, v15
	s_mov_b32 s37, s35
                                        ; implicit-def: $vgpr17
                                        ; implicit-def: $vgpr6_vgpr7
	s_and_saveexec_b32 s28, vcc_lo
	s_cbranch_execz .LBB30_788
; %bb.560:
	v_mul_lo_u32 v2, v15, s6
	v_and_b32_e64 v17, 0xff, s9
	s_delay_alu instid0(VALU_DEP_1) | instskip(NEXT) | instid1(VALU_DEP_3)
	v_cmp_gt_i16_e32 vcc_lo, 11, v17
	v_ashrrev_i32_e32 v3, 31, v2
	v_add_co_u32 v6, s1, s4, v2
	s_delay_alu instid0(VALU_DEP_1)
	v_add_co_ci_u32_e64 v7, s1, s5, v3, s1
	s_cbranch_vccnz .LBB30_571
; %bb.561:
	v_cmp_lt_i16_e32 vcc_lo, 25, v17
	s_mov_b32 s36, -1
	s_mov_b32 s1, s35
	s_cbranch_vccz .LBB30_765
; %bb.562:
	v_cmp_lt_i16_e32 vcc_lo, 28, v17
	s_mov_b32 s1, s35
	s_cbranch_vccz .LBB30_752
; %bb.563:
	v_cmp_lt_i16_e32 vcc_lo, 43, v17
	;; [unrolled: 4-line block ×3, first 2 shown]
	s_mov_b32 s1, s35
	s_cbranch_vccz .LBB30_568
; %bb.565:
	v_cmp_eq_u16_e32 vcc_lo, 46, v17
	s_mov_b32 s1, -1
	s_cbranch_vccz .LBB30_567
; %bb.566:
	s_mov_b32 s1, 0
	global_store_b32 v[6:7], v11, off
.LBB30_567:
	s_mov_b32 s36, 0
.LBB30_568:
	s_delay_alu instid0(SALU_CYCLE_1)
	s_and_b32 vcc_lo, exec_lo, s36
	s_cbranch_vccz .LBB30_747
; %bb.569:
	v_cmp_eq_u16_e32 vcc_lo, 44, v17
	s_mov_b32 s1, -1
	s_cbranch_vccz .LBB30_747
; %bb.570:
	v_cndmask_b32_e64 v2, v16, 0xff, s0
	s_mov_b32 s1, 0
	s_mov_b32 s36, 0
	global_store_b8 v[6:7], v2, off
	s_branch .LBB30_748
.LBB30_571:
	s_mov_b32 s10, 0
	s_mov_b32 s0, -1
	s_mov_b32 s1, s35
	s_branch .LBB30_787
.LBB30_572:
	s_mov_b32 s10, 0
                                        ; implicit-def: $sgpr12
.LBB30_573:
	v_mov_b32_e32 v4, s12
	s_and_not1_b32 vcc_lo, exec_lo, s11
                                        ; implicit-def: $sgpr11
	s_cbranch_vccnz .LBB30_575
; %bb.574:
	v_add_f32_e64 v4, 0x42800000, |s9|
	s_mov_b32 s11, 0
	s_delay_alu instid0(VALU_DEP_1) | instskip(NEXT) | instid1(VALU_DEP_1)
	v_and_b32_e32 v4, 0xff, v4
	v_cmp_ne_u32_e64 s10, 0, v4
.LBB30_575:
	v_mov_b32_e32 v5, s11
	s_delay_alu instid0(VALU_DEP_2)
	s_and_not1_b32 vcc_lo, exec_lo, s10
	s_cbranch_vccnz .LBB30_577
; %bb.576:
	s_lshr_b32 s9, s9, 24
	s_delay_alu instid0(SALU_CYCLE_1) | instskip(NEXT) | instid1(SALU_CYCLE_1)
	s_and_b32 s9, s9, 0x80
	v_or_b32_e32 v5, s9, v4
.LBB30_577:
	s_mov_b32 s9, 0
	global_store_b8 v[0:1], v5, off
.LBB30_578:
	s_and_b32 vcc_lo, exec_lo, s9
	s_cbranch_vccz .LBB30_590
; %bb.579:
	s_xor_b32 s9, s2, s3
	s_cls_i32 s10, s3
	s_ashr_i32 s9, s9, 31
	s_add_i32 s10, s10, -1
	s_add_i32 s9, s9, 32
	s_delay_alu instid0(SALU_CYCLE_1) | instskip(NEXT) | instid1(SALU_CYCLE_1)
	s_min_u32 s9, s10, s9
	s_lshl_b64 s[10:11], s[2:3], s9
	s_sub_i32 s9, 32, s9
	s_min_u32 s10, s10, 1
	s_delay_alu instid0(SALU_CYCLE_1) | instskip(SKIP_2) | instid1(VALU_DEP_1)
	s_or_b32 s10, s11, s10
	s_mov_b32 s11, -1
	v_cvt_f32_i32_e32 v4, s10
	v_ldexp_f32 v4, v4, s9
	s_delay_alu instid0(VALU_DEP_1) | instskip(NEXT) | instid1(VALU_DEP_1)
	v_readfirstlane_b32 s9, v4
	s_and_b32 s10, s9, 0x7fffffff
	s_delay_alu instid0(SALU_CYCLE_1)
	s_cmp_lt_u32 s10, 0x43f00000
	s_cbranch_scc0 .LBB30_582
; %bb.580:
	s_cmp_gt_u32 s10, 0x3c7fffff
	s_cbranch_scc0 .LBB30_583
; %bb.581:
	s_bfe_u32 s11, s9, 0x10014
	s_delay_alu instid0(SALU_CYCLE_1) | instskip(NEXT) | instid1(SALU_CYCLE_1)
	s_add_i32 s11, s9, s11
	s_add_i32 s11, s11, 0x407ffff
	s_delay_alu instid0(SALU_CYCLE_1)
	s_and_b32 s12, s11, 0xff00000
	s_lshr_b32 s11, s11, 20
	s_cmp_lg_u32 s12, 0x7f00000
	s_cselect_b32 s12, s11, 0x7e
	s_mov_b32 s11, 0
	s_branch .LBB30_584
.LBB30_582:
                                        ; implicit-def: $vgpr5
	s_branch .LBB30_587
.LBB30_583:
                                        ; implicit-def: $sgpr12
.LBB30_584:
	v_mov_b32_e32 v5, s12
	s_and_not1_b32 vcc_lo, exec_lo, s11
	s_cbranch_vccnz .LBB30_586
; %bb.585:
	v_add_f32_e64 v5, 0x46800000, |v4|
.LBB30_586:
	s_mov_b32 s11, 0
.LBB30_587:
	s_delay_alu instid0(SALU_CYCLE_1)
	s_and_not1_b32 vcc_lo, exec_lo, s11
	s_cbranch_vccnz .LBB30_589
; %bb.588:
	s_cmp_gt_u32 s10, 0x7f800000
	s_movk_i32 s10, 0x7f
	s_delay_alu instid0(SALU_CYCLE_1) | instskip(NEXT) | instid1(SALU_CYCLE_1)
	s_cselect_b32 s10, s10, 0x7e
	v_mov_b32_e32 v5, s10
.LBB30_589:
	s_lshr_b32 s9, s9, 24
	s_delay_alu instid0(SALU_CYCLE_1)
	s_and_b32 s9, s9, 0x80
	s_delay_alu instid0(VALU_DEP_1) | instid1(SALU_CYCLE_1)
	v_or_b32_e32 v4, s9, v5
	global_store_b8 v[0:1], v4, off
.LBB30_590:
	s_mov_b32 s9, 0
.LBB30_591:
	s_delay_alu instid0(SALU_CYCLE_1)
	s_and_not1_b32 vcc_lo, exec_lo, s9
	s_cbranch_vccnz .LBB30_603
; %bb.592:
	s_xor_b32 s9, s2, s3
	s_cls_i32 s10, s3
	s_ashr_i32 s9, s9, 31
	s_add_i32 s10, s10, -1
	s_add_i32 s9, s9, 32
	s_delay_alu instid0(SALU_CYCLE_1) | instskip(NEXT) | instid1(SALU_CYCLE_1)
	s_min_u32 s9, s10, s9
	s_lshl_b64 s[10:11], s[2:3], s9
	s_sub_i32 s9, 32, s9
	s_min_u32 s10, s10, 1
	s_delay_alu instid0(SALU_CYCLE_1) | instskip(SKIP_2) | instid1(VALU_DEP_1)
	s_or_b32 s10, s11, s10
	s_mov_b32 s11, -1
	v_cvt_f32_i32_e32 v4, s10
	v_ldexp_f32 v4, v4, s9
	s_delay_alu instid0(VALU_DEP_1) | instskip(NEXT) | instid1(VALU_DEP_1)
	v_readfirstlane_b32 s9, v4
	s_and_b32 s10, s9, 0x7fffffff
	s_delay_alu instid0(SALU_CYCLE_1)
	s_cmp_lt_u32 s10, 0x47800000
	s_cbranch_scc0 .LBB30_595
; %bb.593:
	s_cmp_gt_u32 s10, 0x387fffff
	s_cbranch_scc0 .LBB30_596
; %bb.594:
	s_bfe_u32 s11, s9, 0x10015
	s_delay_alu instid0(SALU_CYCLE_1) | instskip(NEXT) | instid1(SALU_CYCLE_1)
	s_add_i32 s11, s9, s11
	s_add_i32 s11, s11, 0x80fffff
	s_delay_alu instid0(SALU_CYCLE_1)
	s_lshr_b32 s12, s11, 21
	s_mov_b32 s11, 0
	s_branch .LBB30_597
.LBB30_595:
                                        ; implicit-def: $vgpr5
	s_branch .LBB30_600
.LBB30_596:
                                        ; implicit-def: $sgpr12
.LBB30_597:
	v_mov_b32_e32 v5, s12
	s_and_not1_b32 vcc_lo, exec_lo, s11
	s_cbranch_vccnz .LBB30_599
; %bb.598:
	v_add_f32_e64 v5, 0x43000000, |v4|
.LBB30_599:
	s_mov_b32 s11, 0
.LBB30_600:
	s_delay_alu instid0(SALU_CYCLE_1)
	s_and_not1_b32 vcc_lo, exec_lo, s11
	s_cbranch_vccnz .LBB30_602
; %bb.601:
	s_cmp_gt_u32 s10, 0x7f800000
	s_movk_i32 s10, 0x7f
	s_delay_alu instid0(SALU_CYCLE_1) | instskip(NEXT) | instid1(SALU_CYCLE_1)
	s_cselect_b32 s10, s10, 0x7c
	v_mov_b32_e32 v5, s10
.LBB30_602:
	s_lshr_b32 s9, s9, 24
	s_delay_alu instid0(SALU_CYCLE_1)
	s_and_b32 s9, s9, 0x80
	s_delay_alu instid0(VALU_DEP_1) | instid1(SALU_CYCLE_1)
	v_or_b32_e32 v4, s9, v5
	global_store_b8 v[0:1], v4, off
.LBB30_603:
	s_mov_b32 s9, 0
	s_mov_b32 s10, -1
.LBB30_604:
	s_and_not1_b32 vcc_lo, exec_lo, s9
	s_mov_b32 s9, 0
	s_cbranch_vccnz .LBB30_611
; %bb.605:
	v_cmp_lt_i16_e32 vcc_lo, 14, v2
	s_mov_b32 s9, -1
	s_cbranch_vccz .LBB30_609
; %bb.606:
	v_cmp_eq_u16_e32 vcc_lo, 15, v2
	s_mov_b32 s0, -1
	s_cbranch_vccz .LBB30_608
; %bb.607:
	s_xor_b32 s0, s2, s3
	s_cls_i32 s9, s3
	s_ashr_i32 s0, s0, 31
	s_add_i32 s9, s9, -1
	s_add_i32 s0, s0, 32
	s_delay_alu instid0(SALU_CYCLE_1) | instskip(NEXT) | instid1(SALU_CYCLE_1)
	s_min_u32 s0, s9, s0
	s_lshl_b64 s[10:11], s[2:3], s0
	s_sub_i32 s0, 32, s0
	s_min_u32 s9, s10, 1
	s_mov_b32 s10, -1
	s_or_b32 s9, s11, s9
	s_delay_alu instid0(SALU_CYCLE_1) | instskip(NEXT) | instid1(VALU_DEP_1)
	v_cvt_f32_i32_e32 v4, s9
	v_ldexp_f32 v4, v4, s0
	s_mov_b32 s0, 0
	s_delay_alu instid0(VALU_DEP_1) | instskip(NEXT) | instid1(VALU_DEP_1)
	v_bfe_u32 v5, v4, 16, 1
	v_add_nc_u32_e32 v4, v4, v5
	s_delay_alu instid0(VALU_DEP_1)
	v_add_nc_u32_e32 v4, 0x7fff, v4
	global_store_d16_hi_b16 v[0:1], v4, off
.LBB30_608:
	s_mov_b32 s9, 0
.LBB30_609:
	s_delay_alu instid0(SALU_CYCLE_1)
	s_and_b32 vcc_lo, exec_lo, s9
	s_mov_b32 s9, 0
	s_cbranch_vccz .LBB30_611
; %bb.610:
	v_cmp_ne_u16_e64 s0, 11, v2
	s_mov_b32 s9, -1
.LBB30_611:
	s_delay_alu instid0(VALU_DEP_1)
	s_and_b32 vcc_lo, exec_lo, s0
	s_cbranch_vccnz .LBB30_728
; %bb.612:
	s_and_not1_b32 vcc_lo, exec_lo, s9
	s_cbranch_vccnz .LBB30_614
.LBB30_613:
	s_cmp_lg_u64 s[2:3], 0
	s_mov_b32 s10, -1
	s_cselect_b32 s0, -1, 0
	s_delay_alu instid0(SALU_CYCLE_1)
	v_cndmask_b32_e64 v4, 0, 1, s0
	global_store_b8 v[0:1], v4, off
.LBB30_614:
.LBB30_615:
	s_and_not1_b32 vcc_lo, exec_lo, s10
	s_cbranch_vccnz .LBB30_683
.LBB30_616:
	v_add_nc_u32_e32 v3, s6, v3
	v_cmp_gt_i16_e32 vcc_lo, 11, v2
	s_delay_alu instid0(VALU_DEP_2) | instskip(SKIP_1) | instid1(VALU_DEP_1)
	v_ashrrev_i32_e32 v1, 31, v3
	v_add_co_u32 v0, s0, s4, v3
	v_add_co_ci_u32_e64 v1, s0, s5, v1, s0
	s_cbranch_vccnz .LBB30_644
; %bb.617:
	v_cmp_lt_i16_e32 vcc_lo, 25, v2
	s_mov_b32 s11, -1
	s_mov_b32 s9, 0
	s_mov_b32 s10, 0
	;; [unrolled: 1-line block ×3, first 2 shown]
	s_cbranch_vccz .LBB30_740
; %bb.618:
	v_cmp_lt_i16_e32 vcc_lo, 28, v2
	s_cbranch_vccz .LBB30_633
; %bb.619:
	v_cmp_lt_i16_e32 vcc_lo, 43, v2
	;; [unrolled: 3-line block ×3, first 2 shown]
	s_cbranch_vccz .LBB30_623
; %bb.621:
	v_cmp_eq_u16_e32 vcc_lo, 46, v2
	s_mov_b32 s0, -1
	s_mov_b32 s11, 0
	s_cbranch_vccz .LBB30_623
; %bb.622:
	s_xor_b32 s0, s2, s3
	s_cls_i32 s10, s3
	s_ashr_i32 s0, s0, 31
	s_add_i32 s10, s10, -1
	s_add_i32 s0, s0, 32
	s_delay_alu instid0(SALU_CYCLE_1) | instskip(NEXT) | instid1(SALU_CYCLE_1)
	s_min_u32 s0, s10, s0
	s_lshl_b64 s[12:13], s[2:3], s0
	s_sub_i32 s0, 32, s0
	s_min_u32 s10, s12, 1
	s_delay_alu instid0(SALU_CYCLE_1) | instskip(NEXT) | instid1(SALU_CYCLE_1)
	s_or_b32 s10, s13, s10
	v_cvt_f32_i32_e32 v4, s10
	s_mov_b32 s10, -1
	s_delay_alu instid0(VALU_DEP_1) | instskip(SKIP_1) | instid1(VALU_DEP_1)
	v_ldexp_f32 v4, v4, s0
	s_mov_b32 s0, 0
	v_bfe_u32 v5, v4, 16, 1
	s_delay_alu instid0(VALU_DEP_1) | instskip(NEXT) | instid1(VALU_DEP_1)
	v_add_nc_u32_e32 v4, v4, v5
	v_add_nc_u32_e32 v4, 0x7fff, v4
	s_delay_alu instid0(VALU_DEP_1)
	v_lshrrev_b32_e32 v4, 16, v4
	global_store_b32 v[0:1], v4, off
.LBB30_623:
	s_and_b32 vcc_lo, exec_lo, s11
	s_cbranch_vccz .LBB30_628
; %bb.624:
	v_cmp_eq_u16_e32 vcc_lo, 44, v2
	s_mov_b32 s0, -1
	s_cbranch_vccz .LBB30_628
; %bb.625:
	s_xor_b32 s0, s2, s3
	s_cls_i32 s10, s3
	s_ashr_i32 s0, s0, 31
	s_add_i32 s10, s10, -1
	s_add_i32 s0, s0, 32
	v_mov_b32_e32 v5, 0xff
	s_min_u32 s0, s10, s0
	s_delay_alu instid0(SALU_CYCLE_1) | instskip(SKIP_2) | instid1(SALU_CYCLE_1)
	s_lshl_b64 s[10:11], s[2:3], s0
	s_sub_i32 s0, 32, s0
	s_min_u32 s10, s10, 1
	s_or_b32 s10, s11, s10
	s_delay_alu instid0(SALU_CYCLE_1) | instskip(SKIP_1) | instid1(VALU_DEP_1)
	v_cvt_f32_i32_e32 v4, s10
	s_mov_b32 s10, -1
	v_ldexp_f32 v4, v4, s0
	s_delay_alu instid0(VALU_DEP_1) | instskip(NEXT) | instid1(VALU_DEP_1)
	v_readfirstlane_b32 s0, v4
	s_bfe_u32 s11, s0, 0x80017
	s_delay_alu instid0(SALU_CYCLE_1)
	s_cmpk_eq_i32 s11, 0xff
	s_cbranch_scc1 .LBB30_627
; %bb.626:
	s_bitcmp1_b32 s0, 22
	v_lshrrev_b32_e32 v4, 23, v4
	s_cselect_b32 s12, -1, 0
	s_and_b32 s0, s0, 0x3fffff
	s_delay_alu instid0(SALU_CYCLE_1) | instskip(NEXT) | instid1(SALU_CYCLE_1)
	s_or_b32 s0, s11, s0
	s_cmp_lg_u32 s0, 0
	s_cselect_b32 s0, -1, 0
	s_delay_alu instid0(SALU_CYCLE_1) | instskip(NEXT) | instid1(SALU_CYCLE_1)
	s_and_b32 s0, s12, s0
	v_cndmask_b32_e64 v5, 0, 1, s0
	s_delay_alu instid0(VALU_DEP_1)
	v_add_nc_u32_e32 v5, v4, v5
.LBB30_627:
	s_mov_b32 s0, 0
	global_store_b8 v[0:1], v5, off
.LBB30_628:
	s_mov_b32 s11, 0
.LBB30_629:
	s_delay_alu instid0(SALU_CYCLE_1)
	s_and_b32 vcc_lo, exec_lo, s11
	s_cbranch_vccz .LBB30_632
; %bb.630:
	v_cmp_eq_u16_e32 vcc_lo, 29, v2
	s_mov_b32 s0, -1
	s_cbranch_vccz .LBB30_632
; %bb.631:
	v_dual_mov_b32 v5, s3 :: v_dual_mov_b32 v4, s2
	s_mov_b32 s0, 0
	s_mov_b32 s10, -1
	global_store_b64 v[0:1], v[4:5], off
.LBB30_632:
	s_mov_b32 s11, 0
.LBB30_633:
	s_delay_alu instid0(SALU_CYCLE_1)
	s_and_b32 vcc_lo, exec_lo, s11
	s_cbranch_vccz .LBB30_739
; %bb.634:
	v_cmp_gt_i16_e32 vcc_lo, 27, v2
	s_mov_b32 s10, -1
	s_cbranch_vccnz .LBB30_640
; %bb.635:
	v_cmp_lt_i16_e32 vcc_lo, 27, v2
	s_cbranch_vccz .LBB30_637
; %bb.636:
	v_mov_b32_e32 v4, s2
	s_mov_b32 s10, 0
	global_store_b32 v[0:1], v4, off
.LBB30_637:
	s_and_not1_b32 vcc_lo, exec_lo, s10
	s_cbranch_vccnz .LBB30_639
; %bb.638:
	v_mov_b32_e32 v4, s2
	global_store_b16 v[0:1], v4, off
.LBB30_639:
	s_mov_b32 s10, 0
.LBB30_640:
	s_delay_alu instid0(SALU_CYCLE_1)
	s_and_not1_b32 vcc_lo, exec_lo, s10
	s_cbranch_vccnz .LBB30_738
; %bb.641:
	s_xor_b32 s10, s2, s3
	s_cls_i32 s11, s3
	s_ashr_i32 s10, s10, 31
	s_add_i32 s11, s11, -1
	s_add_i32 s10, s10, 32
	v_mov_b32_e32 v5, 0x80
	s_min_u32 s12, s11, s10
	s_delay_alu instid0(SALU_CYCLE_1) | instskip(NEXT) | instid1(SALU_CYCLE_1)
	s_lshl_b64 s[10:11], s[2:3], s12
	s_min_u32 s10, s10, 1
	s_delay_alu instid0(SALU_CYCLE_1) | instskip(NEXT) | instid1(SALU_CYCLE_1)
	s_or_b32 s10, s11, s10
	v_cvt_f32_i32_e32 v4, s10
	s_sub_i32 s10, 32, s12
	s_mov_b32 s12, -1
	s_delay_alu instid0(VALU_DEP_1) | instskip(NEXT) | instid1(VALU_DEP_1)
	v_ldexp_f32 v4, v4, s10
	v_readfirstlane_b32 s10, v4
	s_delay_alu instid0(VALU_DEP_1) | instskip(NEXT) | instid1(SALU_CYCLE_1)
	s_and_b32 s11, s10, 0x7fffffff
	s_cmp_gt_u32 s11, 0x437fffff
	s_cbranch_scc1 .LBB30_737
; %bb.642:
	s_cmp_gt_u32 s11, 0x3bffffff
	s_cbranch_scc0 .LBB30_732
; %bb.643:
	s_bfe_u32 s11, s10, 0x10014
	s_mov_b32 s12, 0
	s_add_i32 s11, s10, s11
	s_delay_alu instid0(SALU_CYCLE_1) | instskip(NEXT) | instid1(SALU_CYCLE_1)
	s_add_i32 s11, s11, 0x487ffff
	s_lshr_b32 s13, s11, 20
	s_mov_b32 s11, -1
	s_branch .LBB30_733
.LBB30_644:
	s_mov_b32 s10, 0
	s_cbranch_execz .LBB30_838
; %bb.645:
	v_cmp_gt_i16_e32 vcc_lo, 5, v2
	s_mov_b32 s0, -1
	s_cbranch_vccnz .LBB30_666
; %bb.646:
	v_cmp_gt_i16_e32 vcc_lo, 8, v2
	s_cbranch_vccnz .LBB30_656
; %bb.647:
	v_cmp_gt_i16_e32 vcc_lo, 9, v2
	s_cbranch_vccnz .LBB30_653
; %bb.648:
	v_cmp_lt_i16_e32 vcc_lo, 9, v2
	s_cbranch_vccz .LBB30_650
; %bb.649:
	v_cvt_f64_i32_e32 v[4:5], s3
	v_cvt_f64_u32_e32 v[6:7], s2
	s_mov_b32 s0, 0
	s_delay_alu instid0(VALU_DEP_2) | instskip(NEXT) | instid1(VALU_DEP_1)
	v_ldexp_f64 v[4:5], v[4:5], 32
	v_add_f64 v[4:5], v[4:5], v[6:7]
	v_mov_b32_e32 v6, 0
	s_delay_alu instid0(VALU_DEP_1)
	v_mov_b32_e32 v7, v6
	global_store_b128 v[0:1], v[4:7], off
.LBB30_650:
	s_and_not1_b32 vcc_lo, exec_lo, s0
	s_cbranch_vccnz .LBB30_652
; %bb.651:
	s_xor_b32 s0, s2, s3
	s_cls_i32 s9, s3
	s_ashr_i32 s0, s0, 31
	s_add_i32 s9, s9, -1
	s_add_i32 s0, s0, 32
	v_mov_b32_e32 v5, 0
	s_min_u32 s0, s9, s0
	s_delay_alu instid0(SALU_CYCLE_1) | instskip(SKIP_2) | instid1(SALU_CYCLE_1)
	s_lshl_b64 s[10:11], s[2:3], s0
	s_sub_i32 s0, 32, s0
	s_min_u32 s9, s10, 1
	s_or_b32 s9, s11, s9
	s_delay_alu instid0(SALU_CYCLE_1) | instskip(NEXT) | instid1(VALU_DEP_1)
	v_cvt_f32_i32_e32 v4, s9
	v_ldexp_f32 v4, v4, s0
	global_store_b64 v[0:1], v[4:5], off
.LBB30_652:
	s_mov_b32 s0, 0
.LBB30_653:
	s_delay_alu instid0(SALU_CYCLE_1)
	s_and_not1_b32 vcc_lo, exec_lo, s0
	s_cbranch_vccnz .LBB30_655
; %bb.654:
	s_xor_b32 s0, s2, s3
	s_cls_i32 s9, s3
	s_ashr_i32 s0, s0, 31
	s_add_i32 s9, s9, -1
	s_add_i32 s0, s0, 32
	s_delay_alu instid0(SALU_CYCLE_1) | instskip(NEXT) | instid1(SALU_CYCLE_1)
	s_min_u32 s0, s9, s0
	s_lshl_b64 s[10:11], s[2:3], s0
	s_sub_i32 s0, 32, s0
	s_min_u32 s9, s10, 1
	s_delay_alu instid0(SALU_CYCLE_1) | instskip(NEXT) | instid1(SALU_CYCLE_1)
	s_or_b32 s9, s11, s9
	v_cvt_f32_i32_e32 v4, s9
	s_delay_alu instid0(VALU_DEP_1) | instskip(NEXT) | instid1(VALU_DEP_1)
	v_ldexp_f32 v4, v4, s0
	v_cvt_f16_f32_e32 v4, v4
	s_delay_alu instid0(VALU_DEP_1)
	v_and_b32_e32 v4, 0xffff, v4
	global_store_b32 v[0:1], v4, off
.LBB30_655:
	s_mov_b32 s0, 0
.LBB30_656:
	s_delay_alu instid0(SALU_CYCLE_1)
	s_and_not1_b32 vcc_lo, exec_lo, s0
	s_cbranch_vccnz .LBB30_665
; %bb.657:
	v_cmp_gt_i16_e32 vcc_lo, 6, v2
	s_mov_b32 s0, -1
	s_cbranch_vccnz .LBB30_663
; %bb.658:
	v_cmp_lt_i16_e32 vcc_lo, 6, v2
	s_cbranch_vccz .LBB30_660
; %bb.659:
	v_cvt_f64_i32_e32 v[4:5], s3
	v_cvt_f64_u32_e32 v[6:7], s2
	s_mov_b32 s0, 0
	s_delay_alu instid0(VALU_DEP_2) | instskip(NEXT) | instid1(VALU_DEP_1)
	v_ldexp_f64 v[4:5], v[4:5], 32
	v_add_f64 v[4:5], v[4:5], v[6:7]
	global_store_b64 v[0:1], v[4:5], off
.LBB30_660:
	s_and_not1_b32 vcc_lo, exec_lo, s0
	s_cbranch_vccnz .LBB30_662
; %bb.661:
	s_xor_b32 s0, s2, s3
	s_cls_i32 s9, s3
	s_ashr_i32 s0, s0, 31
	s_add_i32 s9, s9, -1
	s_add_i32 s0, s0, 32
	s_delay_alu instid0(SALU_CYCLE_1) | instskip(NEXT) | instid1(SALU_CYCLE_1)
	s_min_u32 s0, s9, s0
	s_lshl_b64 s[10:11], s[2:3], s0
	s_sub_i32 s0, 32, s0
	s_min_u32 s9, s10, 1
	s_delay_alu instid0(SALU_CYCLE_1) | instskip(NEXT) | instid1(SALU_CYCLE_1)
	s_or_b32 s9, s11, s9
	v_cvt_f32_i32_e32 v4, s9
	s_delay_alu instid0(VALU_DEP_1)
	v_ldexp_f32 v4, v4, s0
	global_store_b32 v[0:1], v4, off
.LBB30_662:
	s_mov_b32 s0, 0
.LBB30_663:
	s_delay_alu instid0(SALU_CYCLE_1)
	s_and_not1_b32 vcc_lo, exec_lo, s0
	s_cbranch_vccnz .LBB30_665
; %bb.664:
	s_xor_b32 s0, s2, s3
	s_cls_i32 s9, s3
	s_ashr_i32 s0, s0, 31
	s_add_i32 s9, s9, -1
	s_add_i32 s0, s0, 32
	s_delay_alu instid0(SALU_CYCLE_1) | instskip(NEXT) | instid1(SALU_CYCLE_1)
	s_min_u32 s0, s9, s0
	s_lshl_b64 s[10:11], s[2:3], s0
	s_sub_i32 s0, 32, s0
	s_min_u32 s9, s10, 1
	s_delay_alu instid0(SALU_CYCLE_1) | instskip(NEXT) | instid1(SALU_CYCLE_1)
	s_or_b32 s9, s11, s9
	v_cvt_f32_i32_e32 v4, s9
	s_delay_alu instid0(VALU_DEP_1) | instskip(NEXT) | instid1(VALU_DEP_1)
	v_ldexp_f32 v4, v4, s0
	v_cvt_f16_f32_e32 v4, v4
	global_store_b16 v[0:1], v4, off
.LBB30_665:
	s_mov_b32 s0, 0
.LBB30_666:
	s_delay_alu instid0(SALU_CYCLE_1)
	s_and_not1_b32 vcc_lo, exec_lo, s0
	s_cbranch_vccnz .LBB30_682
; %bb.667:
	v_cmp_gt_i16_e32 vcc_lo, 2, v2
	s_mov_b32 s0, -1
	s_cbranch_vccnz .LBB30_677
; %bb.668:
	v_cmp_gt_i16_e32 vcc_lo, 3, v2
	s_cbranch_vccnz .LBB30_674
; %bb.669:
	v_cmp_lt_i16_e32 vcc_lo, 3, v2
	s_cbranch_vccz .LBB30_671
; %bb.670:
	v_dual_mov_b32 v5, s3 :: v_dual_mov_b32 v4, s2
	s_mov_b32 s0, 0
	global_store_b64 v[0:1], v[4:5], off
.LBB30_671:
	s_and_not1_b32 vcc_lo, exec_lo, s0
	s_cbranch_vccnz .LBB30_673
; %bb.672:
	v_mov_b32_e32 v4, s2
	global_store_b32 v[0:1], v4, off
.LBB30_673:
	s_mov_b32 s0, 0
.LBB30_674:
	s_delay_alu instid0(SALU_CYCLE_1)
	s_and_not1_b32 vcc_lo, exec_lo, s0
	s_cbranch_vccnz .LBB30_676
; %bb.675:
	v_mov_b32_e32 v4, s2
	global_store_b16 v[0:1], v4, off
.LBB30_676:
	s_mov_b32 s0, 0
.LBB30_677:
	s_delay_alu instid0(SALU_CYCLE_1)
	s_and_not1_b32 vcc_lo, exec_lo, s0
	s_cbranch_vccnz .LBB30_682
; %bb.678:
	v_cmp_lt_i16_e32 vcc_lo, 0, v2
	s_mov_b32 s0, -1
	s_cbranch_vccz .LBB30_680
; %bb.679:
	v_mov_b32_e32 v4, s2
	s_mov_b32 s0, 0
	global_store_b8 v[0:1], v4, off
.LBB30_680:
	s_and_not1_b32 vcc_lo, exec_lo, s0
	s_cbranch_vccnz .LBB30_682
; %bb.681:
	v_mov_b32_e32 v4, s2
	global_store_b8 v[0:1], v4, off
.LBB30_682:
	s_branch .LBB30_839
.LBB30_683:
	s_mov_b32 s0, 0
	s_mov_b32 s4, 0
                                        ; implicit-def: $vgpr2
                                        ; implicit-def: $vgpr0_vgpr1
.LBB30_684:
	s_and_not1_b32 s1, s1, exec_lo
	s_and_b32 s5, s8, exec_lo
	s_and_b32 s0, s0, exec_lo
	;; [unrolled: 1-line block ×3, first 2 shown]
	s_or_b32 s1, s1, s5
.LBB30_685:
	s_or_b32 exec_lo, exec_lo, s7
	s_and_saveexec_b32 s4, s1
	s_cbranch_execz .LBB30_688
; %bb.686:
	; divergent unreachable
	s_or_b32 exec_lo, exec_lo, s4
	s_and_saveexec_b32 s1, s8
	s_delay_alu instid0(SALU_CYCLE_1)
	s_xor_b32 s1, exec_lo, s1
	s_cbranch_execnz .LBB30_689
.LBB30_687:
	s_or_b32 exec_lo, exec_lo, s1
	s_and_saveexec_b32 s1, s0
	s_cbranch_execnz .LBB30_690
	s_branch .LBB30_727
.LBB30_688:
	s_or_b32 exec_lo, exec_lo, s4
	s_and_saveexec_b32 s1, s8
	s_delay_alu instid0(SALU_CYCLE_1)
	s_xor_b32 s1, exec_lo, s1
	s_cbranch_execz .LBB30_687
.LBB30_689:
	s_cmp_lg_u64 s[2:3], 0
	s_cselect_b32 s4, -1, 0
	s_delay_alu instid0(SALU_CYCLE_1)
	v_cndmask_b32_e64 v3, 0, 1, s4
	global_store_b8 v[0:1], v3, off
	s_or_b32 exec_lo, exec_lo, s1
	s_and_saveexec_b32 s1, s0
	s_cbranch_execz .LBB30_727
.LBB30_690:
	v_cmp_gt_i16_e32 vcc_lo, 5, v2
	s_mov_b32 s0, -1
	s_cbranch_vccnz .LBB30_711
; %bb.691:
	v_cmp_gt_i16_e32 vcc_lo, 8, v2
	s_cbranch_vccnz .LBB30_701
; %bb.692:
	v_cmp_gt_i16_e32 vcc_lo, 9, v2
	s_cbranch_vccnz .LBB30_698
; %bb.693:
	v_cmp_lt_i16_e32 vcc_lo, 9, v2
	s_cbranch_vccz .LBB30_695
; %bb.694:
	v_cvt_f64_i32_e32 v[3:4], s3
	v_cvt_f64_u32_e32 v[5:6], s2
	s_mov_b32 s0, 0
	s_delay_alu instid0(VALU_DEP_2) | instskip(NEXT) | instid1(VALU_DEP_1)
	v_ldexp_f64 v[3:4], v[3:4], 32
	v_add_f64 v[3:4], v[3:4], v[5:6]
	v_mov_b32_e32 v5, 0
	s_delay_alu instid0(VALU_DEP_1)
	v_mov_b32_e32 v6, v5
	global_store_b128 v[0:1], v[3:6], off
.LBB30_695:
	s_and_not1_b32 vcc_lo, exec_lo, s0
	s_cbranch_vccnz .LBB30_697
; %bb.696:
	s_xor_b32 s0, s2, s3
	s_cls_i32 s1, s3
	s_ashr_i32 s0, s0, 31
	s_add_i32 s1, s1, -1
	s_add_i32 s0, s0, 32
	v_mov_b32_e32 v4, 0
	s_min_u32 s4, s1, s0
	s_delay_alu instid0(SALU_CYCLE_1) | instskip(NEXT) | instid1(SALU_CYCLE_1)
	s_lshl_b64 s[0:1], s[2:3], s4
	s_min_u32 s0, s0, 1
	s_delay_alu instid0(SALU_CYCLE_1) | instskip(NEXT) | instid1(SALU_CYCLE_1)
	s_or_b32 s0, s1, s0
	v_cvt_f32_i32_e32 v3, s0
	s_sub_i32 s0, 32, s4
	s_delay_alu instid0(VALU_DEP_1) | instid1(SALU_CYCLE_1)
	v_ldexp_f32 v3, v3, s0
	global_store_b64 v[0:1], v[3:4], off
.LBB30_697:
	s_mov_b32 s0, 0
.LBB30_698:
	s_delay_alu instid0(SALU_CYCLE_1)
	s_and_not1_b32 vcc_lo, exec_lo, s0
	s_cbranch_vccnz .LBB30_700
; %bb.699:
	s_xor_b32 s0, s2, s3
	s_cls_i32 s1, s3
	s_ashr_i32 s0, s0, 31
	s_add_i32 s1, s1, -1
	s_add_i32 s0, s0, 32
	s_delay_alu instid0(SALU_CYCLE_1) | instskip(NEXT) | instid1(SALU_CYCLE_1)
	s_min_u32 s4, s1, s0
	s_lshl_b64 s[0:1], s[2:3], s4
	s_delay_alu instid0(SALU_CYCLE_1) | instskip(NEXT) | instid1(SALU_CYCLE_1)
	s_min_u32 s0, s0, 1
	s_or_b32 s0, s1, s0
	s_delay_alu instid0(SALU_CYCLE_1)
	v_cvt_f32_i32_e32 v3, s0
	s_sub_i32 s0, 32, s4
	s_delay_alu instid0(VALU_DEP_1) | instid1(SALU_CYCLE_1)
	v_ldexp_f32 v3, v3, s0
	s_delay_alu instid0(VALU_DEP_1) | instskip(NEXT) | instid1(VALU_DEP_1)
	v_cvt_f16_f32_e32 v3, v3
	v_and_b32_e32 v3, 0xffff, v3
	global_store_b32 v[0:1], v3, off
.LBB30_700:
	s_mov_b32 s0, 0
.LBB30_701:
	s_delay_alu instid0(SALU_CYCLE_1)
	s_and_not1_b32 vcc_lo, exec_lo, s0
	s_cbranch_vccnz .LBB30_710
; %bb.702:
	v_cmp_gt_i16_e32 vcc_lo, 6, v2
	s_mov_b32 s0, -1
	s_cbranch_vccnz .LBB30_708
; %bb.703:
	v_cmp_lt_i16_e32 vcc_lo, 6, v2
	s_cbranch_vccz .LBB30_705
; %bb.704:
	v_cvt_f64_i32_e32 v[3:4], s3
	v_cvt_f64_u32_e32 v[5:6], s2
	s_mov_b32 s0, 0
	s_delay_alu instid0(VALU_DEP_2) | instskip(NEXT) | instid1(VALU_DEP_1)
	v_ldexp_f64 v[3:4], v[3:4], 32
	v_add_f64 v[3:4], v[3:4], v[5:6]
	global_store_b64 v[0:1], v[3:4], off
.LBB30_705:
	s_and_not1_b32 vcc_lo, exec_lo, s0
	s_cbranch_vccnz .LBB30_707
; %bb.706:
	s_xor_b32 s0, s2, s3
	s_cls_i32 s1, s3
	s_ashr_i32 s0, s0, 31
	s_add_i32 s1, s1, -1
	s_add_i32 s0, s0, 32
	s_delay_alu instid0(SALU_CYCLE_1) | instskip(NEXT) | instid1(SALU_CYCLE_1)
	s_min_u32 s4, s1, s0
	s_lshl_b64 s[0:1], s[2:3], s4
	s_delay_alu instid0(SALU_CYCLE_1) | instskip(NEXT) | instid1(SALU_CYCLE_1)
	s_min_u32 s0, s0, 1
	s_or_b32 s0, s1, s0
	s_delay_alu instid0(SALU_CYCLE_1)
	v_cvt_f32_i32_e32 v3, s0
	s_sub_i32 s0, 32, s4
	s_delay_alu instid0(VALU_DEP_1) | instid1(SALU_CYCLE_1)
	v_ldexp_f32 v3, v3, s0
	global_store_b32 v[0:1], v3, off
.LBB30_707:
	s_mov_b32 s0, 0
.LBB30_708:
	s_delay_alu instid0(SALU_CYCLE_1)
	s_and_not1_b32 vcc_lo, exec_lo, s0
	s_cbranch_vccnz .LBB30_710
; %bb.709:
	s_xor_b32 s0, s2, s3
	s_cls_i32 s1, s3
	s_ashr_i32 s0, s0, 31
	s_add_i32 s1, s1, -1
	s_add_i32 s0, s0, 32
	s_delay_alu instid0(SALU_CYCLE_1) | instskip(NEXT) | instid1(SALU_CYCLE_1)
	s_min_u32 s4, s1, s0
	s_lshl_b64 s[0:1], s[2:3], s4
	s_delay_alu instid0(SALU_CYCLE_1) | instskip(NEXT) | instid1(SALU_CYCLE_1)
	s_min_u32 s0, s0, 1
	s_or_b32 s0, s1, s0
	s_delay_alu instid0(SALU_CYCLE_1)
	v_cvt_f32_i32_e32 v3, s0
	s_sub_i32 s0, 32, s4
	s_delay_alu instid0(VALU_DEP_1) | instid1(SALU_CYCLE_1)
	v_ldexp_f32 v3, v3, s0
	s_delay_alu instid0(VALU_DEP_1)
	v_cvt_f16_f32_e32 v3, v3
	global_store_b16 v[0:1], v3, off
.LBB30_710:
	s_mov_b32 s0, 0
.LBB30_711:
	s_delay_alu instid0(SALU_CYCLE_1)
	s_and_not1_b32 vcc_lo, exec_lo, s0
	s_cbranch_vccnz .LBB30_727
; %bb.712:
	v_cmp_gt_i16_e32 vcc_lo, 2, v2
	s_mov_b32 s0, -1
	s_cbranch_vccnz .LBB30_722
; %bb.713:
	v_cmp_gt_i16_e32 vcc_lo, 3, v2
	s_cbranch_vccnz .LBB30_719
; %bb.714:
	v_cmp_lt_i16_e32 vcc_lo, 3, v2
	s_cbranch_vccz .LBB30_716
; %bb.715:
	v_dual_mov_b32 v4, s3 :: v_dual_mov_b32 v3, s2
	s_mov_b32 s0, 0
	global_store_b64 v[0:1], v[3:4], off
.LBB30_716:
	s_and_not1_b32 vcc_lo, exec_lo, s0
	s_cbranch_vccnz .LBB30_718
; %bb.717:
	v_mov_b32_e32 v3, s2
	global_store_b32 v[0:1], v3, off
.LBB30_718:
	s_mov_b32 s0, 0
.LBB30_719:
	s_delay_alu instid0(SALU_CYCLE_1)
	s_and_not1_b32 vcc_lo, exec_lo, s0
	s_cbranch_vccnz .LBB30_721
; %bb.720:
	v_mov_b32_e32 v3, s2
	global_store_b16 v[0:1], v3, off
.LBB30_721:
	s_mov_b32 s0, 0
.LBB30_722:
	s_delay_alu instid0(SALU_CYCLE_1)
	s_and_not1_b32 vcc_lo, exec_lo, s0
	s_cbranch_vccnz .LBB30_727
; %bb.723:
	v_cmp_lt_i16_e32 vcc_lo, 0, v2
	s_mov_b32 s0, -1
	s_cbranch_vccz .LBB30_725
; %bb.724:
	v_mov_b32_e32 v2, s2
	s_mov_b32 s0, 0
	global_store_b8 v[0:1], v2, off
.LBB30_725:
	s_and_not1_b32 vcc_lo, exec_lo, s0
	s_cbranch_vccnz .LBB30_727
; %bb.726:
	v_mov_b32_e32 v2, s2
	global_store_b8 v[0:1], v2, off
	s_nop 0
	s_sendmsg sendmsg(MSG_DEALLOC_VGPRS)
	s_endpgm
.LBB30_727:
	s_nop 0
	s_sendmsg sendmsg(MSG_DEALLOC_VGPRS)
	s_endpgm
.LBB30_728:
	s_cbranch_execnz .LBB30_730
; %bb.729:
	s_or_b32 s8, s8, exec_lo
	s_cbranch_execz .LBB30_613
	s_branch .LBB30_614
.LBB30_730:
	s_trap 2
	s_sendmsg_rtn_b32 s0, sendmsg(MSG_RTN_GET_DOORBELL)
	s_mov_b32 ttmp2, m0
	s_waitcnt lgkmcnt(0)
	s_and_b32 s0, s0, 0x3ff
	s_delay_alu instid0(SALU_CYCLE_1) | instskip(NEXT) | instid1(SALU_CYCLE_1)
	s_bitset1_b32 s0, 10
	s_mov_b32 m0, s0
	s_sendmsg sendmsg(MSG_INTERRUPT)
	s_mov_b32 m0, ttmp2
.LBB30_731:                             ; =>This Inner Loop Header: Depth=1
	s_sethalt 5
	s_branch .LBB30_731
.LBB30_732:
	s_mov_b32 s11, 0
                                        ; implicit-def: $sgpr13
.LBB30_733:
	v_mov_b32_e32 v4, s13
	s_and_not1_b32 vcc_lo, exec_lo, s12
                                        ; implicit-def: $sgpr12
	s_cbranch_vccnz .LBB30_735
; %bb.734:
	v_add_f32_e64 v4, 0x46000000, |s10|
	s_mov_b32 s12, 0
	s_delay_alu instid0(VALU_DEP_1) | instskip(NEXT) | instid1(VALU_DEP_1)
	v_and_b32_e32 v4, 0xff, v4
	v_cmp_ne_u32_e64 s11, 0, v4
.LBB30_735:
	v_mov_b32_e32 v5, s12
	s_delay_alu instid0(VALU_DEP_2)
	s_and_not1_b32 vcc_lo, exec_lo, s11
	s_cbranch_vccnz .LBB30_737
; %bb.736:
	s_lshr_b32 s10, s10, 24
	s_delay_alu instid0(SALU_CYCLE_1) | instskip(NEXT) | instid1(SALU_CYCLE_1)
	s_and_b32 s10, s10, 0x80
	v_or_b32_e32 v5, s10, v4
.LBB30_737:
	global_store_b8 v[0:1], v5, off
.LBB30_738:
	s_mov_b32 s10, -1
.LBB30_739:
	s_mov_b32 s11, 0
.LBB30_740:
	s_delay_alu instid0(SALU_CYCLE_1)
	s_and_b32 vcc_lo, exec_lo, s11
	s_cbranch_vccz .LBB30_834
; %bb.741:
	v_cmp_lt_i16_e32 vcc_lo, 22, v2
	s_mov_b32 s9, -1
	s_cbranch_vccz .LBB30_827
; %bb.742:
	v_cmp_gt_i16_e32 vcc_lo, 24, v2
	s_cbranch_vccnz .LBB30_814
; %bb.743:
	v_cmp_lt_i16_e32 vcc_lo, 24, v2
	s_cbranch_vccz .LBB30_801
; %bb.744:
	s_xor_b32 s9, s2, s3
	s_cls_i32 s10, s3
	s_ashr_i32 s9, s9, 31
	s_add_i32 s10, s10, -1
	s_add_i32 s9, s9, 32
	v_mov_b32_e32 v5, 0x80
	s_min_u32 s9, s10, s9
	s_delay_alu instid0(SALU_CYCLE_1) | instskip(SKIP_2) | instid1(SALU_CYCLE_1)
	s_lshl_b64 s[10:11], s[2:3], s9
	s_sub_i32 s9, 32, s9
	s_min_u32 s10, s10, 1
	s_or_b32 s10, s11, s10
	s_mov_b32 s11, -1
	v_cvt_f32_i32_e32 v4, s10
	s_delay_alu instid0(VALU_DEP_1) | instskip(NEXT) | instid1(VALU_DEP_1)
	v_ldexp_f32 v4, v4, s9
	v_readfirstlane_b32 s9, v4
	s_delay_alu instid0(VALU_DEP_1) | instskip(NEXT) | instid1(SALU_CYCLE_1)
	s_and_b32 s10, s9, 0x7fffffff
	s_cmp_gt_u32 s10, 0x477fffff
	s_cbranch_scc1 .LBB30_800
; %bb.745:
	s_cmp_gt_u32 s10, 0x37ffffff
	s_cbranch_scc0 .LBB30_795
; %bb.746:
	s_bfe_u32 s10, s9, 0x10015
	s_mov_b32 s11, 0
	s_add_i32 s10, s9, s10
	s_delay_alu instid0(SALU_CYCLE_1) | instskip(NEXT) | instid1(SALU_CYCLE_1)
	s_add_i32 s10, s10, 0x88fffff
	s_lshr_b32 s12, s10, 21
	s_mov_b32 s10, -1
	s_branch .LBB30_796
.LBB30_747:
	s_mov_b32 s36, 0
.LBB30_748:
	s_delay_alu instid0(SALU_CYCLE_1)
	s_and_b32 vcc_lo, exec_lo, s36
	s_cbranch_vccz .LBB30_751
; %bb.749:
	v_cmp_eq_u16_e32 vcc_lo, 29, v17
	s_mov_b32 s1, -1
	s_cbranch_vccz .LBB30_751
; %bb.750:
	v_dual_mov_b32 v2, s2 :: v_dual_mov_b32 v3, s3
	s_mov_b32 s1, 0
	s_mov_b32 s36, 0
	global_store_b64 v[6:7], v[2:3], off
	s_branch .LBB30_752
.LBB30_751:
	s_mov_b32 s36, 0
.LBB30_752:
	s_delay_alu instid0(SALU_CYCLE_1)
	s_and_b32 vcc_lo, exec_lo, s36
	s_cbranch_vccz .LBB30_764
; %bb.753:
	v_cmp_gt_i16_e32 vcc_lo, 27, v17
	s_mov_b32 s0, -1
	s_cbranch_vccnz .LBB30_759
; %bb.754:
	v_cmp_lt_i16_e32 vcc_lo, 27, v17
	s_cbranch_vccz .LBB30_756
; %bb.755:
	v_mov_b32_e32 v2, s2
	s_mov_b32 s0, 0
	global_store_b32 v[6:7], v2, off
.LBB30_756:
	s_and_not1_b32 vcc_lo, exec_lo, s0
	s_cbranch_vccnz .LBB30_758
; %bb.757:
	v_mov_b32_e32 v2, s2
	global_store_b16 v[6:7], v2, off
.LBB30_758:
	s_mov_b32 s0, 0
.LBB30_759:
	s_delay_alu instid0(SALU_CYCLE_1)
	s_and_not1_b32 vcc_lo, exec_lo, s0
	s_cbranch_vccnz .LBB30_764
; %bb.760:
	v_mov_b32_e32 v2, 0x80
	s_and_not1_b32 vcc_lo, exec_lo, s26
	s_cbranch_vccnz .LBB30_763
; %bb.761:
	v_mov_b32_e32 v2, 0
	s_or_b32 s0, s24, s27
	s_delay_alu instid0(SALU_CYCLE_1)
	s_and_not1_b32 vcc_lo, exec_lo, s0
	s_cbranch_vccnz .LBB30_763
; %bb.762:
	v_cndmask_b32_e64 v2, v14, s25, s24
	s_delay_alu instid0(VALU_DEP_1)
	v_or_b32_e32 v2, v2, v12
.LBB30_763:
	global_store_b8 v[6:7], v2, off
.LBB30_764:
	s_mov_b32 s36, 0
.LBB30_765:
	s_delay_alu instid0(SALU_CYCLE_1)
	s_and_b32 vcc_lo, exec_lo, s36
	s_mov_b32 s0, 0
	s_cbranch_vccz .LBB30_786
; %bb.766:
	v_cmp_lt_i16_e32 vcc_lo, 22, v17
	s_mov_b32 s24, -1
	s_cbranch_vccz .LBB30_779
; %bb.767:
	v_cmp_gt_i16_e32 vcc_lo, 24, v17
	s_cbranch_vccnz .LBB30_776
; %bb.768:
	v_cmp_lt_i16_e32 vcc_lo, 24, v17
	s_cbranch_vccz .LBB30_773
; %bb.769:
	v_mov_b32_e32 v2, 0x80
	s_and_not1_b32 vcc_lo, exec_lo, s21
	s_cbranch_vccnz .LBB30_772
; %bb.770:
	v_mov_b32_e32 v2, 0
	s_or_b32 s21, s17, s23
	s_delay_alu instid0(SALU_CYCLE_1)
	s_and_not1_b32 vcc_lo, exec_lo, s21
	s_cbranch_vccnz .LBB30_772
; %bb.771:
	v_cndmask_b32_e64 v2, v13, s19, s17
	s_delay_alu instid0(VALU_DEP_1)
	v_or_b32_e32 v2, v2, v12
.LBB30_772:
	s_mov_b32 s24, 0
	global_store_b8 v[6:7], v2, off
.LBB30_773:
	s_and_b32 vcc_lo, exec_lo, s24
	s_cbranch_vccz .LBB30_775
; %bb.774:
	s_and_b32 s14, s14, exec_lo
	s_cselect_b32 s14, s22, s18
	s_and_b32 s13, s13, exec_lo
	s_cselect_b32 s13, s20, s14
	s_delay_alu instid0(SALU_CYCLE_1)
	v_or_b32_e32 v2, s13, v12
	global_store_b8 v[6:7], v2, off
.LBB30_775:
	s_mov_b32 s24, 0
.LBB30_776:
	s_delay_alu instid0(SALU_CYCLE_1)
	s_and_not1_b32 vcc_lo, exec_lo, s24
	s_cbranch_vccnz .LBB30_778
; %bb.777:
	s_and_b32 s11, s11, exec_lo
	s_cselect_b32 s11, s16, s12
	s_and_b32 s10, s10, exec_lo
	s_cselect_b32 s10, s15, s11
	s_delay_alu instid0(SALU_CYCLE_1)
	v_or_b32_e32 v2, s10, v12
	global_store_b8 v[6:7], v2, off
.LBB30_778:
	s_mov_b32 s24, 0
.LBB30_779:
	s_delay_alu instid0(SALU_CYCLE_1)
	s_and_not1_b32 vcc_lo, exec_lo, s24
	s_mov_b32 s10, 0
	s_cbranch_vccnz .LBB30_787
; %bb.780:
	v_cmp_lt_i16_e32 vcc_lo, 14, v17
	s_mov_b32 s10, -1
	s_cbranch_vccz .LBB30_784
; %bb.781:
	v_cmp_eq_u16_e32 vcc_lo, 15, v17
	s_mov_b32 s1, -1
	s_cbranch_vccz .LBB30_783
; %bb.782:
	s_mov_b32 s1, 0
	global_store_b16 v[6:7], v11, off
.LBB30_783:
	s_mov_b32 s10, 0
.LBB30_784:
	s_delay_alu instid0(SALU_CYCLE_1)
	s_and_b32 vcc_lo, exec_lo, s10
	s_mov_b32 s10, 0
	s_cbranch_vccz .LBB30_787
; %bb.785:
	v_cmp_ne_u16_e32 vcc_lo, 11, v17
	s_and_not1_b32 s1, s1, exec_lo
	s_mov_b32 s10, -1
	s_and_b32 s11, vcc_lo, exec_lo
	s_delay_alu instid0(SALU_CYCLE_1)
	s_or_b32 s1, s1, s11
	s_branch .LBB30_787
.LBB30_786:
	s_mov_b32 s10, 0
.LBB30_787:
	s_and_b32 s36, s0, exec_lo
	s_and_not1_b32 s0, s35, exec_lo
	s_and_b32 s11, s1, exec_lo
	s_and_b32 s1, s10, exec_lo
	s_or_b32 s37, s0, s11
.LBB30_788:
	s_or_b32 exec_lo, exec_lo, s28
	s_delay_alu instid0(SALU_CYCLE_1)
	s_and_not1_b32 s0, s35, exec_lo
	s_and_b32 s10, s37, exec_lo
	s_and_b32 s36, s36, exec_lo
	;; [unrolled: 1-line block ×3, first 2 shown]
	s_or_b32 s35, s0, s10
.LBB30_789:
	s_or_b32 exec_lo, exec_lo, s34
	s_delay_alu instid0(SALU_CYCLE_1)
	s_and_not1_b32 s0, s31, exec_lo
	s_and_b32 s10, s35, exec_lo
	s_and_b32 s36, s36, exec_lo
	;; [unrolled: 1-line block ×3, first 2 shown]
	s_or_b32 s31, s0, s10
.LBB30_790:
	s_or_b32 exec_lo, exec_lo, s33
	s_delay_alu instid0(SALU_CYCLE_1)
	s_and_not1_b32 s0, s29, exec_lo
	s_and_b32 s10, s31, exec_lo
	s_and_b32 s1, s36, exec_lo
	;; [unrolled: 1-line block ×3, first 2 shown]
	s_or_b32 s29, s0, s10
	s_or_b32 exec_lo, exec_lo, s30
	s_mov_b32 s0, 0
	s_and_saveexec_b32 s10, s29
	s_cbranch_execz .LBB30_110
.LBB30_791:
	s_cbranch_execnz .LBB30_793
; %bb.792:
	s_mov_b32 s0, exec_lo
	s_and_not1_b32 s31, s31, exec_lo
	s_or_b32 exec_lo, exec_lo, s10
	s_and_saveexec_b32 s10, s31
	s_delay_alu instid0(SALU_CYCLE_1)
	s_xor_b32 s10, exec_lo, s10
	s_cbranch_execnz .LBB30_111
	s_branch .LBB30_112
.LBB30_793:
	s_trap 2
	s_sendmsg_rtn_b32 s0, sendmsg(MSG_RTN_GET_DOORBELL)
	s_mov_b32 ttmp2, m0
	s_waitcnt lgkmcnt(0)
	s_and_b32 s0, s0, 0x3ff
	s_delay_alu instid0(SALU_CYCLE_1) | instskip(NEXT) | instid1(SALU_CYCLE_1)
	s_bitset1_b32 s0, 10
	s_mov_b32 m0, s0
	s_sendmsg sendmsg(MSG_INTERRUPT)
	s_mov_b32 m0, ttmp2
.LBB30_794:                             ; =>This Inner Loop Header: Depth=1
	s_sethalt 5
	s_branch .LBB30_794
.LBB30_795:
	s_mov_b32 s10, 0
                                        ; implicit-def: $sgpr12
.LBB30_796:
	v_mov_b32_e32 v4, s12
	s_and_not1_b32 vcc_lo, exec_lo, s11
                                        ; implicit-def: $sgpr11
	s_cbranch_vccnz .LBB30_798
; %bb.797:
	v_add_f32_e64 v4, 0x42800000, |s9|
	s_mov_b32 s11, 0
	s_delay_alu instid0(VALU_DEP_1) | instskip(NEXT) | instid1(VALU_DEP_1)
	v_and_b32_e32 v4, 0xff, v4
	v_cmp_ne_u32_e64 s10, 0, v4
.LBB30_798:
	v_mov_b32_e32 v5, s11
	s_delay_alu instid0(VALU_DEP_2)
	s_and_not1_b32 vcc_lo, exec_lo, s10
	s_cbranch_vccnz .LBB30_800
; %bb.799:
	s_lshr_b32 s9, s9, 24
	s_delay_alu instid0(SALU_CYCLE_1) | instskip(NEXT) | instid1(SALU_CYCLE_1)
	s_and_b32 s9, s9, 0x80
	v_or_b32_e32 v5, s9, v4
.LBB30_800:
	s_mov_b32 s9, 0
	global_store_b8 v[0:1], v5, off
.LBB30_801:
	s_and_b32 vcc_lo, exec_lo, s9
	s_cbranch_vccz .LBB30_813
; %bb.802:
	s_xor_b32 s9, s2, s3
	s_cls_i32 s10, s3
	s_ashr_i32 s9, s9, 31
	s_add_i32 s10, s10, -1
	s_add_i32 s9, s9, 32
	s_delay_alu instid0(SALU_CYCLE_1) | instskip(NEXT) | instid1(SALU_CYCLE_1)
	s_min_u32 s9, s10, s9
	s_lshl_b64 s[10:11], s[2:3], s9
	s_sub_i32 s9, 32, s9
	s_min_u32 s10, s10, 1
	s_delay_alu instid0(SALU_CYCLE_1) | instskip(SKIP_2) | instid1(VALU_DEP_1)
	s_or_b32 s10, s11, s10
	s_mov_b32 s11, -1
	v_cvt_f32_i32_e32 v4, s10
	v_ldexp_f32 v4, v4, s9
	s_delay_alu instid0(VALU_DEP_1) | instskip(NEXT) | instid1(VALU_DEP_1)
	v_readfirstlane_b32 s9, v4
	s_and_b32 s10, s9, 0x7fffffff
	s_delay_alu instid0(SALU_CYCLE_1)
	s_cmp_lt_u32 s10, 0x43f00000
	s_cbranch_scc0 .LBB30_805
; %bb.803:
	s_cmp_gt_u32 s10, 0x3c7fffff
	s_cbranch_scc0 .LBB30_806
; %bb.804:
	s_bfe_u32 s11, s9, 0x10014
	s_delay_alu instid0(SALU_CYCLE_1) | instskip(NEXT) | instid1(SALU_CYCLE_1)
	s_add_i32 s11, s9, s11
	s_add_i32 s11, s11, 0x407ffff
	s_delay_alu instid0(SALU_CYCLE_1)
	s_and_b32 s12, s11, 0xff00000
	s_lshr_b32 s11, s11, 20
	s_cmp_lg_u32 s12, 0x7f00000
	s_cselect_b32 s12, s11, 0x7e
	s_mov_b32 s11, 0
	s_branch .LBB30_807
.LBB30_805:
                                        ; implicit-def: $vgpr5
	s_branch .LBB30_810
.LBB30_806:
                                        ; implicit-def: $sgpr12
.LBB30_807:
	v_mov_b32_e32 v5, s12
	s_and_not1_b32 vcc_lo, exec_lo, s11
	s_cbranch_vccnz .LBB30_809
; %bb.808:
	v_add_f32_e64 v5, 0x46800000, |v4|
.LBB30_809:
	s_mov_b32 s11, 0
.LBB30_810:
	s_delay_alu instid0(SALU_CYCLE_1)
	s_and_not1_b32 vcc_lo, exec_lo, s11
	s_cbranch_vccnz .LBB30_812
; %bb.811:
	s_cmp_gt_u32 s10, 0x7f800000
	s_movk_i32 s10, 0x7f
	s_delay_alu instid0(SALU_CYCLE_1) | instskip(NEXT) | instid1(SALU_CYCLE_1)
	s_cselect_b32 s10, s10, 0x7e
	v_mov_b32_e32 v5, s10
.LBB30_812:
	s_lshr_b32 s9, s9, 24
	s_delay_alu instid0(SALU_CYCLE_1)
	s_and_b32 s9, s9, 0x80
	s_delay_alu instid0(VALU_DEP_1) | instid1(SALU_CYCLE_1)
	v_or_b32_e32 v4, s9, v5
	global_store_b8 v[0:1], v4, off
.LBB30_813:
	s_mov_b32 s9, 0
.LBB30_814:
	s_delay_alu instid0(SALU_CYCLE_1)
	s_and_not1_b32 vcc_lo, exec_lo, s9
	s_cbranch_vccnz .LBB30_826
; %bb.815:
	s_xor_b32 s9, s2, s3
	s_cls_i32 s10, s3
	s_ashr_i32 s9, s9, 31
	s_add_i32 s10, s10, -1
	s_add_i32 s9, s9, 32
	s_delay_alu instid0(SALU_CYCLE_1) | instskip(NEXT) | instid1(SALU_CYCLE_1)
	s_min_u32 s9, s10, s9
	s_lshl_b64 s[10:11], s[2:3], s9
	s_sub_i32 s9, 32, s9
	s_min_u32 s10, s10, 1
	s_delay_alu instid0(SALU_CYCLE_1) | instskip(SKIP_2) | instid1(VALU_DEP_1)
	s_or_b32 s10, s11, s10
	s_mov_b32 s11, -1
	v_cvt_f32_i32_e32 v4, s10
	v_ldexp_f32 v4, v4, s9
	s_delay_alu instid0(VALU_DEP_1) | instskip(NEXT) | instid1(VALU_DEP_1)
	v_readfirstlane_b32 s9, v4
	s_and_b32 s10, s9, 0x7fffffff
	s_delay_alu instid0(SALU_CYCLE_1)
	s_cmp_lt_u32 s10, 0x47800000
	s_cbranch_scc0 .LBB30_818
; %bb.816:
	s_cmp_gt_u32 s10, 0x387fffff
	s_cbranch_scc0 .LBB30_819
; %bb.817:
	s_bfe_u32 s11, s9, 0x10015
	s_delay_alu instid0(SALU_CYCLE_1) | instskip(NEXT) | instid1(SALU_CYCLE_1)
	s_add_i32 s11, s9, s11
	s_add_i32 s11, s11, 0x80fffff
	s_delay_alu instid0(SALU_CYCLE_1)
	s_lshr_b32 s12, s11, 21
	s_mov_b32 s11, 0
	s_branch .LBB30_820
.LBB30_818:
                                        ; implicit-def: $vgpr5
	s_branch .LBB30_823
.LBB30_819:
                                        ; implicit-def: $sgpr12
.LBB30_820:
	v_mov_b32_e32 v5, s12
	s_and_not1_b32 vcc_lo, exec_lo, s11
	s_cbranch_vccnz .LBB30_822
; %bb.821:
	v_add_f32_e64 v5, 0x43000000, |v4|
.LBB30_822:
	s_mov_b32 s11, 0
.LBB30_823:
	s_delay_alu instid0(SALU_CYCLE_1)
	s_and_not1_b32 vcc_lo, exec_lo, s11
	s_cbranch_vccnz .LBB30_825
; %bb.824:
	s_cmp_gt_u32 s10, 0x7f800000
	s_movk_i32 s10, 0x7f
	s_delay_alu instid0(SALU_CYCLE_1) | instskip(NEXT) | instid1(SALU_CYCLE_1)
	s_cselect_b32 s10, s10, 0x7c
	v_mov_b32_e32 v5, s10
.LBB30_825:
	s_lshr_b32 s9, s9, 24
	s_delay_alu instid0(SALU_CYCLE_1)
	s_and_b32 s9, s9, 0x80
	s_delay_alu instid0(VALU_DEP_1) | instid1(SALU_CYCLE_1)
	v_or_b32_e32 v4, s9, v5
	global_store_b8 v[0:1], v4, off
.LBB30_826:
	s_mov_b32 s9, 0
	s_mov_b32 s10, -1
.LBB30_827:
	s_and_not1_b32 vcc_lo, exec_lo, s9
	s_mov_b32 s9, 0
	s_cbranch_vccnz .LBB30_834
; %bb.828:
	v_cmp_lt_i16_e32 vcc_lo, 14, v2
	s_mov_b32 s9, -1
	s_cbranch_vccz .LBB30_832
; %bb.829:
	v_cmp_eq_u16_e32 vcc_lo, 15, v2
	s_mov_b32 s0, -1
	s_cbranch_vccz .LBB30_831
; %bb.830:
	s_xor_b32 s0, s2, s3
	s_cls_i32 s9, s3
	s_ashr_i32 s0, s0, 31
	s_add_i32 s9, s9, -1
	s_add_i32 s0, s0, 32
	s_delay_alu instid0(SALU_CYCLE_1) | instskip(NEXT) | instid1(SALU_CYCLE_1)
	s_min_u32 s0, s9, s0
	s_lshl_b64 s[10:11], s[2:3], s0
	s_sub_i32 s0, 32, s0
	s_min_u32 s9, s10, 1
	s_mov_b32 s10, -1
	s_or_b32 s9, s11, s9
	s_delay_alu instid0(SALU_CYCLE_1) | instskip(NEXT) | instid1(VALU_DEP_1)
	v_cvt_f32_i32_e32 v4, s9
	v_ldexp_f32 v4, v4, s0
	s_mov_b32 s0, 0
	s_delay_alu instid0(VALU_DEP_1) | instskip(NEXT) | instid1(VALU_DEP_1)
	v_bfe_u32 v5, v4, 16, 1
	v_add_nc_u32_e32 v4, v4, v5
	s_delay_alu instid0(VALU_DEP_1)
	v_add_nc_u32_e32 v4, 0x7fff, v4
	global_store_d16_hi_b16 v[0:1], v4, off
.LBB30_831:
	s_mov_b32 s9, 0
.LBB30_832:
	s_delay_alu instid0(SALU_CYCLE_1)
	s_and_b32 vcc_lo, exec_lo, s9
	s_mov_b32 s9, 0
	s_cbranch_vccz .LBB30_834
; %bb.833:
	v_cmp_ne_u16_e64 s0, 11, v2
	s_mov_b32 s9, -1
.LBB30_834:
	s_delay_alu instid0(VALU_DEP_1)
	s_and_b32 vcc_lo, exec_lo, s0
	s_cbranch_vccnz .LBB30_869
; %bb.835:
	s_and_not1_b32 vcc_lo, exec_lo, s9
	s_cbranch_vccnz .LBB30_837
.LBB30_836:
	s_cmp_lg_u64 s[2:3], 0
	s_mov_b32 s10, -1
	s_cselect_b32 s0, -1, 0
	s_delay_alu instid0(SALU_CYCLE_1)
	v_cndmask_b32_e64 v4, 0, 1, s0
	global_store_b8 v[0:1], v4, off
.LBB30_837:
.LBB30_838:
	s_and_not1_b32 vcc_lo, exec_lo, s10
	s_cbranch_vccnz .LBB30_683
.LBB30_839:
	v_add_nc_u32_e32 v0, s6, v3
	v_cmp_gt_i16_e32 vcc_lo, 11, v2
	s_delay_alu instid0(VALU_DEP_2) | instskip(SKIP_1) | instid1(VALU_DEP_1)
	v_ashrrev_i32_e32 v1, 31, v0
	v_add_co_u32 v0, s0, s4, v0
	v_add_co_ci_u32_e64 v1, s0, s5, v1, s0
	s_cbranch_vccnz .LBB30_868
; %bb.840:
	v_cmp_lt_i16_e32 vcc_lo, 25, v2
	s_mov_b32 s5, -1
	s_mov_b32 s4, 0
	s_mov_b32 s0, 0
	s_cbranch_vccz .LBB30_880
; %bb.841:
	v_cmp_lt_i16_e32 vcc_lo, 28, v2
	s_cbranch_vccz .LBB30_857
; %bb.842:
	v_cmp_lt_i16_e32 vcc_lo, 43, v2
	;; [unrolled: 3-line block ×3, first 2 shown]
	s_cbranch_vccz .LBB30_847
; %bb.844:
	v_cmp_eq_u16_e32 vcc_lo, 46, v2
	s_mov_b32 s0, -1
	s_cbranch_vccz .LBB30_846
; %bb.845:
	s_xor_b32 s0, s2, s3
	s_cls_i32 s5, s3
	s_ashr_i32 s0, s0, 31
	s_add_i32 s5, s5, -1
	s_add_i32 s0, s0, 32
	s_delay_alu instid0(SALU_CYCLE_1) | instskip(NEXT) | instid1(SALU_CYCLE_1)
	s_min_u32 s0, s5, s0
	s_lshl_b64 s[10:11], s[2:3], s0
	s_sub_i32 s0, 32, s0
	s_min_u32 s5, s10, 1
	s_delay_alu instid0(SALU_CYCLE_1) | instskip(NEXT) | instid1(SALU_CYCLE_1)
	s_or_b32 s5, s11, s5
	v_cvt_f32_i32_e32 v3, s5
	s_delay_alu instid0(VALU_DEP_1) | instskip(SKIP_1) | instid1(VALU_DEP_1)
	v_ldexp_f32 v3, v3, s0
	s_mov_b32 s0, 0
	v_bfe_u32 v4, v3, 16, 1
	s_delay_alu instid0(VALU_DEP_1) | instskip(NEXT) | instid1(VALU_DEP_1)
	v_add_nc_u32_e32 v3, v3, v4
	v_add_nc_u32_e32 v3, 0x7fff, v3
	s_delay_alu instid0(VALU_DEP_1)
	v_lshrrev_b32_e32 v3, 16, v3
	global_store_b32 v[0:1], v3, off
.LBB30_846:
	s_mov_b32 s5, 0
.LBB30_847:
	s_delay_alu instid0(SALU_CYCLE_1)
	s_and_b32 vcc_lo, exec_lo, s5
	s_cbranch_vccz .LBB30_852
; %bb.848:
	v_cmp_eq_u16_e32 vcc_lo, 44, v2
	s_mov_b32 s0, -1
	s_cbranch_vccz .LBB30_852
; %bb.849:
	s_xor_b32 s0, s2, s3
	s_cls_i32 s5, s3
	s_ashr_i32 s0, s0, 31
	s_add_i32 s5, s5, -1
	s_add_i32 s0, s0, 32
	v_mov_b32_e32 v4, 0xff
	s_min_u32 s0, s5, s0
	s_delay_alu instid0(SALU_CYCLE_1) | instskip(SKIP_2) | instid1(SALU_CYCLE_1)
	s_lshl_b64 s[10:11], s[2:3], s0
	s_sub_i32 s0, 32, s0
	s_min_u32 s5, s10, 1
	s_or_b32 s5, s11, s5
	s_delay_alu instid0(SALU_CYCLE_1) | instskip(NEXT) | instid1(VALU_DEP_1)
	v_cvt_f32_i32_e32 v3, s5
	v_ldexp_f32 v3, v3, s0
	s_delay_alu instid0(VALU_DEP_1) | instskip(NEXT) | instid1(VALU_DEP_1)
	v_readfirstlane_b32 s0, v3
	s_bfe_u32 s5, s0, 0x80017
	s_delay_alu instid0(SALU_CYCLE_1)
	s_cmpk_eq_i32 s5, 0xff
	s_cbranch_scc1 .LBB30_851
; %bb.850:
	s_bitcmp1_b32 s0, 22
	v_lshrrev_b32_e32 v3, 23, v3
	s_cselect_b32 s6, -1, 0
	s_and_b32 s0, s0, 0x3fffff
	s_delay_alu instid0(SALU_CYCLE_1) | instskip(NEXT) | instid1(SALU_CYCLE_1)
	s_or_b32 s0, s5, s0
	s_cmp_lg_u32 s0, 0
	s_cselect_b32 s0, -1, 0
	s_delay_alu instid0(SALU_CYCLE_1) | instskip(NEXT) | instid1(SALU_CYCLE_1)
	s_and_b32 s0, s6, s0
	v_cndmask_b32_e64 v4, 0, 1, s0
	s_delay_alu instid0(VALU_DEP_1)
	v_add_nc_u32_e32 v4, v3, v4
.LBB30_851:
	s_mov_b32 s0, 0
	global_store_b8 v[0:1], v4, off
.LBB30_852:
	s_mov_b32 s5, 0
.LBB30_853:
	s_delay_alu instid0(SALU_CYCLE_1)
	s_and_b32 vcc_lo, exec_lo, s5
	s_cbranch_vccz .LBB30_856
; %bb.854:
	v_cmp_eq_u16_e32 vcc_lo, 29, v2
	s_mov_b32 s0, -1
	s_cbranch_vccz .LBB30_856
; %bb.855:
	v_dual_mov_b32 v4, s3 :: v_dual_mov_b32 v3, s2
	s_mov_b32 s0, 0
	global_store_b64 v[0:1], v[3:4], off
.LBB30_856:
	s_mov_b32 s5, 0
.LBB30_857:
	s_delay_alu instid0(SALU_CYCLE_1)
	s_and_b32 vcc_lo, exec_lo, s5
	s_cbranch_vccz .LBB30_879
; %bb.858:
	v_cmp_gt_i16_e32 vcc_lo, 27, v2
	s_mov_b32 s5, -1
	s_cbranch_vccnz .LBB30_864
; %bb.859:
	v_cmp_lt_i16_e32 vcc_lo, 27, v2
	s_cbranch_vccz .LBB30_861
; %bb.860:
	v_mov_b32_e32 v3, s2
	s_mov_b32 s5, 0
	global_store_b32 v[0:1], v3, off
.LBB30_861:
	s_and_not1_b32 vcc_lo, exec_lo, s5
	s_cbranch_vccnz .LBB30_863
; %bb.862:
	v_mov_b32_e32 v3, s2
	global_store_b16 v[0:1], v3, off
.LBB30_863:
	s_mov_b32 s5, 0
.LBB30_864:
	s_delay_alu instid0(SALU_CYCLE_1)
	s_and_not1_b32 vcc_lo, exec_lo, s5
	s_cbranch_vccnz .LBB30_879
; %bb.865:
	s_xor_b32 s5, s2, s3
	s_cls_i32 s6, s3
	s_ashr_i32 s5, s5, 31
	s_add_i32 s6, s6, -1
	s_add_i32 s5, s5, 32
	v_mov_b32_e32 v4, 0x80
	s_min_u32 s5, s6, s5
	s_mov_b32 s9, -1
	s_lshl_b64 s[10:11], s[2:3], s5
	s_sub_i32 s5, 32, s5
	s_min_u32 s6, s10, 1
	s_delay_alu instid0(SALU_CYCLE_1) | instskip(NEXT) | instid1(SALU_CYCLE_1)
	s_or_b32 s6, s11, s6
	v_cvt_f32_i32_e32 v3, s6
	s_delay_alu instid0(VALU_DEP_1) | instskip(NEXT) | instid1(VALU_DEP_1)
	v_ldexp_f32 v3, v3, s5
	v_readfirstlane_b32 s5, v3
	s_delay_alu instid0(VALU_DEP_1) | instskip(NEXT) | instid1(SALU_CYCLE_1)
	s_and_b32 s6, s5, 0x7fffffff
	s_cmp_gt_u32 s6, 0x437fffff
	s_cbranch_scc1 .LBB30_878
; %bb.866:
	s_cmp_gt_u32 s6, 0x3bffffff
	s_cbranch_scc0 .LBB30_873
; %bb.867:
	s_bfe_u32 s6, s5, 0x10014
	s_mov_b32 s9, 0
	s_add_i32 s6, s5, s6
	s_delay_alu instid0(SALU_CYCLE_1) | instskip(NEXT) | instid1(SALU_CYCLE_1)
	s_add_i32 s6, s6, 0x487ffff
	s_lshr_b32 s10, s6, 20
	s_mov_b32 s6, -1
	s_branch .LBB30_874
.LBB30_868:
	s_mov_b32 s4, 0
	s_mov_b32 s0, -1
	s_branch .LBB30_684
.LBB30_869:
	s_cbranch_execnz .LBB30_871
; %bb.870:
	s_or_b32 s8, s8, exec_lo
	s_cbranch_execz .LBB30_836
	s_branch .LBB30_837
.LBB30_871:
	s_trap 2
	s_sendmsg_rtn_b32 s0, sendmsg(MSG_RTN_GET_DOORBELL)
	s_mov_b32 ttmp2, m0
	s_waitcnt lgkmcnt(0)
	s_and_b32 s0, s0, 0x3ff
	s_delay_alu instid0(SALU_CYCLE_1) | instskip(NEXT) | instid1(SALU_CYCLE_1)
	s_bitset1_b32 s0, 10
	s_mov_b32 m0, s0
	s_sendmsg sendmsg(MSG_INTERRUPT)
	s_mov_b32 m0, ttmp2
.LBB30_872:                             ; =>This Inner Loop Header: Depth=1
	s_sethalt 5
	s_branch .LBB30_872
.LBB30_873:
	s_mov_b32 s6, 0
                                        ; implicit-def: $sgpr10
.LBB30_874:
	v_mov_b32_e32 v3, s10
	s_and_not1_b32 vcc_lo, exec_lo, s9
                                        ; implicit-def: $sgpr9
	s_cbranch_vccnz .LBB30_876
; %bb.875:
	v_add_f32_e64 v3, 0x46000000, |s5|
	s_mov_b32 s9, 0
	s_delay_alu instid0(VALU_DEP_1) | instskip(NEXT) | instid1(VALU_DEP_1)
	v_and_b32_e32 v3, 0xff, v3
	v_cmp_ne_u32_e64 s6, 0, v3
.LBB30_876:
	v_mov_b32_e32 v4, s9
	s_delay_alu instid0(VALU_DEP_2)
	s_and_not1_b32 vcc_lo, exec_lo, s6
	s_cbranch_vccnz .LBB30_878
; %bb.877:
	s_lshr_b32 s5, s5, 24
	s_delay_alu instid0(SALU_CYCLE_1) | instskip(NEXT) | instid1(SALU_CYCLE_1)
	s_and_b32 s5, s5, 0x80
	v_or_b32_e32 v4, s5, v3
.LBB30_878:
	global_store_b8 v[0:1], v4, off
.LBB30_879:
	s_mov_b32 s5, 0
.LBB30_880:
	s_delay_alu instid0(SALU_CYCLE_1)
	s_and_b32 vcc_lo, exec_lo, s5
	s_cbranch_vccz .LBB30_926
; %bb.881:
	v_cmp_lt_i16_e32 vcc_lo, 22, v2
	s_mov_b32 s4, -1
	s_cbranch_vccz .LBB30_919
; %bb.882:
	v_cmp_gt_i16_e32 vcc_lo, 24, v2
	s_cbranch_vccnz .LBB30_906
; %bb.883:
	v_cmp_lt_i16_e32 vcc_lo, 24, v2
	s_cbranch_vccz .LBB30_893
; %bb.884:
	s_xor_b32 s4, s2, s3
	s_cls_i32 s5, s3
	s_ashr_i32 s4, s4, 31
	s_add_i32 s5, s5, -1
	s_add_i32 s4, s4, 32
	v_mov_b32_e32 v4, 0x80
	s_min_u32 s6, s5, s4
	s_delay_alu instid0(SALU_CYCLE_1) | instskip(NEXT) | instid1(SALU_CYCLE_1)
	s_lshl_b64 s[4:5], s[2:3], s6
	s_min_u32 s4, s4, 1
	s_delay_alu instid0(SALU_CYCLE_1) | instskip(NEXT) | instid1(SALU_CYCLE_1)
	s_or_b32 s4, s5, s4
	v_cvt_f32_i32_e32 v3, s4
	s_sub_i32 s4, 32, s6
	s_mov_b32 s6, -1
	s_delay_alu instid0(VALU_DEP_1) | instskip(NEXT) | instid1(VALU_DEP_1)
	v_ldexp_f32 v3, v3, s4
	v_readfirstlane_b32 s4, v3
	s_delay_alu instid0(VALU_DEP_1) | instskip(NEXT) | instid1(SALU_CYCLE_1)
	s_and_b32 s5, s4, 0x7fffffff
	s_cmp_gt_u32 s5, 0x477fffff
	s_cbranch_scc1 .LBB30_892
; %bb.885:
	s_cmp_gt_u32 s5, 0x37ffffff
	s_cbranch_scc0 .LBB30_887
; %bb.886:
	s_bfe_u32 s5, s4, 0x10015
	s_mov_b32 s6, 0
	s_add_i32 s5, s4, s5
	s_delay_alu instid0(SALU_CYCLE_1) | instskip(NEXT) | instid1(SALU_CYCLE_1)
	s_add_i32 s5, s5, 0x88fffff
	s_lshr_b32 s9, s5, 21
	s_mov_b32 s5, -1
	s_branch .LBB30_888
.LBB30_887:
	s_mov_b32 s5, 0
                                        ; implicit-def: $sgpr9
.LBB30_888:
	v_mov_b32_e32 v3, s9
	s_and_not1_b32 vcc_lo, exec_lo, s6
                                        ; implicit-def: $sgpr6
	s_cbranch_vccnz .LBB30_890
; %bb.889:
	v_add_f32_e64 v3, 0x42800000, |s4|
	s_mov_b32 s6, 0
	s_delay_alu instid0(VALU_DEP_1) | instskip(NEXT) | instid1(VALU_DEP_1)
	v_and_b32_e32 v3, 0xff, v3
	v_cmp_ne_u32_e64 s5, 0, v3
.LBB30_890:
	v_mov_b32_e32 v4, s6
	s_delay_alu instid0(VALU_DEP_2)
	s_and_not1_b32 vcc_lo, exec_lo, s5
	s_cbranch_vccnz .LBB30_892
; %bb.891:
	s_lshr_b32 s4, s4, 24
	s_delay_alu instid0(SALU_CYCLE_1) | instskip(NEXT) | instid1(SALU_CYCLE_1)
	s_and_b32 s4, s4, 0x80
	v_or_b32_e32 v4, s4, v3
.LBB30_892:
	s_mov_b32 s4, 0
	global_store_b8 v[0:1], v4, off
.LBB30_893:
	s_and_b32 vcc_lo, exec_lo, s4
	s_cbranch_vccz .LBB30_905
; %bb.894:
	s_xor_b32 s4, s2, s3
	s_cls_i32 s5, s3
	s_ashr_i32 s4, s4, 31
	s_add_i32 s5, s5, -1
	s_add_i32 s4, s4, 32
	s_delay_alu instid0(SALU_CYCLE_1) | instskip(NEXT) | instid1(SALU_CYCLE_1)
	s_min_u32 s6, s5, s4
	s_lshl_b64 s[4:5], s[2:3], s6
	s_delay_alu instid0(SALU_CYCLE_1) | instskip(NEXT) | instid1(SALU_CYCLE_1)
	s_min_u32 s4, s4, 1
	s_or_b32 s4, s5, s4
	s_delay_alu instid0(SALU_CYCLE_1) | instskip(SKIP_2) | instid1(VALU_DEP_1)
	v_cvt_f32_i32_e32 v3, s4
	s_sub_i32 s4, 32, s6
	s_mov_b32 s6, -1
	v_ldexp_f32 v3, v3, s4
	s_delay_alu instid0(VALU_DEP_1) | instskip(NEXT) | instid1(VALU_DEP_1)
	v_readfirstlane_b32 s4, v3
	s_and_b32 s5, s4, 0x7fffffff
	s_delay_alu instid0(SALU_CYCLE_1)
	s_cmp_lt_u32 s5, 0x43f00000
	s_cbranch_scc0 .LBB30_897
; %bb.895:
	s_cmp_gt_u32 s5, 0x3c7fffff
	s_cbranch_scc0 .LBB30_898
; %bb.896:
	s_bfe_u32 s6, s4, 0x10014
	s_delay_alu instid0(SALU_CYCLE_1) | instskip(NEXT) | instid1(SALU_CYCLE_1)
	s_add_i32 s6, s4, s6
	s_add_i32 s6, s6, 0x407ffff
	s_delay_alu instid0(SALU_CYCLE_1)
	s_and_b32 s9, s6, 0xff00000
	s_lshr_b32 s6, s6, 20
	s_cmp_lg_u32 s9, 0x7f00000
	s_cselect_b32 s9, s6, 0x7e
	s_mov_b32 s6, 0
	s_branch .LBB30_899
.LBB30_897:
                                        ; implicit-def: $vgpr4
	s_branch .LBB30_902
.LBB30_898:
                                        ; implicit-def: $sgpr9
.LBB30_899:
	v_mov_b32_e32 v4, s9
	s_and_not1_b32 vcc_lo, exec_lo, s6
	s_cbranch_vccnz .LBB30_901
; %bb.900:
	v_add_f32_e64 v4, 0x46800000, |v3|
.LBB30_901:
	s_mov_b32 s6, 0
.LBB30_902:
	s_delay_alu instid0(SALU_CYCLE_1)
	s_and_not1_b32 vcc_lo, exec_lo, s6
	s_cbranch_vccnz .LBB30_904
; %bb.903:
	s_cmp_gt_u32 s5, 0x7f800000
	s_movk_i32 s5, 0x7f
	s_delay_alu instid0(SALU_CYCLE_1) | instskip(NEXT) | instid1(SALU_CYCLE_1)
	s_cselect_b32 s5, s5, 0x7e
	v_mov_b32_e32 v4, s5
.LBB30_904:
	s_lshr_b32 s4, s4, 24
	s_delay_alu instid0(SALU_CYCLE_1)
	s_and_b32 s4, s4, 0x80
	s_delay_alu instid0(VALU_DEP_1) | instid1(SALU_CYCLE_1)
	v_or_b32_e32 v3, s4, v4
	global_store_b8 v[0:1], v3, off
.LBB30_905:
	s_mov_b32 s4, 0
.LBB30_906:
	s_delay_alu instid0(SALU_CYCLE_1)
	s_and_not1_b32 vcc_lo, exec_lo, s4
	s_cbranch_vccnz .LBB30_918
; %bb.907:
	s_xor_b32 s4, s2, s3
	s_cls_i32 s5, s3
	s_ashr_i32 s4, s4, 31
	s_add_i32 s5, s5, -1
	s_add_i32 s4, s4, 32
	s_delay_alu instid0(SALU_CYCLE_1) | instskip(NEXT) | instid1(SALU_CYCLE_1)
	s_min_u32 s6, s5, s4
	s_lshl_b64 s[4:5], s[2:3], s6
	s_delay_alu instid0(SALU_CYCLE_1) | instskip(NEXT) | instid1(SALU_CYCLE_1)
	s_min_u32 s4, s4, 1
	s_or_b32 s4, s5, s4
	s_delay_alu instid0(SALU_CYCLE_1) | instskip(SKIP_2) | instid1(VALU_DEP_1)
	v_cvt_f32_i32_e32 v3, s4
	s_sub_i32 s4, 32, s6
	s_mov_b32 s6, -1
	v_ldexp_f32 v3, v3, s4
	s_delay_alu instid0(VALU_DEP_1) | instskip(NEXT) | instid1(VALU_DEP_1)
	v_readfirstlane_b32 s4, v3
	s_and_b32 s5, s4, 0x7fffffff
	s_delay_alu instid0(SALU_CYCLE_1)
	s_cmp_lt_u32 s5, 0x47800000
	s_cbranch_scc0 .LBB30_910
; %bb.908:
	s_cmp_gt_u32 s5, 0x387fffff
	s_cbranch_scc0 .LBB30_911
; %bb.909:
	s_bfe_u32 s6, s4, 0x10015
	s_delay_alu instid0(SALU_CYCLE_1) | instskip(NEXT) | instid1(SALU_CYCLE_1)
	s_add_i32 s6, s4, s6
	s_add_i32 s6, s6, 0x80fffff
	s_delay_alu instid0(SALU_CYCLE_1)
	s_lshr_b32 s9, s6, 21
	s_mov_b32 s6, 0
	s_branch .LBB30_912
.LBB30_910:
                                        ; implicit-def: $vgpr4
	s_branch .LBB30_915
.LBB30_911:
                                        ; implicit-def: $sgpr9
.LBB30_912:
	v_mov_b32_e32 v4, s9
	s_and_not1_b32 vcc_lo, exec_lo, s6
	s_cbranch_vccnz .LBB30_914
; %bb.913:
	v_add_f32_e64 v4, 0x43000000, |v3|
.LBB30_914:
	s_mov_b32 s6, 0
.LBB30_915:
	s_delay_alu instid0(SALU_CYCLE_1)
	s_and_not1_b32 vcc_lo, exec_lo, s6
	s_cbranch_vccnz .LBB30_917
; %bb.916:
	s_cmp_gt_u32 s5, 0x7f800000
	s_movk_i32 s5, 0x7f
	s_delay_alu instid0(SALU_CYCLE_1) | instskip(NEXT) | instid1(SALU_CYCLE_1)
	s_cselect_b32 s5, s5, 0x7c
	v_mov_b32_e32 v4, s5
.LBB30_917:
	s_lshr_b32 s4, s4, 24
	s_delay_alu instid0(SALU_CYCLE_1)
	s_and_b32 s4, s4, 0x80
	s_delay_alu instid0(VALU_DEP_1) | instid1(SALU_CYCLE_1)
	v_or_b32_e32 v3, s4, v4
	global_store_b8 v[0:1], v3, off
.LBB30_918:
	s_mov_b32 s4, 0
.LBB30_919:
	s_delay_alu instid0(SALU_CYCLE_1)
	s_and_not1_b32 vcc_lo, exec_lo, s4
	s_mov_b32 s4, 0
	s_cbranch_vccnz .LBB30_926
; %bb.920:
	v_cmp_lt_i16_e32 vcc_lo, 14, v2
	s_mov_b32 s4, -1
	s_cbranch_vccz .LBB30_924
; %bb.921:
	v_cmp_eq_u16_e32 vcc_lo, 15, v2
	s_mov_b32 s0, -1
	s_cbranch_vccz .LBB30_923
; %bb.922:
	s_xor_b32 s0, s2, s3
	s_cls_i32 s4, s3
	s_ashr_i32 s0, s0, 31
	s_add_i32 s4, s4, -1
	s_add_i32 s0, s0, 32
	s_delay_alu instid0(SALU_CYCLE_1) | instskip(NEXT) | instid1(SALU_CYCLE_1)
	s_min_u32 s0, s4, s0
	s_lshl_b64 s[4:5], s[2:3], s0
	s_sub_i32 s0, 32, s0
	s_min_u32 s4, s4, 1
	s_delay_alu instid0(SALU_CYCLE_1) | instskip(NEXT) | instid1(SALU_CYCLE_1)
	s_or_b32 s4, s5, s4
	v_cvt_f32_i32_e32 v3, s4
	s_delay_alu instid0(VALU_DEP_1) | instskip(SKIP_1) | instid1(VALU_DEP_1)
	v_ldexp_f32 v3, v3, s0
	s_mov_b32 s0, 0
	v_bfe_u32 v4, v3, 16, 1
	s_delay_alu instid0(VALU_DEP_1) | instskip(NEXT) | instid1(VALU_DEP_1)
	v_add_nc_u32_e32 v3, v3, v4
	v_add_nc_u32_e32 v3, 0x7fff, v3
	global_store_d16_hi_b16 v[0:1], v3, off
.LBB30_923:
	s_mov_b32 s4, 0
.LBB30_924:
	s_delay_alu instid0(SALU_CYCLE_1)
	s_and_b32 vcc_lo, exec_lo, s4
	s_mov_b32 s4, 0
	s_cbranch_vccz .LBB30_926
; %bb.925:
	v_cmp_ne_u16_e64 s0, 11, v2
	s_mov_b32 s4, -1
.LBB30_926:
	s_delay_alu instid0(VALU_DEP_1)
	s_and_b32 vcc_lo, exec_lo, s0
	s_cbranch_vccnz .LBB30_928
.LBB30_927:
	s_mov_b32 s0, 0
	s_branch .LBB30_684
.LBB30_928:
	s_cbranch_execnz .LBB30_930
; %bb.929:
	s_mov_b32 s4, 0
	s_or_b32 s8, s8, exec_lo
	s_branch .LBB30_927
.LBB30_930:
	s_trap 2
	s_sendmsg_rtn_b32 s0, sendmsg(MSG_RTN_GET_DOORBELL)
	s_mov_b32 ttmp2, m0
	s_waitcnt lgkmcnt(0)
	s_and_b32 s0, s0, 0x3ff
	s_delay_alu instid0(SALU_CYCLE_1) | instskip(NEXT) | instid1(SALU_CYCLE_1)
	s_bitset1_b32 s0, 10
	s_mov_b32 m0, s0
	s_sendmsg sendmsg(MSG_INTERRUPT)
	s_mov_b32 m0, ttmp2
.LBB30_931:                             ; =>This Inner Loop Header: Depth=1
	s_sethalt 5
	s_branch .LBB30_931
	.section	.rodata,"a",@progbits
	.p2align	6, 0x0
	.amdhsa_kernel _ZN2at6native32elementwise_kernel_manual_unrollILi128ELi4EZNS0_15gpu_kernel_implINS0_11FillFunctorIlEEEEvRNS_18TensorIteratorBaseERKT_EUlibE_EEviT1_
		.amdhsa_group_segment_fixed_size 0
		.amdhsa_private_segment_fixed_size 0
		.amdhsa_kernarg_size 40
		.amdhsa_user_sgpr_count 15
		.amdhsa_user_sgpr_dispatch_ptr 0
		.amdhsa_user_sgpr_queue_ptr 0
		.amdhsa_user_sgpr_kernarg_segment_ptr 1
		.amdhsa_user_sgpr_dispatch_id 0
		.amdhsa_user_sgpr_private_segment_size 0
		.amdhsa_wavefront_size32 1
		.amdhsa_uses_dynamic_stack 0
		.amdhsa_enable_private_segment 0
		.amdhsa_system_sgpr_workgroup_id_x 1
		.amdhsa_system_sgpr_workgroup_id_y 0
		.amdhsa_system_sgpr_workgroup_id_z 0
		.amdhsa_system_sgpr_workgroup_info 0
		.amdhsa_system_vgpr_workitem_id 0
		.amdhsa_next_free_vgpr 18
		.amdhsa_next_free_sgpr 38
		.amdhsa_reserve_vcc 1
		.amdhsa_float_round_mode_32 0
		.amdhsa_float_round_mode_16_64 0
		.amdhsa_float_denorm_mode_32 3
		.amdhsa_float_denorm_mode_16_64 3
		.amdhsa_dx10_clamp 1
		.amdhsa_ieee_mode 1
		.amdhsa_fp16_overflow 0
		.amdhsa_workgroup_processor_mode 1
		.amdhsa_memory_ordered 1
		.amdhsa_forward_progress 0
		.amdhsa_shared_vgpr_count 0
		.amdhsa_exception_fp_ieee_invalid_op 0
		.amdhsa_exception_fp_denorm_src 0
		.amdhsa_exception_fp_ieee_div_zero 0
		.amdhsa_exception_fp_ieee_overflow 0
		.amdhsa_exception_fp_ieee_underflow 0
		.amdhsa_exception_fp_ieee_inexact 0
		.amdhsa_exception_int_div_zero 0
	.end_amdhsa_kernel
	.section	.text._ZN2at6native32elementwise_kernel_manual_unrollILi128ELi4EZNS0_15gpu_kernel_implINS0_11FillFunctorIlEEEEvRNS_18TensorIteratorBaseERKT_EUlibE_EEviT1_,"axG",@progbits,_ZN2at6native32elementwise_kernel_manual_unrollILi128ELi4EZNS0_15gpu_kernel_implINS0_11FillFunctorIlEEEEvRNS_18TensorIteratorBaseERKT_EUlibE_EEviT1_,comdat
.Lfunc_end30:
	.size	_ZN2at6native32elementwise_kernel_manual_unrollILi128ELi4EZNS0_15gpu_kernel_implINS0_11FillFunctorIlEEEEvRNS_18TensorIteratorBaseERKT_EUlibE_EEviT1_, .Lfunc_end30-_ZN2at6native32elementwise_kernel_manual_unrollILi128ELi4EZNS0_15gpu_kernel_implINS0_11FillFunctorIlEEEEvRNS_18TensorIteratorBaseERKT_EUlibE_EEviT1_
                                        ; -- End function
	.section	.AMDGPU.csdata,"",@progbits
; Kernel info:
; codeLenInByte = 16540
; NumSgprs: 40
; NumVgprs: 18
; ScratchSize: 0
; MemoryBound: 0
; FloatMode: 240
; IeeeMode: 1
; LDSByteSize: 0 bytes/workgroup (compile time only)
; SGPRBlocks: 4
; VGPRBlocks: 2
; NumSGPRsForWavesPerEU: 40
; NumVGPRsForWavesPerEU: 18
; Occupancy: 16
; WaveLimiterHint : 0
; COMPUTE_PGM_RSRC2:SCRATCH_EN: 0
; COMPUTE_PGM_RSRC2:USER_SGPR: 15
; COMPUTE_PGM_RSRC2:TRAP_HANDLER: 0
; COMPUTE_PGM_RSRC2:TGID_X_EN: 1
; COMPUTE_PGM_RSRC2:TGID_Y_EN: 0
; COMPUTE_PGM_RSRC2:TGID_Z_EN: 0
; COMPUTE_PGM_RSRC2:TIDIG_COMP_CNT: 0
	.section	.text._ZN2at6native32elementwise_kernel_manual_unrollILi128ELi4EZNS0_15gpu_kernel_implINS0_11FillFunctorIlEEEEvRNS_18TensorIteratorBaseERKT_EUlibE0_EEviT1_,"axG",@progbits,_ZN2at6native32elementwise_kernel_manual_unrollILi128ELi4EZNS0_15gpu_kernel_implINS0_11FillFunctorIlEEEEvRNS_18TensorIteratorBaseERKT_EUlibE0_EEviT1_,comdat
	.protected	_ZN2at6native32elementwise_kernel_manual_unrollILi128ELi4EZNS0_15gpu_kernel_implINS0_11FillFunctorIlEEEEvRNS_18TensorIteratorBaseERKT_EUlibE0_EEviT1_ ; -- Begin function _ZN2at6native32elementwise_kernel_manual_unrollILi128ELi4EZNS0_15gpu_kernel_implINS0_11FillFunctorIlEEEEvRNS_18TensorIteratorBaseERKT_EUlibE0_EEviT1_
	.globl	_ZN2at6native32elementwise_kernel_manual_unrollILi128ELi4EZNS0_15gpu_kernel_implINS0_11FillFunctorIlEEEEvRNS_18TensorIteratorBaseERKT_EUlibE0_EEviT1_
	.p2align	8
	.type	_ZN2at6native32elementwise_kernel_manual_unrollILi128ELi4EZNS0_15gpu_kernel_implINS0_11FillFunctorIlEEEEvRNS_18TensorIteratorBaseERKT_EUlibE0_EEviT1_,@function
_ZN2at6native32elementwise_kernel_manual_unrollILi128ELi4EZNS0_15gpu_kernel_implINS0_11FillFunctorIlEEEEvRNS_18TensorIteratorBaseERKT_EUlibE0_EEviT1_: ; @_ZN2at6native32elementwise_kernel_manual_unrollILi128ELi4EZNS0_15gpu_kernel_implINS0_11FillFunctorIlEEEEvRNS_18TensorIteratorBaseERKT_EUlibE0_EEviT1_
; %bb.0:
	s_clause 0x1
	s_load_b32 s22, s[0:1], 0x8
	s_load_b32 s47, s[0:1], 0x0
	v_lshl_or_b32 v8, s15, 9, v0
	s_or_b32 s0, s0, 8
	s_mov_b32 s18, -1
	s_mov_b32 s24, 0
	s_mov_b32 s6, 0
	v_or_b32_e32 v4, 0x180, v8
	s_mov_b32 s2, exec_lo
	s_waitcnt lgkmcnt(0)
	s_add_i32 s23, s22, -1
	s_delay_alu instid0(SALU_CYCLE_1)
	s_cmp_gt_u32 s23, 1
	s_cselect_b32 s25, -1, 0
	v_cmpx_le_i32_e64 s47, v4
	s_xor_b32 s3, exec_lo, s2
	s_cbranch_execz .LBB31_159
; %bb.1:
	s_clause 0x1
	s_load_b128 s[4:7], s[0:1], 0x108
	s_load_b64 s[14:15], s[0:1], 0xc4
	s_cmp_lg_u32 s22, 0
	s_load_b32 s46, s[0:1], 0x118
	s_cselect_b32 s49, -1, 0
	s_add_u32 s12, s0, 0xc4
	s_addc_u32 s13, s1, 0
	s_min_u32 s48, s23, 15
	s_cmp_gt_u32 s22, 1
	s_mov_b32 s52, 0
	s_cselect_b32 s45, -1, 0
	s_mov_b32 s50, 0
	s_mov_b32 s51, exec_lo
	s_waitcnt lgkmcnt(0)
	v_cvt_f64_i32_e32 v[0:1], s7
	s_xor_b32 s8, s6, s7
	s_cls_i32 s2, s7
	s_ashr_i32 s8, s8, 31
	s_add_i32 s2, s2, -1
	s_add_i32 s8, s8, 32
	s_delay_alu instid0(SALU_CYCLE_1) | instskip(NEXT) | instid1(SALU_CYCLE_1)
	s_min_u32 s2, s2, s8
	s_lshl_b64 s[8:9], s[6:7], s2
	s_sub_i32 s2, 32, s2
	s_min_u32 s8, s8, 1
	s_delay_alu instid0(SALU_CYCLE_1) | instskip(NEXT) | instid1(SALU_CYCLE_1)
	s_or_b32 s8, s9, s8
	v_cvt_f32_i32_e32 v2, s8
	s_delay_alu instid0(VALU_DEP_1) | instskip(NEXT) | instid1(VALU_DEP_1)
	v_ldexp_f32 v4, v2, s2
	v_bfe_u32 v5, v4, 23, 8
	v_and_b32_e32 v2, 0x3fffff, v4
	v_and_b32_e32 v3, 0x400000, v4
	v_readfirstlane_b32 s19, v4
	v_add_f32_e64 v15, 0x46000000, |v4|
	v_add_f32_e64 v14, 0x42800000, |v4|
	v_or_b32_e32 v2, v5, v2
	v_cmp_ne_u32_e32 vcc_lo, 0, v3
	s_and_b32 s20, s19, 0x7fffffff
	v_lshrrev_b32_e32 v6, 23, v4
	v_readfirstlane_b32 s28, v14
	v_cmp_ne_u32_e64 s2, 0, v2
	v_cvt_f64_u32_e32 v[2:3], s6
	v_ldexp_f64 v[0:1], v[0:1], 32
	v_cvt_f16_f32_e32 v9, v4
	s_delay_alu instid0(VALU_DEP_4)
	s_and_b32 s21, vcc_lo, s2
	s_cmp_lt_u32 s20, 0x43800000
	v_readfirstlane_b32 s2, v15
	s_cselect_b32 s43, -1, 0
	s_cmp_gt_u32 s20, 0x3bffffff
	v_and_b32_e32 v10, 0xffff, v9
	s_cselect_b32 s41, -1, 0
	s_bfe_u32 s8, s19, 0x10014
	s_and_b32 s2, s2, 0xff
	s_add_i32 s27, s19, s8
	s_delay_alu instid0(SALU_CYCLE_1) | instskip(NEXT) | instid1(SALU_CYCLE_1)
	s_add_i32 s8, s27, 0x487ffff
	s_lshr_b32 s42, s8, 20
	s_cmp_lg_u32 s2, 0
	s_clause 0x1
	s_load_b128 s[8:11], s[0:1], 0x4
	s_load_b64 s[16:17], s[0:1], 0x14
	s_cselect_b32 s44, -1, 0
	s_cmp_gt_u32 s20, 0x477fffff
	s_cselect_b32 s26, -1, 0
	s_cmp_lt_u32 s20, 0x47800000
	s_cselect_b32 s37, -1, 0
	s_cmp_gt_u32 s20, 0x37ffffff
	s_cselect_b32 s33, -1, 0
	s_bfe_u32 s2, s19, 0x10015
	s_and_b32 s28, s28, 0xff
	s_add_i32 s19, s19, s2
	s_delay_alu instid0(SALU_CYCLE_1) | instskip(NEXT) | instid1(SALU_CYCLE_1)
	s_add_i32 s2, s19, 0x88fffff
	s_lshr_b32 s36, s2, 21
	s_cmp_lg_u32 s28, 0
	v_cmp_eq_u32_e64 s2, 0xff, v5
	v_add_f64 v[0:1], v[0:1], v[2:3]
	s_cselect_b32 s40, -1, 0
	s_cmp_gt_u32 s20, 0x43efffff
	v_cndmask_b32_e64 v2, 0, 1, s21
	s_cselect_b32 s29, -1, 0
	s_cmp_lt_u32 s20, 0x3c800000
	v_lshrrev_b32_e32 v3, 24, v4
	s_cselect_b32 s30, -1, 0
	s_add_i32 s27, s27, 0x407ffff
	v_add_nc_u32_e32 v16, v6, v2
	s_and_b32 s21, s27, 0xff00000
	s_lshr_b32 s27, s27, 20
	s_cmp_lg_u32 s21, 0x7f00000
	v_bfe_u32 v2, v4, 16, 1
	s_cselect_b32 s35, s27, 0x7e
	s_cmp_lt_u32 s20, 0x38800000
	v_and_b32_e32 v13, 0x80, v3
	s_cselect_b32 s27, -1, 0
	s_add_i32 s19, s19, 0x80fffff
	v_add_nc_u32_e32 v2, v4, v2
	s_lshr_b32 s28, s19, 21
	s_cmp_gt_u32 s20, 0x7f800000
	s_movk_i32 s19, 0x7f
	v_add_f32_e64 v3, 0x46800000, |v4|
	s_cselect_b32 s38, s19, 0x7e
	s_movk_i32 s19, 0x7c
	v_add_f32_e64 v5, 0x43000000, |v4|
	v_add_nc_u32_e32 v2, 0x7fff, v2
	s_cselect_b32 s31, 0x7f, s19
	s_cmp_lg_u64 s[6:7], 0
	v_readfirstlane_b32 s39, v3
	s_cselect_b32 s19, -1, 0
	v_readfirstlane_b32 s34, v5
	v_lshrrev_b32_e32 v12, 16, v2
	v_cndmask_b32_e64 v11, 0, 1, s19
	v_cmpx_gt_i32_e64 s47, v8
	s_cbranch_execz .LBB31_110
; %bb.2:
	s_and_not1_b32 vcc_lo, exec_lo, s25
	s_cbranch_vccnz .LBB31_7
; %bb.3:
	v_mov_b32_e32 v2, 0
	s_and_not1_b32 vcc_lo, exec_lo, s49
	s_cbranch_vccnz .LBB31_12
; %bb.4:
	s_add_i32 s53, s48, 1
	s_cmp_eq_u32 s23, 2
	s_cbranch_scc1 .LBB31_8
; %bb.5:
	v_dual_mov_b32 v2, 0 :: v_dual_mov_b32 v3, v8
	s_and_b32 s50, s53, 28
	s_mov_b32 s54, 0
	s_mov_b64 s[18:19], s[0:1]
	s_mov_b64 s[20:21], s[12:13]
.LBB31_6:                               ; =>This Inner Loop Header: Depth=1
	s_clause 0x1
	s_load_b256 s[56:63], s[18:19], 0x4
	s_load_b128 s[64:67], s[18:19], 0x24
	s_load_b128 s[68:71], s[20:21], 0x0
	s_add_u32 s18, s18, 48
	s_addc_u32 s19, s19, 0
	s_add_i32 s54, s54, 4
	s_add_u32 s20, s20, 16
	s_addc_u32 s21, s21, 0
	s_cmp_lg_u32 s50, s54
	s_waitcnt lgkmcnt(0)
	v_mul_hi_u32 v5, s57, v3
	s_delay_alu instid0(VALU_DEP_1) | instskip(NEXT) | instid1(VALU_DEP_1)
	v_add_nc_u32_e32 v5, v3, v5
	v_lshrrev_b32_e32 v5, s58, v5
	s_delay_alu instid0(VALU_DEP_1) | instskip(SKIP_1) | instid1(VALU_DEP_2)
	v_mul_hi_u32 v6, s60, v5
	v_mul_lo_u32 v18, v5, s56
	v_add_nc_u32_e32 v6, v5, v6
	s_delay_alu instid0(VALU_DEP_2) | instskip(NEXT) | instid1(VALU_DEP_2)
	v_sub_nc_u32_e32 v18, v3, v18
	v_lshrrev_b32_e32 v6, s61, v6
	s_delay_alu instid0(VALU_DEP_2) | instskip(NEXT) | instid1(VALU_DEP_2)
	v_mul_lo_u32 v18, v18, s68
	v_mul_hi_u32 v7, s63, v6
	v_mul_lo_u32 v19, v6, s59
	s_delay_alu instid0(VALU_DEP_2) | instskip(NEXT) | instid1(VALU_DEP_2)
	v_add_nc_u32_e32 v7, v6, v7
	v_sub_nc_u32_e32 v5, v5, v19
	s_delay_alu instid0(VALU_DEP_2) | instskip(NEXT) | instid1(VALU_DEP_2)
	v_lshrrev_b32_e32 v7, s64, v7
	v_mul_lo_u32 v5, v5, s69
	s_delay_alu instid0(VALU_DEP_2) | instskip(NEXT) | instid1(VALU_DEP_2)
	v_mul_hi_u32 v17, s66, v7
	v_add3_u32 v2, v18, v2, v5
	s_delay_alu instid0(VALU_DEP_2) | instskip(NEXT) | instid1(VALU_DEP_1)
	v_add_nc_u32_e32 v17, v7, v17
	v_lshrrev_b32_e32 v3, s67, v17
	v_mul_lo_u32 v17, v7, s62
	s_delay_alu instid0(VALU_DEP_2) | instskip(NEXT) | instid1(VALU_DEP_2)
	v_mul_lo_u32 v20, v3, s65
	v_sub_nc_u32_e32 v6, v6, v17
	s_delay_alu instid0(VALU_DEP_2) | instskip(NEXT) | instid1(VALU_DEP_2)
	v_sub_nc_u32_e32 v7, v7, v20
	v_mul_lo_u32 v6, v6, s70
	s_delay_alu instid0(VALU_DEP_2) | instskip(NEXT) | instid1(VALU_DEP_1)
	v_mul_lo_u32 v7, v7, s71
	v_add3_u32 v2, v6, v2, v7
	s_cbranch_scc1 .LBB31_6
	s_branch .LBB31_9
.LBB31_7:
                                        ; implicit-def: $vgpr2
	s_and_not1_b32 vcc_lo, exec_lo, s18
	s_cbranch_vccz .LBB31_13
	s_branch .LBB31_15
.LBB31_8:
	v_mov_b32_e32 v3, v8
.LBB31_9:
	s_and_b32 s53, s53, 3
	s_delay_alu instid0(SALU_CYCLE_1)
	s_cmp_eq_u32 s53, 0
	s_cbranch_scc1 .LBB31_12
; %bb.10:
	s_lshl_b32 s18, s50, 2
	s_mul_i32 s20, s50, 12
	s_add_u32 s18, s18, s0
	s_addc_u32 s19, s1, 0
	s_add_u32 s18, s18, 0xc4
	s_addc_u32 s19, s19, 0
	;; [unrolled: 2-line block ×3, first 2 shown]
	.p2align	6
.LBB31_11:                              ; =>This Inner Loop Header: Depth=1
	s_clause 0x1
	s_load_b64 s[54:55], s[20:21], 0x4
	s_load_b32 s50, s[20:21], 0xc
	s_add_u32 s20, s20, 12
	s_addc_u32 s21, s21, 0
	s_waitcnt lgkmcnt(0)
	v_mul_hi_u32 v5, s55, v3
	s_load_b32 s55, s[18:19], 0x0
	s_add_u32 s18, s18, 4
	s_addc_u32 s19, s19, 0
	s_add_i32 s53, s53, -1
	s_delay_alu instid0(SALU_CYCLE_1) | instskip(NEXT) | instid1(VALU_DEP_1)
	s_cmp_lg_u32 s53, 0
	v_add_nc_u32_e32 v5, v3, v5
	s_delay_alu instid0(VALU_DEP_1) | instskip(NEXT) | instid1(VALU_DEP_1)
	v_lshrrev_b32_e32 v7, s50, v5
	v_mul_lo_u32 v5, v7, s54
	s_delay_alu instid0(VALU_DEP_1) | instskip(SKIP_1) | instid1(VALU_DEP_1)
	v_sub_nc_u32_e32 v3, v3, v5
	s_waitcnt lgkmcnt(0)
	v_mad_u64_u32 v[5:6], null, v3, s55, v[2:3]
	s_delay_alu instid0(VALU_DEP_1)
	v_dual_mov_b32 v3, v7 :: v_dual_mov_b32 v2, v5
	s_cbranch_scc1 .LBB31_11
.LBB31_12:
	s_cbranch_execnz .LBB31_15
.LBB31_13:
	s_waitcnt lgkmcnt(0)
	v_mul_hi_u32 v2, s9, v8
	s_and_not1_b32 vcc_lo, exec_lo, s45
	s_delay_alu instid0(VALU_DEP_1) | instskip(NEXT) | instid1(VALU_DEP_1)
	v_add_nc_u32_e32 v2, v8, v2
	v_lshrrev_b32_e32 v3, s10, v2
	s_delay_alu instid0(VALU_DEP_1) | instskip(NEXT) | instid1(VALU_DEP_1)
	v_mul_lo_u32 v2, v3, s8
	v_sub_nc_u32_e32 v2, v8, v2
	s_delay_alu instid0(VALU_DEP_1)
	v_mul_lo_u32 v2, v2, s14
	s_cbranch_vccnz .LBB31_15
; %bb.14:
	v_mul_hi_u32 v5, s16, v3
	s_delay_alu instid0(VALU_DEP_1) | instskip(NEXT) | instid1(VALU_DEP_1)
	v_add_nc_u32_e32 v5, v3, v5
	v_lshrrev_b32_e32 v5, s17, v5
	s_delay_alu instid0(VALU_DEP_1) | instskip(NEXT) | instid1(VALU_DEP_1)
	v_mul_lo_u32 v5, v5, s11
	v_sub_nc_u32_e32 v3, v3, v5
	s_delay_alu instid0(VALU_DEP_1) | instskip(NEXT) | instid1(VALU_DEP_1)
	v_mad_u64_u32 v[5:6], null, v3, s15, v[2:3]
	v_mov_b32_e32 v2, v5
.LBB31_15:
	v_and_b32_e64 v17, 0xff, s46
	s_delay_alu instid0(VALU_DEP_2) | instskip(NEXT) | instid1(VALU_DEP_1)
	v_add_co_u32 v6, s19, s4, v2
	v_add_co_ci_u32_e64 v7, null, s5, 0, s19
	s_delay_alu instid0(VALU_DEP_3)
	v_cmp_gt_i16_e32 vcc_lo, 11, v17
	s_mov_b32 s18, 0
	s_mov_b32 s20, -1
	s_mov_b32 s19, 0
	s_cbranch_vccnz .LBB31_69
; %bb.16:
	v_cmp_lt_i16_e32 vcc_lo, 25, v17
	s_cbranch_vccz .LBB31_44
; %bb.17:
	v_cmp_lt_i16_e32 vcc_lo, 28, v17
	s_cbranch_vccz .LBB31_30
	;; [unrolled: 3-line block ×4, first 2 shown]
; %bb.20:
	v_cmp_eq_u16_e32 vcc_lo, 46, v17
	s_mov_b32 s20, 0
	s_mov_b32 s18, -1
	s_cbranch_vccz .LBB31_22
; %bb.21:
	s_mov_b32 s19, -1
	s_mov_b32 s18, 0
	global_store_b32 v[6:7], v12, off
.LBB31_22:
	s_and_b32 vcc_lo, exec_lo, s20
	s_cbranch_vccz .LBB31_25
; %bb.23:
	v_cmp_eq_u16_e32 vcc_lo, 44, v17
	s_mov_b32 s18, -1
	s_cbranch_vccz .LBB31_25
; %bb.24:
	v_cndmask_b32_e64 v2, v16, 0xff, s2
	s_mov_b32 s19, -1
	s_mov_b32 s18, 0
	global_store_b8 v[6:7], v2, off
.LBB31_25:
	s_mov_b32 s20, 0
.LBB31_26:
	s_delay_alu instid0(SALU_CYCLE_1)
	s_and_b32 vcc_lo, exec_lo, s20
	s_cbranch_vccz .LBB31_29
; %bb.27:
	v_cmp_eq_u16_e32 vcc_lo, 29, v17
	s_mov_b32 s18, -1
	s_cbranch_vccz .LBB31_29
; %bb.28:
	v_dual_mov_b32 v2, s6 :: v_dual_mov_b32 v3, s7
	s_mov_b32 s19, -1
	s_mov_b32 s18, 0
	global_store_b64 v[6:7], v[2:3], off
.LBB31_29:
	s_mov_b32 s20, 0
.LBB31_30:
	s_delay_alu instid0(SALU_CYCLE_1)
	s_and_b32 vcc_lo, exec_lo, s20
	s_cbranch_vccz .LBB31_43
; %bb.31:
	v_cmp_gt_i16_e32 vcc_lo, 27, v17
	s_mov_b32 s19, -1
	s_cbranch_vccnz .LBB31_37
; %bb.32:
	v_cmp_lt_i16_e32 vcc_lo, 27, v17
	s_cbranch_vccz .LBB31_34
; %bb.33:
	v_mov_b32_e32 v2, s6
	s_mov_b32 s19, 0
	global_store_b32 v[6:7], v2, off
.LBB31_34:
	s_and_not1_b32 vcc_lo, exec_lo, s19
	s_cbranch_vccnz .LBB31_36
; %bb.35:
	v_mov_b32_e32 v2, s6
	global_store_b16 v[6:7], v2, off
.LBB31_36:
	s_mov_b32 s19, 0
.LBB31_37:
	s_delay_alu instid0(SALU_CYCLE_1)
	s_and_not1_b32 vcc_lo, exec_lo, s19
	s_cbranch_vccnz .LBB31_42
; %bb.38:
	v_mov_b32_e32 v2, 0x80
	s_and_not1_b32 vcc_lo, exec_lo, s43
	s_cbranch_vccnz .LBB31_41
; %bb.39:
	v_mov_b32_e32 v2, 0
	s_or_b32 s19, s41, s44
	s_delay_alu instid0(SALU_CYCLE_1)
	s_and_not1_b32 vcc_lo, exec_lo, s19
	s_cbranch_vccnz .LBB31_41
; %bb.40:
	v_cndmask_b32_e64 v2, v15, s42, s41
	s_delay_alu instid0(VALU_DEP_1)
	v_or_b32_e32 v2, v2, v13
.LBB31_41:
	global_store_b8 v[6:7], v2, off
.LBB31_42:
	s_mov_b32 s19, -1
.LBB31_43:
	s_mov_b32 s20, 0
.LBB31_44:
	s_delay_alu instid0(SALU_CYCLE_1)
	s_and_b32 vcc_lo, exec_lo, s20
	s_cbranch_vccz .LBB31_66
; %bb.45:
	v_cmp_lt_i16_e32 vcc_lo, 22, v17
	s_mov_b32 s20, -1
	s_cbranch_vccz .LBB31_58
; %bb.46:
	v_cmp_gt_i16_e32 vcc_lo, 24, v17
	s_mov_b32 s19, -1
	s_cbranch_vccnz .LBB31_55
; %bb.47:
	v_cmp_lt_i16_e32 vcc_lo, 24, v17
	s_cbranch_vccz .LBB31_52
; %bb.48:
	v_mov_b32_e32 v2, 0x80
	s_and_not1_b32 vcc_lo, exec_lo, s37
	s_cbranch_vccnz .LBB31_51
; %bb.49:
	v_mov_b32_e32 v2, 0
	s_or_b32 s19, s33, s40
	s_delay_alu instid0(SALU_CYCLE_1)
	s_and_not1_b32 vcc_lo, exec_lo, s19
	s_cbranch_vccnz .LBB31_51
; %bb.50:
	v_cndmask_b32_e64 v2, v14, s36, s33
	s_delay_alu instid0(VALU_DEP_1)
	v_or_b32_e32 v2, v2, v13
.LBB31_51:
	s_mov_b32 s19, 0
	global_store_b8 v[6:7], v2, off
.LBB31_52:
	s_and_b32 vcc_lo, exec_lo, s19
	s_cbranch_vccz .LBB31_54
; %bb.53:
	s_and_b32 s19, s30, exec_lo
	s_cselect_b32 s19, s39, s35
	s_and_b32 s20, s29, exec_lo
	s_cselect_b32 s19, s38, s19
	s_delay_alu instid0(SALU_CYCLE_1)
	v_or_b32_e32 v2, s19, v13
	global_store_b8 v[6:7], v2, off
.LBB31_54:
	s_mov_b32 s19, 0
.LBB31_55:
	s_delay_alu instid0(SALU_CYCLE_1)
	s_and_not1_b32 vcc_lo, exec_lo, s19
	s_cbranch_vccnz .LBB31_57
; %bb.56:
	s_and_b32 s19, s27, exec_lo
	s_cselect_b32 s19, s34, s28
	s_and_b32 s20, s26, exec_lo
	s_cselect_b32 s19, s31, s19
	s_delay_alu instid0(SALU_CYCLE_1)
	v_or_b32_e32 v2, s19, v13
	global_store_b8 v[6:7], v2, off
.LBB31_57:
	s_mov_b32 s20, 0
	s_mov_b32 s19, -1
.LBB31_58:
	s_and_not1_b32 vcc_lo, exec_lo, s20
	s_cbranch_vccnz .LBB31_66
; %bb.59:
	v_cmp_lt_i16_e32 vcc_lo, 14, v17
	s_mov_b32 s20, -1
	s_cbranch_vccz .LBB31_63
; %bb.60:
	v_cmp_eq_u16_e32 vcc_lo, 15, v17
	s_mov_b32 s18, -1
	s_cbranch_vccz .LBB31_62
; %bb.61:
	s_mov_b32 s19, -1
	s_mov_b32 s18, 0
	global_store_b16 v[6:7], v12, off
.LBB31_62:
	s_mov_b32 s20, 0
.LBB31_63:
	s_delay_alu instid0(SALU_CYCLE_1)
	s_and_b32 vcc_lo, exec_lo, s20
	s_cbranch_vccz .LBB31_66
; %bb.64:
	v_cmp_eq_u16_e32 vcc_lo, 11, v17
	s_mov_b32 s18, -1
	s_cbranch_vccz .LBB31_66
; %bb.65:
	s_mov_b32 s19, -1
	s_mov_b32 s18, 0
	global_store_b8 v[6:7], v11, off
.LBB31_66:
.LBB31_67:
	s_and_not1_b32 vcc_lo, exec_lo, s19
	s_cbranch_vccnz .LBB31_108
.LBB31_68:
	v_add_nc_u32_e32 v8, 0x80, v8
	s_mov_b32 s19, -1
	s_branch .LBB31_109
.LBB31_69:
	s_and_b32 vcc_lo, exec_lo, s20
	s_cbranch_vccz .LBB31_67
; %bb.70:
	v_cmp_gt_i16_e32 vcc_lo, 5, v17
	s_mov_b32 s19, -1
	s_cbranch_vccnz .LBB31_91
; %bb.71:
	v_cmp_gt_i16_e32 vcc_lo, 8, v17
	s_cbranch_vccnz .LBB31_81
; %bb.72:
	v_cmp_gt_i16_e32 vcc_lo, 9, v17
	s_cbranch_vccnz .LBB31_78
; %bb.73:
	v_cmp_lt_i16_e32 vcc_lo, 9, v17
	s_cbranch_vccz .LBB31_75
; %bb.74:
	v_mov_b32_e32 v2, 0
	s_mov_b32 s19, 0
	s_delay_alu instid0(VALU_DEP_1)
	v_mov_b32_e32 v3, v2
	global_store_b128 v[6:7], v[0:3], off
.LBB31_75:
	s_and_not1_b32 vcc_lo, exec_lo, s19
	s_cbranch_vccnz .LBB31_77
; %bb.76:
	v_mov_b32_e32 v5, 0
	global_store_b64 v[6:7], v[4:5], off
.LBB31_77:
	s_mov_b32 s19, 0
.LBB31_78:
	s_delay_alu instid0(SALU_CYCLE_1)
	s_and_not1_b32 vcc_lo, exec_lo, s19
	s_cbranch_vccnz .LBB31_80
; %bb.79:
	global_store_b32 v[6:7], v10, off
.LBB31_80:
	s_mov_b32 s19, 0
.LBB31_81:
	s_delay_alu instid0(SALU_CYCLE_1)
	s_and_not1_b32 vcc_lo, exec_lo, s19
	s_cbranch_vccnz .LBB31_90
; %bb.82:
	v_cmp_gt_i16_e32 vcc_lo, 6, v17
	s_mov_b32 s19, -1
	s_cbranch_vccnz .LBB31_88
; %bb.83:
	v_cmp_lt_i16_e32 vcc_lo, 6, v17
	s_cbranch_vccz .LBB31_85
; %bb.84:
	s_mov_b32 s19, 0
	global_store_b64 v[6:7], v[0:1], off
.LBB31_85:
	s_and_not1_b32 vcc_lo, exec_lo, s19
	s_cbranch_vccnz .LBB31_87
; %bb.86:
	global_store_b32 v[6:7], v4, off
.LBB31_87:
	s_mov_b32 s19, 0
.LBB31_88:
	s_delay_alu instid0(SALU_CYCLE_1)
	s_and_not1_b32 vcc_lo, exec_lo, s19
	s_cbranch_vccnz .LBB31_90
; %bb.89:
	global_store_b16 v[6:7], v9, off
.LBB31_90:
	s_mov_b32 s19, 0
.LBB31_91:
	s_delay_alu instid0(SALU_CYCLE_1)
	s_and_not1_b32 vcc_lo, exec_lo, s19
	s_cbranch_vccnz .LBB31_107
; %bb.92:
	v_cmp_gt_i16_e32 vcc_lo, 2, v17
	s_mov_b32 s19, -1
	s_cbranch_vccnz .LBB31_102
; %bb.93:
	v_cmp_gt_i16_e32 vcc_lo, 3, v17
	s_cbranch_vccnz .LBB31_99
; %bb.94:
	v_cmp_lt_i16_e32 vcc_lo, 3, v17
	s_cbranch_vccz .LBB31_96
; %bb.95:
	v_dual_mov_b32 v2, s6 :: v_dual_mov_b32 v3, s7
	s_mov_b32 s19, 0
	global_store_b64 v[6:7], v[2:3], off
.LBB31_96:
	s_and_not1_b32 vcc_lo, exec_lo, s19
	s_cbranch_vccnz .LBB31_98
; %bb.97:
	v_mov_b32_e32 v2, s6
	global_store_b32 v[6:7], v2, off
.LBB31_98:
	s_mov_b32 s19, 0
.LBB31_99:
	s_delay_alu instid0(SALU_CYCLE_1)
	s_and_not1_b32 vcc_lo, exec_lo, s19
	s_cbranch_vccnz .LBB31_101
; %bb.100:
	v_mov_b32_e32 v2, s6
	global_store_b16 v[6:7], v2, off
.LBB31_101:
	s_mov_b32 s19, 0
.LBB31_102:
	s_delay_alu instid0(SALU_CYCLE_1)
	s_and_not1_b32 vcc_lo, exec_lo, s19
	s_cbranch_vccnz .LBB31_107
; %bb.103:
	v_cmp_lt_i16_e32 vcc_lo, 0, v17
	s_mov_b32 s19, -1
	s_cbranch_vccz .LBB31_105
; %bb.104:
	v_mov_b32_e32 v2, s6
	s_mov_b32 s19, 0
	global_store_b8 v[6:7], v2, off
.LBB31_105:
	s_and_not1_b32 vcc_lo, exec_lo, s19
	s_cbranch_vccnz .LBB31_107
; %bb.106:
	v_mov_b32_e32 v2, s6
	global_store_b8 v[6:7], v2, off
.LBB31_107:
	s_branch .LBB31_68
.LBB31_108:
	s_mov_b32 s19, 0
                                        ; implicit-def: $vgpr8
.LBB31_109:
	s_and_b32 s50, s18, exec_lo
	s_or_not1_b32 s18, s19, exec_lo
.LBB31_110:
	s_or_b32 exec_lo, exec_lo, s51
	s_mov_b32 s19, 0
                                        ; implicit-def: $vgpr17
                                        ; implicit-def: $vgpr6_vgpr7
	s_and_saveexec_b32 s51, s18
	s_cbranch_execz .LBB31_117
; %bb.111:
	s_mov_b32 s20, -1
	s_mov_b32 s52, s50
	s_mov_b32 s53, exec_lo
	v_cmpx_gt_i32_e64 s47, v8
	s_cbranch_execz .LBB31_364
; %bb.112:
	s_and_not1_b32 vcc_lo, exec_lo, s25
	s_cbranch_vccnz .LBB31_219
; %bb.113:
	v_mov_b32_e32 v2, 0
	s_and_not1_b32 vcc_lo, exec_lo, s49
	s_cbranch_vccnz .LBB31_226
; %bb.114:
	s_add_i32 s54, s48, 1
	s_cmp_eq_u32 s23, 2
	s_mov_b32 s52, 0
	s_cbranch_scc1 .LBB31_222
; %bb.115:
	v_dual_mov_b32 v2, 0 :: v_dual_mov_b32 v3, v8
	s_and_b32 s52, s54, 28
	s_mov_b32 s55, 0
	s_mov_b64 s[18:19], s[0:1]
	s_mov_b64 s[20:21], s[12:13]
.LBB31_116:                             ; =>This Inner Loop Header: Depth=1
	s_clause 0x1
	s_load_b256 s[56:63], s[18:19], 0x4
	s_load_b128 s[64:67], s[18:19], 0x24
	s_load_b128 s[68:71], s[20:21], 0x0
	s_add_u32 s18, s18, 48
	s_addc_u32 s19, s19, 0
	s_add_i32 s55, s55, 4
	s_add_u32 s20, s20, 16
	s_addc_u32 s21, s21, 0
	s_cmp_eq_u32 s52, s55
	s_waitcnt lgkmcnt(0)
	v_mul_hi_u32 v5, s57, v3
	s_delay_alu instid0(VALU_DEP_1) | instskip(NEXT) | instid1(VALU_DEP_1)
	v_add_nc_u32_e32 v5, v3, v5
	v_lshrrev_b32_e32 v5, s58, v5
	s_delay_alu instid0(VALU_DEP_1) | instskip(SKIP_1) | instid1(VALU_DEP_2)
	v_mul_hi_u32 v6, s60, v5
	v_mul_lo_u32 v18, v5, s56
	v_add_nc_u32_e32 v6, v5, v6
	s_delay_alu instid0(VALU_DEP_2) | instskip(NEXT) | instid1(VALU_DEP_2)
	v_sub_nc_u32_e32 v18, v3, v18
	v_lshrrev_b32_e32 v6, s61, v6
	s_delay_alu instid0(VALU_DEP_2) | instskip(NEXT) | instid1(VALU_DEP_2)
	v_mul_lo_u32 v18, v18, s68
	v_mul_hi_u32 v7, s63, v6
	v_mul_lo_u32 v19, v6, s59
	s_delay_alu instid0(VALU_DEP_2) | instskip(NEXT) | instid1(VALU_DEP_2)
	v_add_nc_u32_e32 v7, v6, v7
	v_sub_nc_u32_e32 v5, v5, v19
	s_delay_alu instid0(VALU_DEP_2) | instskip(NEXT) | instid1(VALU_DEP_2)
	v_lshrrev_b32_e32 v7, s64, v7
	v_mul_lo_u32 v5, v5, s69
	s_delay_alu instid0(VALU_DEP_2) | instskip(NEXT) | instid1(VALU_DEP_2)
	v_mul_hi_u32 v17, s66, v7
	v_add3_u32 v2, v18, v2, v5
	s_delay_alu instid0(VALU_DEP_2) | instskip(NEXT) | instid1(VALU_DEP_1)
	v_add_nc_u32_e32 v17, v7, v17
	v_lshrrev_b32_e32 v3, s67, v17
	v_mul_lo_u32 v17, v7, s62
	s_delay_alu instid0(VALU_DEP_2) | instskip(NEXT) | instid1(VALU_DEP_2)
	v_mul_lo_u32 v20, v3, s65
	v_sub_nc_u32_e32 v6, v6, v17
	s_delay_alu instid0(VALU_DEP_2) | instskip(NEXT) | instid1(VALU_DEP_2)
	v_sub_nc_u32_e32 v7, v7, v20
	v_mul_lo_u32 v6, v6, s70
	s_delay_alu instid0(VALU_DEP_2) | instskip(NEXT) | instid1(VALU_DEP_1)
	v_mul_lo_u32 v7, v7, s71
	v_add3_u32 v2, v6, v2, v7
	s_cbranch_scc0 .LBB31_116
	s_branch .LBB31_223
.LBB31_117:
	s_or_b32 exec_lo, exec_lo, s51
	s_mov_b32 s2, 0
	s_and_saveexec_b32 s4, s50
	s_cbranch_execnz .LBB31_682
.LBB31_118:
	s_or_b32 exec_lo, exec_lo, s4
	s_and_saveexec_b32 s4, s52
	s_delay_alu instid0(SALU_CYCLE_1)
	s_xor_b32 s4, exec_lo, s4
	s_cbranch_execz .LBB31_120
.LBB31_119:
	global_store_b8 v[6:7], v11, off
.LBB31_120:
	s_or_b32 exec_lo, exec_lo, s4
	s_and_saveexec_b32 s4, s19
	s_delay_alu instid0(SALU_CYCLE_1)
	s_xor_b32 s4, exec_lo, s4
	s_cbranch_execz .LBB31_158
; %bb.121:
	v_cmp_gt_i16_e32 vcc_lo, 5, v17
	s_mov_b32 s5, -1
	s_cbranch_vccnz .LBB31_142
; %bb.122:
	v_cmp_gt_i16_e32 vcc_lo, 8, v17
	s_cbranch_vccnz .LBB31_132
; %bb.123:
	v_cmp_gt_i16_e32 vcc_lo, 9, v17
	s_cbranch_vccnz .LBB31_129
; %bb.124:
	v_cmp_lt_i16_e32 vcc_lo, 9, v17
	s_cbranch_vccz .LBB31_126
; %bb.125:
	v_mov_b32_e32 v2, 0
	s_mov_b32 s5, 0
	s_delay_alu instid0(VALU_DEP_1)
	v_mov_b32_e32 v3, v2
	global_store_b128 v[6:7], v[0:3], off
.LBB31_126:
	s_and_not1_b32 vcc_lo, exec_lo, s5
	s_cbranch_vccnz .LBB31_128
; %bb.127:
	v_mov_b32_e32 v5, 0
	global_store_b64 v[6:7], v[4:5], off
.LBB31_128:
	s_mov_b32 s5, 0
.LBB31_129:
	s_delay_alu instid0(SALU_CYCLE_1)
	s_and_not1_b32 vcc_lo, exec_lo, s5
	s_cbranch_vccnz .LBB31_131
; %bb.130:
	global_store_b32 v[6:7], v10, off
.LBB31_131:
	s_mov_b32 s5, 0
.LBB31_132:
	s_delay_alu instid0(SALU_CYCLE_1)
	s_and_not1_b32 vcc_lo, exec_lo, s5
	s_cbranch_vccnz .LBB31_141
; %bb.133:
	v_cmp_gt_i16_e32 vcc_lo, 6, v17
	s_mov_b32 s5, -1
	s_cbranch_vccnz .LBB31_139
; %bb.134:
	v_cmp_lt_i16_e32 vcc_lo, 6, v17
	s_cbranch_vccz .LBB31_136
; %bb.135:
	s_mov_b32 s5, 0
	global_store_b64 v[6:7], v[0:1], off
.LBB31_136:
	s_and_not1_b32 vcc_lo, exec_lo, s5
	s_cbranch_vccnz .LBB31_138
; %bb.137:
	global_store_b32 v[6:7], v4, off
.LBB31_138:
	s_mov_b32 s5, 0
.LBB31_139:
	s_delay_alu instid0(SALU_CYCLE_1)
	s_and_not1_b32 vcc_lo, exec_lo, s5
	s_cbranch_vccnz .LBB31_141
; %bb.140:
	global_store_b16 v[6:7], v9, off
.LBB31_141:
	s_mov_b32 s5, 0
.LBB31_142:
	s_delay_alu instid0(SALU_CYCLE_1)
	s_and_not1_b32 vcc_lo, exec_lo, s5
	s_cbranch_vccnz .LBB31_158
; %bb.143:
	v_cmp_gt_i16_e32 vcc_lo, 2, v17
	s_mov_b32 s5, -1
	s_cbranch_vccnz .LBB31_153
; %bb.144:
	v_cmp_gt_i16_e32 vcc_lo, 3, v17
	s_cbranch_vccnz .LBB31_150
; %bb.145:
	v_cmp_lt_i16_e32 vcc_lo, 3, v17
	s_cbranch_vccz .LBB31_147
; %bb.146:
	v_dual_mov_b32 v0, s6 :: v_dual_mov_b32 v1, s7
	s_mov_b32 s5, 0
	global_store_b64 v[6:7], v[0:1], off
.LBB31_147:
	s_and_not1_b32 vcc_lo, exec_lo, s5
	s_cbranch_vccnz .LBB31_149
; %bb.148:
	v_mov_b32_e32 v0, s6
	global_store_b32 v[6:7], v0, off
.LBB31_149:
	s_mov_b32 s5, 0
.LBB31_150:
	s_delay_alu instid0(SALU_CYCLE_1)
	s_and_not1_b32 vcc_lo, exec_lo, s5
	s_cbranch_vccnz .LBB31_152
; %bb.151:
	v_mov_b32_e32 v0, s6
	global_store_b16 v[6:7], v0, off
.LBB31_152:
	s_mov_b32 s5, 0
.LBB31_153:
	s_delay_alu instid0(SALU_CYCLE_1)
	s_and_not1_b32 vcc_lo, exec_lo, s5
	s_cbranch_vccnz .LBB31_158
; %bb.154:
	v_cmp_lt_i16_e32 vcc_lo, 0, v17
	s_mov_b32 s5, -1
	s_cbranch_vccz .LBB31_156
; %bb.155:
	v_mov_b32_e32 v0, s6
	s_mov_b32 s5, 0
	global_store_b8 v[6:7], v0, off
.LBB31_156:
	s_and_not1_b32 vcc_lo, exec_lo, s5
	s_cbranch_vccnz .LBB31_158
; %bb.157:
	v_mov_b32_e32 v0, s6
	global_store_b8 v[6:7], v0, off
.LBB31_158:
	s_or_b32 exec_lo, exec_lo, s4
	s_delay_alu instid0(SALU_CYCLE_1)
	s_and_b32 s6, s2, exec_lo
                                        ; implicit-def: $vgpr4
                                        ; implicit-def: $vgpr8
.LBB31_159:
	s_or_saveexec_b32 s7, s3
	s_waitcnt lgkmcnt(0)
	s_mov_b32 s9, 0
                                        ; implicit-def: $sgpr4
                                        ; implicit-def: $vgpr0_vgpr1
                                        ; implicit-def: $sgpr2_sgpr3
	s_xor_b32 exec_lo, exec_lo, s7
	s_cbranch_execz .LBB31_912
; %bb.160:
	v_cndmask_b32_e64 v0, 0, 1, s25
	s_and_not1_b32 vcc_lo, exec_lo, s25
	s_cbranch_vccnz .LBB31_166
; %bb.161:
	v_mov_b32_e32 v3, 0
	s_cmp_eq_u32 s22, 0
	s_mov_b32 s8, 0
	s_cbranch_scc1 .LBB31_170
; %bb.162:
	s_min_u32 s9, s23, 15
	v_mov_b32_e32 v3, 0
	s_add_i32 s9, s9, 1
	s_cmp_eq_u32 s23, 2
	s_mov_b32 s10, 0
	s_cbranch_scc1 .LBB31_167
; %bb.163:
	v_mov_b32_e32 v3, 0
	v_mov_b32_e32 v1, v8
	s_add_u32 s2, s0, 0xc4
	s_addc_u32 s3, s1, 0
	s_and_b32 s10, s9, 28
	s_mov_b32 s11, 0
	s_mov_b64 s[4:5], s[0:1]
.LBB31_164:                             ; =>This Inner Loop Header: Depth=1
	s_clause 0x1
	s_load_b256 s[12:19], s[4:5], 0x4
	s_load_b128 s[24:27], s[4:5], 0x24
	s_load_b128 s[28:31], s[2:3], 0x0
	s_add_u32 s4, s4, 48
	s_addc_u32 s5, s5, 0
	s_add_i32 s11, s11, 4
	s_add_u32 s2, s2, 16
	s_addc_u32 s3, s3, 0
	s_cmp_lg_u32 s10, s11
	s_waitcnt lgkmcnt(0)
	v_mul_hi_u32 v2, s13, v1
	s_delay_alu instid0(VALU_DEP_1) | instskip(NEXT) | instid1(VALU_DEP_1)
	v_add_nc_u32_e32 v2, v1, v2
	v_lshrrev_b32_e32 v2, s14, v2
	s_delay_alu instid0(VALU_DEP_1) | instskip(SKIP_1) | instid1(VALU_DEP_2)
	v_mul_hi_u32 v5, s16, v2
	v_mul_lo_u32 v9, v2, s12
	v_add_nc_u32_e32 v5, v2, v5
	s_delay_alu instid0(VALU_DEP_2) | instskip(NEXT) | instid1(VALU_DEP_2)
	v_sub_nc_u32_e32 v9, v1, v9
	v_lshrrev_b32_e32 v5, s17, v5
	s_delay_alu instid0(VALU_DEP_2) | instskip(NEXT) | instid1(VALU_DEP_2)
	v_mul_lo_u32 v9, v9, s28
	v_mul_hi_u32 v6, s19, v5
	v_mul_lo_u32 v10, v5, s15
	s_delay_alu instid0(VALU_DEP_2) | instskip(NEXT) | instid1(VALU_DEP_2)
	v_add_nc_u32_e32 v6, v5, v6
	v_sub_nc_u32_e32 v2, v2, v10
	s_delay_alu instid0(VALU_DEP_2) | instskip(NEXT) | instid1(VALU_DEP_2)
	v_lshrrev_b32_e32 v6, s24, v6
	v_mul_lo_u32 v2, v2, s29
	s_delay_alu instid0(VALU_DEP_2) | instskip(NEXT) | instid1(VALU_DEP_2)
	v_mul_hi_u32 v7, s26, v6
	v_add3_u32 v2, v9, v3, v2
	s_delay_alu instid0(VALU_DEP_2) | instskip(NEXT) | instid1(VALU_DEP_1)
	v_add_nc_u32_e32 v7, v6, v7
	v_lshrrev_b32_e32 v1, s27, v7
	v_mul_lo_u32 v7, v6, s18
	s_delay_alu instid0(VALU_DEP_2) | instskip(NEXT) | instid1(VALU_DEP_2)
	v_mul_lo_u32 v11, v1, s25
	v_sub_nc_u32_e32 v5, v5, v7
	s_delay_alu instid0(VALU_DEP_2) | instskip(NEXT) | instid1(VALU_DEP_2)
	v_sub_nc_u32_e32 v6, v6, v11
	v_mul_lo_u32 v5, v5, s30
	s_delay_alu instid0(VALU_DEP_2) | instskip(NEXT) | instid1(VALU_DEP_1)
	v_mul_lo_u32 v6, v6, s31
	v_add3_u32 v3, v5, v2, v6
	s_cbranch_scc1 .LBB31_164
; %bb.165:
	s_and_b32 s9, s9, 3
	s_delay_alu instid0(SALU_CYCLE_1)
	s_cmp_eq_u32 s9, 0
	s_cbranch_scc0 .LBB31_168
	s_branch .LBB31_170
.LBB31_166:
	s_mov_b32 s8, -1
                                        ; implicit-def: $vgpr3
	s_branch .LBB31_170
.LBB31_167:
	v_mov_b32_e32 v1, v8
	s_and_b32 s9, s9, 3
	s_delay_alu instid0(SALU_CYCLE_1)
	s_cmp_eq_u32 s9, 0
	s_cbranch_scc1 .LBB31_170
.LBB31_168:
	s_lshl_b32 s2, s10, 2
	s_mul_i32 s4, s10, 12
	s_add_u32 s2, s2, s0
	s_addc_u32 s3, 0, s1
	s_add_u32 s2, s2, 0xc4
	s_addc_u32 s3, s3, 0
	;; [unrolled: 2-line block ×3, first 2 shown]
	.p2align	6
.LBB31_169:                             ; =>This Inner Loop Header: Depth=1
	s_clause 0x1
	s_load_b64 s[10:11], s[4:5], 0x4
	s_load_b32 s12, s[4:5], 0xc
	s_add_u32 s4, s4, 12
	s_addc_u32 s5, s5, 0
	s_waitcnt lgkmcnt(0)
	v_mul_hi_u32 v2, s11, v1
	s_load_b32 s11, s[2:3], 0x0
	s_add_u32 s2, s2, 4
	s_addc_u32 s3, s3, 0
	s_add_i32 s9, s9, -1
	s_delay_alu instid0(SALU_CYCLE_1) | instskip(NEXT) | instid1(VALU_DEP_1)
	s_cmp_lg_u32 s9, 0
	v_add_nc_u32_e32 v2, v1, v2
	s_delay_alu instid0(VALU_DEP_1) | instskip(NEXT) | instid1(VALU_DEP_1)
	v_lshrrev_b32_e32 v2, s12, v2
	v_mul_lo_u32 v5, v2, s10
	s_delay_alu instid0(VALU_DEP_1) | instskip(SKIP_1) | instid1(VALU_DEP_1)
	v_sub_nc_u32_e32 v1, v1, v5
	s_waitcnt lgkmcnt(0)
	v_mad_u64_u32 v[5:6], null, v1, s11, v[3:4]
	v_mov_b32_e32 v1, v2
	s_delay_alu instid0(VALU_DEP_2)
	v_mov_b32_e32 v3, v5
	s_cbranch_scc1 .LBB31_169
.LBB31_170:
	s_and_not1_b32 vcc_lo, exec_lo, s8
	s_cbranch_vccnz .LBB31_173
; %bb.171:
	s_clause 0x1
	s_load_b128 s[8:11], s[0:1], 0x4
	s_load_b32 s2, s[0:1], 0xc4
	s_cmp_lt_u32 s22, 2
	s_waitcnt lgkmcnt(0)
	v_mul_hi_u32 v1, s9, v8
	s_delay_alu instid0(VALU_DEP_1) | instskip(NEXT) | instid1(VALU_DEP_1)
	v_add_nc_u32_e32 v1, v8, v1
	v_lshrrev_b32_e32 v1, s10, v1
	s_delay_alu instid0(VALU_DEP_1) | instskip(NEXT) | instid1(VALU_DEP_1)
	v_mul_lo_u32 v2, v1, s8
	v_sub_nc_u32_e32 v2, v8, v2
	s_delay_alu instid0(VALU_DEP_1)
	v_mul_lo_u32 v3, v2, s2
	s_cbranch_scc1 .LBB31_173
; %bb.172:
	s_clause 0x1
	s_load_b128 s[8:11], s[0:1], 0x10
	s_load_b32 s2, s[0:1], 0xc8
	s_waitcnt lgkmcnt(0)
	v_mul_hi_u32 v2, s9, v1
	s_delay_alu instid0(VALU_DEP_1) | instskip(NEXT) | instid1(VALU_DEP_1)
	v_add_nc_u32_e32 v2, v1, v2
	v_lshrrev_b32_e32 v2, s10, v2
	s_delay_alu instid0(VALU_DEP_1) | instskip(NEXT) | instid1(VALU_DEP_1)
	v_mul_lo_u32 v2, v2, s8
	v_sub_nc_u32_e32 v5, v1, v2
	s_delay_alu instid0(VALU_DEP_1) | instskip(NEXT) | instid1(VALU_DEP_1)
	v_mad_u64_u32 v[1:2], null, v5, s2, v[3:4]
	v_mov_b32_e32 v3, v1
.LBB31_173:
	v_cmp_ne_u32_e32 vcc_lo, 1, v0
	v_add_nc_u32_e32 v1, 0x80, v8
	s_cbranch_vccnz .LBB31_179
; %bb.174:
	v_mov_b32_e32 v2, 0
	s_cmp_eq_u32 s22, 0
	s_mov_b32 s8, 0
	s_cbranch_scc1 .LBB31_183
; %bb.175:
	s_min_u32 s9, s23, 15
	v_mov_b32_e32 v2, 0
	s_add_i32 s9, s9, 1
	s_cmp_eq_u32 s23, 2
	s_mov_b32 s10, 0
	s_cbranch_scc1 .LBB31_180
; %bb.176:
	v_dual_mov_b32 v2, 0 :: v_dual_mov_b32 v5, v1
	s_add_u32 s2, s0, 0xc4
	s_addc_u32 s3, s1, 0
	s_and_b32 s10, s9, 28
	s_mov_b32 s11, 0
	s_mov_b64 s[4:5], s[0:1]
.LBB31_177:                             ; =>This Inner Loop Header: Depth=1
	s_clause 0x1
	s_load_b256 s[12:19], s[4:5], 0x4
	s_load_b128 s[24:27], s[4:5], 0x24
	s_load_b128 s[28:31], s[2:3], 0x0
	s_add_u32 s4, s4, 48
	s_addc_u32 s5, s5, 0
	s_add_i32 s11, s11, 4
	s_add_u32 s2, s2, 16
	s_addc_u32 s3, s3, 0
	s_cmp_lg_u32 s10, s11
	s_waitcnt lgkmcnt(0)
	v_mul_hi_u32 v6, s13, v5
	s_delay_alu instid0(VALU_DEP_1) | instskip(NEXT) | instid1(VALU_DEP_1)
	v_add_nc_u32_e32 v6, v5, v6
	v_lshrrev_b32_e32 v6, s14, v6
	s_delay_alu instid0(VALU_DEP_1) | instskip(SKIP_1) | instid1(VALU_DEP_2)
	v_mul_hi_u32 v7, s16, v6
	v_mul_lo_u32 v11, v6, s12
	v_add_nc_u32_e32 v7, v6, v7
	s_delay_alu instid0(VALU_DEP_2) | instskip(NEXT) | instid1(VALU_DEP_2)
	v_sub_nc_u32_e32 v11, v5, v11
	v_lshrrev_b32_e32 v7, s17, v7
	s_delay_alu instid0(VALU_DEP_2) | instskip(NEXT) | instid1(VALU_DEP_2)
	v_mul_lo_u32 v11, v11, s28
	v_mul_hi_u32 v9, s19, v7
	v_mul_lo_u32 v12, v7, s15
	s_delay_alu instid0(VALU_DEP_2) | instskip(NEXT) | instid1(VALU_DEP_2)
	v_add_nc_u32_e32 v9, v7, v9
	v_sub_nc_u32_e32 v6, v6, v12
	s_delay_alu instid0(VALU_DEP_2) | instskip(NEXT) | instid1(VALU_DEP_2)
	v_lshrrev_b32_e32 v9, s24, v9
	v_mul_lo_u32 v6, v6, s29
	s_delay_alu instid0(VALU_DEP_2) | instskip(NEXT) | instid1(VALU_DEP_2)
	v_mul_hi_u32 v10, s26, v9
	v_add3_u32 v2, v11, v2, v6
	s_delay_alu instid0(VALU_DEP_2) | instskip(NEXT) | instid1(VALU_DEP_1)
	v_add_nc_u32_e32 v10, v9, v10
	v_lshrrev_b32_e32 v5, s27, v10
	v_mul_lo_u32 v10, v9, s18
	s_delay_alu instid0(VALU_DEP_2) | instskip(NEXT) | instid1(VALU_DEP_2)
	v_mul_lo_u32 v13, v5, s25
	v_sub_nc_u32_e32 v7, v7, v10
	s_delay_alu instid0(VALU_DEP_2) | instskip(NEXT) | instid1(VALU_DEP_2)
	v_sub_nc_u32_e32 v9, v9, v13
	v_mul_lo_u32 v7, v7, s30
	s_delay_alu instid0(VALU_DEP_2) | instskip(NEXT) | instid1(VALU_DEP_1)
	v_mul_lo_u32 v9, v9, s31
	v_add3_u32 v2, v7, v2, v9
	s_cbranch_scc1 .LBB31_177
; %bb.178:
	s_and_b32 s9, s9, 3
	s_delay_alu instid0(SALU_CYCLE_1)
	s_cmp_eq_u32 s9, 0
	s_cbranch_scc0 .LBB31_181
	s_branch .LBB31_183
.LBB31_179:
	s_mov_b32 s8, -1
                                        ; implicit-def: $vgpr2
	s_branch .LBB31_183
.LBB31_180:
	v_mov_b32_e32 v5, v1
	s_and_b32 s9, s9, 3
	s_delay_alu instid0(SALU_CYCLE_1)
	s_cmp_eq_u32 s9, 0
	s_cbranch_scc1 .LBB31_183
.LBB31_181:
	s_lshl_b32 s2, s10, 2
	s_mul_i32 s4, s10, 12
	s_add_u32 s2, s2, s0
	s_addc_u32 s3, 0, s1
	s_add_u32 s2, s2, 0xc4
	s_addc_u32 s3, s3, 0
	;; [unrolled: 2-line block ×3, first 2 shown]
	.p2align	6
.LBB31_182:                             ; =>This Inner Loop Header: Depth=1
	s_clause 0x1
	s_load_b64 s[10:11], s[4:5], 0x4
	s_load_b32 s12, s[4:5], 0xc
	s_add_u32 s4, s4, 12
	s_addc_u32 s5, s5, 0
	s_waitcnt lgkmcnt(0)
	v_mul_hi_u32 v6, s11, v5
	s_load_b32 s11, s[2:3], 0x0
	s_add_u32 s2, s2, 4
	s_addc_u32 s3, s3, 0
	s_add_i32 s9, s9, -1
	s_delay_alu instid0(SALU_CYCLE_1) | instskip(NEXT) | instid1(VALU_DEP_1)
	s_cmp_lg_u32 s9, 0
	v_add_nc_u32_e32 v6, v5, v6
	s_delay_alu instid0(VALU_DEP_1) | instskip(NEXT) | instid1(VALU_DEP_1)
	v_lshrrev_b32_e32 v9, s12, v6
	v_mul_lo_u32 v6, v9, s10
	s_delay_alu instid0(VALU_DEP_1) | instskip(SKIP_1) | instid1(VALU_DEP_1)
	v_sub_nc_u32_e32 v5, v5, v6
	s_waitcnt lgkmcnt(0)
	v_mad_u64_u32 v[6:7], null, v5, s11, v[2:3]
	s_delay_alu instid0(VALU_DEP_1)
	v_dual_mov_b32 v5, v9 :: v_dual_mov_b32 v2, v6
	s_cbranch_scc1 .LBB31_182
.LBB31_183:
	s_and_not1_b32 vcc_lo, exec_lo, s8
	s_cbranch_vccnz .LBB31_186
; %bb.184:
	s_clause 0x1
	s_load_b128 s[8:11], s[0:1], 0x4
	s_load_b32 s2, s[0:1], 0xc4
	s_cmp_lt_u32 s22, 2
	s_waitcnt lgkmcnt(0)
	v_mul_hi_u32 v2, s9, v1
	s_delay_alu instid0(VALU_DEP_1) | instskip(NEXT) | instid1(VALU_DEP_1)
	v_add_nc_u32_e32 v2, v1, v2
	v_lshrrev_b32_e32 v5, s10, v2
	s_delay_alu instid0(VALU_DEP_1) | instskip(NEXT) | instid1(VALU_DEP_1)
	v_mul_lo_u32 v2, v5, s8
	v_sub_nc_u32_e32 v1, v1, v2
	s_delay_alu instid0(VALU_DEP_1)
	v_mul_lo_u32 v2, v1, s2
	s_cbranch_scc1 .LBB31_186
; %bb.185:
	s_clause 0x1
	s_load_b128 s[8:11], s[0:1], 0x10
	s_load_b32 s2, s[0:1], 0xc8
	s_waitcnt lgkmcnt(0)
	v_mul_hi_u32 v1, s9, v5
	s_delay_alu instid0(VALU_DEP_1) | instskip(NEXT) | instid1(VALU_DEP_1)
	v_add_nc_u32_e32 v1, v5, v1
	v_lshrrev_b32_e32 v1, s10, v1
	s_delay_alu instid0(VALU_DEP_1) | instskip(NEXT) | instid1(VALU_DEP_1)
	v_mul_lo_u32 v1, v1, s8
	v_sub_nc_u32_e32 v1, v5, v1
	s_delay_alu instid0(VALU_DEP_1) | instskip(NEXT) | instid1(VALU_DEP_1)
	v_mad_u64_u32 v[5:6], null, v1, s2, v[2:3]
	v_mov_b32_e32 v2, v5
.LBB31_186:
	v_cmp_ne_u32_e32 vcc_lo, 1, v0
	v_add_nc_u32_e32 v5, 0x100, v8
	s_cbranch_vccnz .LBB31_192
; %bb.187:
	v_mov_b32_e32 v1, 0
	s_cmp_eq_u32 s22, 0
	s_mov_b32 s8, 0
	s_cbranch_scc1 .LBB31_196
; %bb.188:
	s_min_u32 s9, s23, 15
	v_mov_b32_e32 v1, 0
	s_add_i32 s9, s9, 1
	s_cmp_eq_u32 s23, 2
	s_mov_b32 s10, 0
	s_cbranch_scc1 .LBB31_193
; %bb.189:
	v_dual_mov_b32 v1, 0 :: v_dual_mov_b32 v6, v5
	s_add_u32 s2, s0, 0xc4
	s_addc_u32 s3, s1, 0
	s_and_b32 s10, s9, 28
	s_mov_b32 s11, 0
	s_mov_b64 s[4:5], s[0:1]
.LBB31_190:                             ; =>This Inner Loop Header: Depth=1
	s_clause 0x1
	s_load_b256 s[12:19], s[4:5], 0x4
	s_load_b128 s[24:27], s[4:5], 0x24
	s_load_b128 s[28:31], s[2:3], 0x0
	s_add_u32 s4, s4, 48
	s_addc_u32 s5, s5, 0
	s_add_i32 s11, s11, 4
	s_add_u32 s2, s2, 16
	s_addc_u32 s3, s3, 0
	s_cmp_lg_u32 s10, s11
	s_waitcnt lgkmcnt(0)
	v_mul_hi_u32 v7, s13, v6
	s_delay_alu instid0(VALU_DEP_1) | instskip(NEXT) | instid1(VALU_DEP_1)
	v_add_nc_u32_e32 v7, v6, v7
	v_lshrrev_b32_e32 v7, s14, v7
	s_delay_alu instid0(VALU_DEP_1) | instskip(SKIP_1) | instid1(VALU_DEP_2)
	v_mul_hi_u32 v8, s16, v7
	v_mul_lo_u32 v11, v7, s12
	v_add_nc_u32_e32 v8, v7, v8
	s_delay_alu instid0(VALU_DEP_2) | instskip(NEXT) | instid1(VALU_DEP_2)
	v_sub_nc_u32_e32 v11, v6, v11
	v_lshrrev_b32_e32 v8, s17, v8
	s_delay_alu instid0(VALU_DEP_2) | instskip(NEXT) | instid1(VALU_DEP_2)
	v_mul_lo_u32 v11, v11, s28
	v_mul_hi_u32 v9, s19, v8
	v_mul_lo_u32 v12, v8, s15
	s_delay_alu instid0(VALU_DEP_2) | instskip(NEXT) | instid1(VALU_DEP_2)
	v_add_nc_u32_e32 v9, v8, v9
	v_sub_nc_u32_e32 v7, v7, v12
	s_delay_alu instid0(VALU_DEP_2) | instskip(NEXT) | instid1(VALU_DEP_2)
	v_lshrrev_b32_e32 v9, s24, v9
	v_mul_lo_u32 v7, v7, s29
	s_delay_alu instid0(VALU_DEP_2) | instskip(NEXT) | instid1(VALU_DEP_2)
	v_mul_hi_u32 v10, s26, v9
	v_add3_u32 v1, v11, v1, v7
	s_delay_alu instid0(VALU_DEP_2) | instskip(NEXT) | instid1(VALU_DEP_1)
	v_add_nc_u32_e32 v10, v9, v10
	v_lshrrev_b32_e32 v6, s27, v10
	v_mul_lo_u32 v10, v9, s18
	s_delay_alu instid0(VALU_DEP_2) | instskip(NEXT) | instid1(VALU_DEP_2)
	v_mul_lo_u32 v13, v6, s25
	v_sub_nc_u32_e32 v8, v8, v10
	s_delay_alu instid0(VALU_DEP_2) | instskip(NEXT) | instid1(VALU_DEP_2)
	v_sub_nc_u32_e32 v9, v9, v13
	v_mul_lo_u32 v8, v8, s30
	s_delay_alu instid0(VALU_DEP_2) | instskip(NEXT) | instid1(VALU_DEP_1)
	v_mul_lo_u32 v9, v9, s31
	v_add3_u32 v1, v8, v1, v9
	s_cbranch_scc1 .LBB31_190
; %bb.191:
	s_and_b32 s9, s9, 3
	s_delay_alu instid0(SALU_CYCLE_1)
	s_cmp_eq_u32 s9, 0
	s_cbranch_scc0 .LBB31_194
	s_branch .LBB31_196
.LBB31_192:
	s_mov_b32 s8, -1
                                        ; implicit-def: $vgpr1
	s_branch .LBB31_196
.LBB31_193:
	v_mov_b32_e32 v6, v5
	s_and_b32 s9, s9, 3
	s_delay_alu instid0(SALU_CYCLE_1)
	s_cmp_eq_u32 s9, 0
	s_cbranch_scc1 .LBB31_196
.LBB31_194:
	s_lshl_b32 s2, s10, 2
	s_mul_i32 s4, s10, 12
	s_add_u32 s2, s2, s0
	s_addc_u32 s3, 0, s1
	s_add_u32 s2, s2, 0xc4
	s_addc_u32 s3, s3, 0
	;; [unrolled: 2-line block ×3, first 2 shown]
	.p2align	6
.LBB31_195:                             ; =>This Inner Loop Header: Depth=1
	s_clause 0x1
	s_load_b64 s[10:11], s[4:5], 0x4
	s_load_b32 s12, s[4:5], 0xc
	s_add_u32 s4, s4, 12
	s_addc_u32 s5, s5, 0
	s_waitcnt lgkmcnt(0)
	v_mul_hi_u32 v7, s11, v6
	s_load_b32 s11, s[2:3], 0x0
	s_add_u32 s2, s2, 4
	s_addc_u32 s3, s3, 0
	s_add_i32 s9, s9, -1
	s_delay_alu instid0(SALU_CYCLE_1) | instskip(NEXT) | instid1(VALU_DEP_1)
	s_cmp_lg_u32 s9, 0
	v_add_nc_u32_e32 v7, v6, v7
	s_delay_alu instid0(VALU_DEP_1) | instskip(NEXT) | instid1(VALU_DEP_1)
	v_lshrrev_b32_e32 v9, s12, v7
	v_mul_lo_u32 v7, v9, s10
	s_delay_alu instid0(VALU_DEP_1) | instskip(SKIP_1) | instid1(VALU_DEP_1)
	v_sub_nc_u32_e32 v6, v6, v7
	s_waitcnt lgkmcnt(0)
	v_mad_u64_u32 v[7:8], null, v6, s11, v[1:2]
	s_delay_alu instid0(VALU_DEP_1)
	v_dual_mov_b32 v6, v9 :: v_dual_mov_b32 v1, v7
	s_cbranch_scc1 .LBB31_195
.LBB31_196:
	s_and_not1_b32 vcc_lo, exec_lo, s8
	s_cbranch_vccnz .LBB31_199
; %bb.197:
	s_clause 0x1
	s_load_b128 s[8:11], s[0:1], 0x4
	s_load_b32 s2, s[0:1], 0xc4
	s_cmp_lt_u32 s22, 2
	s_waitcnt lgkmcnt(0)
	v_mul_hi_u32 v1, s9, v5
	s_delay_alu instid0(VALU_DEP_1) | instskip(NEXT) | instid1(VALU_DEP_1)
	v_add_nc_u32_e32 v1, v5, v1
	v_lshrrev_b32_e32 v6, s10, v1
	s_delay_alu instid0(VALU_DEP_1) | instskip(NEXT) | instid1(VALU_DEP_1)
	v_mul_lo_u32 v1, v6, s8
	v_sub_nc_u32_e32 v1, v5, v1
	s_delay_alu instid0(VALU_DEP_1)
	v_mul_lo_u32 v1, v1, s2
	s_cbranch_scc1 .LBB31_199
; %bb.198:
	s_clause 0x1
	s_load_b128 s[8:11], s[0:1], 0x10
	s_load_b32 s2, s[0:1], 0xc8
	s_waitcnt lgkmcnt(0)
	v_mul_hi_u32 v5, s9, v6
	s_delay_alu instid0(VALU_DEP_1) | instskip(NEXT) | instid1(VALU_DEP_1)
	v_add_nc_u32_e32 v5, v6, v5
	v_lshrrev_b32_e32 v5, s10, v5
	s_delay_alu instid0(VALU_DEP_1) | instskip(NEXT) | instid1(VALU_DEP_1)
	v_mul_lo_u32 v5, v5, s8
	v_sub_nc_u32_e32 v7, v6, v5
	s_delay_alu instid0(VALU_DEP_1) | instskip(NEXT) | instid1(VALU_DEP_1)
	v_mad_u64_u32 v[5:6], null, v7, s2, v[1:2]
	v_mov_b32_e32 v1, v5
.LBB31_199:
	v_cmp_ne_u32_e32 vcc_lo, 1, v0
	s_cbranch_vccnz .LBB31_205
; %bb.200:
	v_mov_b32_e32 v0, 0
	s_cmp_eq_u32 s22, 0
	s_mov_b32 s8, 0
	s_cbranch_scc1 .LBB31_209
; %bb.201:
	s_min_u32 s9, s23, 15
	v_mov_b32_e32 v0, 0
	s_add_i32 s9, s9, 1
	s_cmp_eq_u32 s23, 2
	s_mov_b32 s10, 0
	s_cbranch_scc1 .LBB31_206
; %bb.202:
	v_dual_mov_b32 v0, 0 :: v_dual_mov_b32 v5, v4
	s_add_u32 s2, s0, 0xc4
	s_addc_u32 s3, s1, 0
	s_and_b32 s10, s9, 28
	s_mov_b32 s11, 0
	s_mov_b64 s[4:5], s[0:1]
.LBB31_203:                             ; =>This Inner Loop Header: Depth=1
	s_clause 0x1
	s_load_b256 s[12:19], s[4:5], 0x4
	s_load_b128 s[24:27], s[4:5], 0x24
	s_load_b128 s[28:31], s[2:3], 0x0
	s_add_u32 s4, s4, 48
	s_addc_u32 s5, s5, 0
	s_add_i32 s11, s11, 4
	s_add_u32 s2, s2, 16
	s_addc_u32 s3, s3, 0
	s_cmp_lg_u32 s10, s11
	s_waitcnt lgkmcnt(0)
	v_mul_hi_u32 v6, s13, v5
	s_delay_alu instid0(VALU_DEP_1) | instskip(NEXT) | instid1(VALU_DEP_1)
	v_add_nc_u32_e32 v6, v5, v6
	v_lshrrev_b32_e32 v6, s14, v6
	s_delay_alu instid0(VALU_DEP_1) | instskip(SKIP_1) | instid1(VALU_DEP_2)
	v_mul_hi_u32 v7, s16, v6
	v_mul_lo_u32 v10, v6, s12
	v_add_nc_u32_e32 v7, v6, v7
	s_delay_alu instid0(VALU_DEP_2) | instskip(NEXT) | instid1(VALU_DEP_2)
	v_sub_nc_u32_e32 v10, v5, v10
	v_lshrrev_b32_e32 v7, s17, v7
	s_delay_alu instid0(VALU_DEP_2) | instskip(NEXT) | instid1(VALU_DEP_2)
	v_mul_lo_u32 v10, v10, s28
	v_mul_hi_u32 v8, s19, v7
	v_mul_lo_u32 v11, v7, s15
	s_delay_alu instid0(VALU_DEP_2) | instskip(NEXT) | instid1(VALU_DEP_2)
	v_add_nc_u32_e32 v8, v7, v8
	v_sub_nc_u32_e32 v6, v6, v11
	s_delay_alu instid0(VALU_DEP_2) | instskip(NEXT) | instid1(VALU_DEP_2)
	v_lshrrev_b32_e32 v8, s24, v8
	v_mul_lo_u32 v6, v6, s29
	s_delay_alu instid0(VALU_DEP_2) | instskip(NEXT) | instid1(VALU_DEP_2)
	v_mul_hi_u32 v9, s26, v8
	v_add3_u32 v0, v10, v0, v6
	s_delay_alu instid0(VALU_DEP_2) | instskip(NEXT) | instid1(VALU_DEP_1)
	v_add_nc_u32_e32 v9, v8, v9
	v_lshrrev_b32_e32 v5, s27, v9
	v_mul_lo_u32 v9, v8, s18
	s_delay_alu instid0(VALU_DEP_2) | instskip(NEXT) | instid1(VALU_DEP_2)
	v_mul_lo_u32 v12, v5, s25
	v_sub_nc_u32_e32 v7, v7, v9
	s_delay_alu instid0(VALU_DEP_2) | instskip(NEXT) | instid1(VALU_DEP_2)
	v_sub_nc_u32_e32 v8, v8, v12
	v_mul_lo_u32 v7, v7, s30
	s_delay_alu instid0(VALU_DEP_2) | instskip(NEXT) | instid1(VALU_DEP_1)
	v_mul_lo_u32 v8, v8, s31
	v_add3_u32 v0, v7, v0, v8
	s_cbranch_scc1 .LBB31_203
; %bb.204:
	s_and_b32 s9, s9, 3
	s_delay_alu instid0(SALU_CYCLE_1)
	s_cmp_eq_u32 s9, 0
	s_cbranch_scc0 .LBB31_207
	s_branch .LBB31_209
.LBB31_205:
	s_mov_b32 s8, -1
                                        ; implicit-def: $vgpr0
	s_branch .LBB31_209
.LBB31_206:
	v_mov_b32_e32 v5, v4
	s_and_b32 s9, s9, 3
	s_delay_alu instid0(SALU_CYCLE_1)
	s_cmp_eq_u32 s9, 0
	s_cbranch_scc1 .LBB31_209
.LBB31_207:
	s_lshl_b32 s2, s10, 2
	s_mul_i32 s4, s10, 12
	s_add_u32 s2, s2, s0
	s_addc_u32 s3, 0, s1
	s_add_u32 s2, s2, 0xc4
	s_addc_u32 s3, s3, 0
	;; [unrolled: 2-line block ×3, first 2 shown]
	.p2align	6
.LBB31_208:                             ; =>This Inner Loop Header: Depth=1
	s_clause 0x1
	s_load_b64 s[10:11], s[4:5], 0x4
	s_load_b32 s12, s[4:5], 0xc
	s_add_u32 s4, s4, 12
	s_addc_u32 s5, s5, 0
	s_waitcnt lgkmcnt(0)
	v_mul_hi_u32 v6, s11, v5
	s_load_b32 s11, s[2:3], 0x0
	s_add_u32 s2, s2, 4
	s_addc_u32 s3, s3, 0
	s_add_i32 s9, s9, -1
	s_delay_alu instid0(SALU_CYCLE_1) | instskip(NEXT) | instid1(VALU_DEP_1)
	s_cmp_lg_u32 s9, 0
	v_add_nc_u32_e32 v6, v5, v6
	s_delay_alu instid0(VALU_DEP_1) | instskip(NEXT) | instid1(VALU_DEP_1)
	v_lshrrev_b32_e32 v8, s12, v6
	v_mul_lo_u32 v6, v8, s10
	s_delay_alu instid0(VALU_DEP_1) | instskip(SKIP_1) | instid1(VALU_DEP_1)
	v_sub_nc_u32_e32 v5, v5, v6
	s_waitcnt lgkmcnt(0)
	v_mad_u64_u32 v[6:7], null, v5, s11, v[0:1]
	s_delay_alu instid0(VALU_DEP_1)
	v_dual_mov_b32 v5, v8 :: v_dual_mov_b32 v0, v6
	s_cbranch_scc1 .LBB31_208
.LBB31_209:
	s_and_not1_b32 vcc_lo, exec_lo, s8
	s_cbranch_vccnz .LBB31_212
; %bb.210:
	s_clause 0x1
	s_load_b128 s[8:11], s[0:1], 0x4
	s_load_b32 s2, s[0:1], 0xc4
	s_cmp_lt_u32 s22, 2
	s_waitcnt lgkmcnt(0)
	v_mul_hi_u32 v0, s9, v4
	s_delay_alu instid0(VALU_DEP_1) | instskip(NEXT) | instid1(VALU_DEP_1)
	v_add_nc_u32_e32 v0, v4, v0
	v_lshrrev_b32_e32 v5, s10, v0
	s_delay_alu instid0(VALU_DEP_1) | instskip(NEXT) | instid1(VALU_DEP_1)
	v_mul_lo_u32 v0, v5, s8
	v_sub_nc_u32_e32 v0, v4, v0
	s_delay_alu instid0(VALU_DEP_1)
	v_mul_lo_u32 v0, v0, s2
	s_cbranch_scc1 .LBB31_212
; %bb.211:
	s_clause 0x1
	s_load_b128 s[8:11], s[0:1], 0x10
	s_load_b32 s2, s[0:1], 0xc8
	s_waitcnt lgkmcnt(0)
	v_mul_hi_u32 v4, s9, v5
	s_delay_alu instid0(VALU_DEP_1) | instskip(NEXT) | instid1(VALU_DEP_1)
	v_add_nc_u32_e32 v4, v5, v4
	v_lshrrev_b32_e32 v4, s10, v4
	s_delay_alu instid0(VALU_DEP_1) | instskip(NEXT) | instid1(VALU_DEP_1)
	v_mul_lo_u32 v4, v4, s8
	v_sub_nc_u32_e32 v6, v5, v4
	s_delay_alu instid0(VALU_DEP_1) | instskip(NEXT) | instid1(VALU_DEP_1)
	v_mad_u64_u32 v[4:5], null, v6, s2, v[0:1]
	v_mov_b32_e32 v0, v4
.LBB31_212:
	s_clause 0x1
	s_load_b32 s4, s[0:1], 0x118
	s_load_b128 s[0:3], s[0:1], 0x108
	s_mov_b32 s9, 0
	s_waitcnt lgkmcnt(0)
	s_and_b32 s4, s4, 0xff
	v_add_co_u32 v3, s8, s0, v3
	v_cmp_lt_i16_e64 s5, s4, 11
	v_add_co_ci_u32_e64 v4, null, s1, 0, s8
	s_mov_b32 s8, -1
	s_delay_alu instid0(VALU_DEP_2)
	s_and_b32 vcc_lo, exec_lo, s5
	s_mov_b32 s5, s6
	s_cbranch_vccnz .LBB31_473
; %bb.213:
	v_cmp_gt_i16_e64 s5, s4, 25
	s_mov_b32 s10, -1
	s_mov_b32 s8, 0
	s_delay_alu instid0(VALU_DEP_1)
	s_and_b32 vcc_lo, exec_lo, s5
	s_mov_b32 s5, 0
	s_cbranch_vccz .LBB31_308
; %bb.214:
	v_cmp_gt_i16_e64 s5, s4, 28
	s_delay_alu instid0(VALU_DEP_1)
	s_and_b32 vcc_lo, exec_lo, s5
	s_cbranch_vccz .LBB31_220
; %bb.215:
	v_cmp_gt_i16_e64 s5, s4, 43
	s_delay_alu instid0(VALU_DEP_1)
	s_and_b32 vcc_lo, exec_lo, s5
	;; [unrolled: 5-line block ×3, first 2 shown]
	s_cbranch_vccz .LBB31_278
; %bb.217:
	v_cmp_eq_u16_e64 s9, s4, 46
	s_mov_b32 s5, -1
	s_mov_b32 s10, 0
	s_delay_alu instid0(VALU_DEP_1)
	s_and_b32 vcc_lo, exec_lo, s9
	s_mov_b32 s9, 0
	s_cbranch_vccz .LBB31_279
; %bb.218:
	s_xor_b32 s5, s2, s3
	s_cls_i32 s9, s3
	s_ashr_i32 s5, s5, 31
	s_add_i32 s9, s9, -1
	s_add_i32 s5, s5, 32
	s_delay_alu instid0(SALU_CYCLE_1) | instskip(NEXT) | instid1(SALU_CYCLE_1)
	s_min_u32 s5, s9, s5
	s_lshl_b64 s[12:13], s[2:3], s5
	s_sub_i32 s5, 32, s5
	s_min_u32 s9, s12, 1
	s_delay_alu instid0(SALU_CYCLE_1) | instskip(NEXT) | instid1(SALU_CYCLE_1)
	s_or_b32 s9, s13, s9
	v_cvt_f32_i32_e32 v5, s9
	s_mov_b32 s9, -1
	s_delay_alu instid0(VALU_DEP_1) | instskip(SKIP_1) | instid1(VALU_DEP_1)
	v_ldexp_f32 v5, v5, s5
	s_mov_b32 s5, 0
	v_bfe_u32 v6, v5, 16, 1
	s_delay_alu instid0(VALU_DEP_1) | instskip(NEXT) | instid1(VALU_DEP_1)
	v_add_nc_u32_e32 v5, v5, v6
	v_add_nc_u32_e32 v5, 0x7fff, v5
	s_delay_alu instid0(VALU_DEP_1)
	v_lshrrev_b32_e32 v5, 16, v5
	global_store_b32 v[3:4], v5, off
	s_branch .LBB31_279
.LBB31_219:
                                        ; implicit-def: $vgpr2
	s_branch .LBB31_227
.LBB31_220:
	s_mov_b32 s5, 0
	s_branch .LBB31_288
.LBB31_221:
	s_mov_b32 s5, 0
	s_and_b32 vcc_lo, exec_lo, s10
	s_cbranch_vccnz .LBB31_285
	s_branch .LBB31_287
.LBB31_222:
	v_mov_b32_e32 v3, v8
.LBB31_223:
	s_and_b32 s54, s54, 3
	s_delay_alu instid0(SALU_CYCLE_1)
	s_cmp_eq_u32 s54, 0
	s_cbranch_scc1 .LBB31_226
; %bb.224:
	s_lshl_b32 s18, s52, 2
	s_mul_i32 s20, s52, 12
	s_add_u32 s18, s18, s0
	s_addc_u32 s19, s1, 0
	s_add_u32 s18, s18, 0xc4
	s_addc_u32 s19, s19, 0
	;; [unrolled: 2-line block ×3, first 2 shown]
	.p2align	6
.LBB31_225:                             ; =>This Inner Loop Header: Depth=1
	s_clause 0x1
	s_load_b64 s[56:57], s[20:21], 0x4
	s_load_b32 s52, s[20:21], 0xc
	s_load_b32 s55, s[18:19], 0x0
	s_add_u32 s20, s20, 12
	s_addc_u32 s21, s21, 0
	s_add_u32 s18, s18, 4
	s_addc_u32 s19, s19, 0
	s_add_i32 s54, s54, -1
	s_delay_alu instid0(SALU_CYCLE_1) | instskip(SKIP_2) | instid1(VALU_DEP_1)
	s_cmp_lg_u32 s54, 0
	s_waitcnt lgkmcnt(0)
	v_mul_hi_u32 v5, s57, v3
	v_add_nc_u32_e32 v5, v3, v5
	s_delay_alu instid0(VALU_DEP_1) | instskip(NEXT) | instid1(VALU_DEP_1)
	v_lshrrev_b32_e32 v7, s52, v5
	v_mul_lo_u32 v5, v7, s56
	s_delay_alu instid0(VALU_DEP_1) | instskip(NEXT) | instid1(VALU_DEP_1)
	v_sub_nc_u32_e32 v3, v3, v5
	v_mad_u64_u32 v[5:6], null, v3, s55, v[2:3]
	s_delay_alu instid0(VALU_DEP_1)
	v_dual_mov_b32 v3, v7 :: v_dual_mov_b32 v2, v5
	s_cbranch_scc1 .LBB31_225
.LBB31_226:
	s_cbranch_execnz .LBB31_229
.LBB31_227:
	s_waitcnt lgkmcnt(0)
	v_mul_hi_u32 v2, s9, v8
	s_and_not1_b32 vcc_lo, exec_lo, s45
	s_delay_alu instid0(VALU_DEP_1) | instskip(NEXT) | instid1(VALU_DEP_1)
	v_add_nc_u32_e32 v2, v8, v2
	v_lshrrev_b32_e32 v3, s10, v2
	s_delay_alu instid0(VALU_DEP_1) | instskip(NEXT) | instid1(VALU_DEP_1)
	v_mul_lo_u32 v2, v3, s8
	v_sub_nc_u32_e32 v2, v8, v2
	s_delay_alu instid0(VALU_DEP_1)
	v_mul_lo_u32 v2, v2, s14
	s_cbranch_vccnz .LBB31_229
; %bb.228:
	v_mul_hi_u32 v5, s16, v3
	s_delay_alu instid0(VALU_DEP_1) | instskip(NEXT) | instid1(VALU_DEP_1)
	v_add_nc_u32_e32 v5, v3, v5
	v_lshrrev_b32_e32 v5, s17, v5
	s_delay_alu instid0(VALU_DEP_1) | instskip(NEXT) | instid1(VALU_DEP_1)
	v_mul_lo_u32 v5, v5, s11
	v_sub_nc_u32_e32 v3, v3, v5
	s_delay_alu instid0(VALU_DEP_1) | instskip(NEXT) | instid1(VALU_DEP_1)
	v_mad_u64_u32 v[5:6], null, v3, s15, v[2:3]
	v_mov_b32_e32 v2, v5
.LBB31_229:
	v_and_b32_e64 v17, 0xff, s46
	s_delay_alu instid0(VALU_DEP_2) | instskip(NEXT) | instid1(VALU_DEP_1)
	v_add_co_u32 v6, s18, s4, v2
	v_add_co_ci_u32_e64 v7, null, s5, 0, s18
	s_delay_alu instid0(VALU_DEP_3)
	v_cmp_gt_i16_e32 vcc_lo, 11, v17
	s_mov_b32 s19, 0
	s_mov_b32 s20, -1
	s_mov_b32 s18, s50
	s_cbranch_vccnz .LBB31_236
; %bb.230:
	v_cmp_lt_i16_e32 vcc_lo, 25, v17
	s_cbranch_vccz .LBB31_276
; %bb.231:
	v_cmp_lt_i16_e32 vcc_lo, 28, v17
	s_cbranch_vccz .LBB31_277
	;; [unrolled: 3-line block ×4, first 2 shown]
; %bb.234:
	v_cmp_eq_u16_e32 vcc_lo, 46, v17
	s_mov_b32 s20, 0
	s_mov_b32 s18, -1
	s_cbranch_vccz .LBB31_316
; %bb.235:
	s_mov_b32 s19, -1
	s_mov_b32 s18, 0
	global_store_b32 v[6:7], v12, off
	s_branch .LBB31_316
.LBB31_236:
	s_and_b32 vcc_lo, exec_lo, s20
	s_cbranch_vccz .LBB31_361
; %bb.237:
	v_cmp_gt_i16_e32 vcc_lo, 5, v17
	s_mov_b32 s19, -1
	s_cbranch_vccnz .LBB31_258
; %bb.238:
	v_cmp_gt_i16_e32 vcc_lo, 8, v17
	s_cbranch_vccnz .LBB31_248
; %bb.239:
	v_cmp_gt_i16_e32 vcc_lo, 9, v17
	s_cbranch_vccnz .LBB31_245
; %bb.240:
	v_cmp_lt_i16_e32 vcc_lo, 9, v17
	s_cbranch_vccz .LBB31_242
; %bb.241:
	v_mov_b32_e32 v2, 0
	s_mov_b32 s19, 0
	s_delay_alu instid0(VALU_DEP_1)
	v_mov_b32_e32 v3, v2
	global_store_b128 v[6:7], v[0:3], off
.LBB31_242:
	s_and_not1_b32 vcc_lo, exec_lo, s19
	s_cbranch_vccnz .LBB31_244
; %bb.243:
	v_mov_b32_e32 v5, 0
	global_store_b64 v[6:7], v[4:5], off
.LBB31_244:
	s_mov_b32 s19, 0
.LBB31_245:
	s_delay_alu instid0(SALU_CYCLE_1)
	s_and_not1_b32 vcc_lo, exec_lo, s19
	s_cbranch_vccnz .LBB31_247
; %bb.246:
	global_store_b32 v[6:7], v10, off
.LBB31_247:
	s_mov_b32 s19, 0
.LBB31_248:
	s_delay_alu instid0(SALU_CYCLE_1)
	s_and_not1_b32 vcc_lo, exec_lo, s19
	s_cbranch_vccnz .LBB31_257
; %bb.249:
	v_cmp_gt_i16_e32 vcc_lo, 6, v17
	s_mov_b32 s19, -1
	s_cbranch_vccnz .LBB31_255
; %bb.250:
	v_cmp_lt_i16_e32 vcc_lo, 6, v17
	s_cbranch_vccz .LBB31_252
; %bb.251:
	s_mov_b32 s19, 0
	global_store_b64 v[6:7], v[0:1], off
.LBB31_252:
	s_and_not1_b32 vcc_lo, exec_lo, s19
	s_cbranch_vccnz .LBB31_254
; %bb.253:
	global_store_b32 v[6:7], v4, off
.LBB31_254:
	s_mov_b32 s19, 0
.LBB31_255:
	s_delay_alu instid0(SALU_CYCLE_1)
	s_and_not1_b32 vcc_lo, exec_lo, s19
	s_cbranch_vccnz .LBB31_257
; %bb.256:
	global_store_b16 v[6:7], v9, off
.LBB31_257:
	s_mov_b32 s19, 0
.LBB31_258:
	s_delay_alu instid0(SALU_CYCLE_1)
	s_and_not1_b32 vcc_lo, exec_lo, s19
	s_cbranch_vccnz .LBB31_274
; %bb.259:
	v_cmp_gt_i16_e32 vcc_lo, 2, v17
	s_mov_b32 s19, -1
	s_cbranch_vccnz .LBB31_269
; %bb.260:
	v_cmp_gt_i16_e32 vcc_lo, 3, v17
	s_cbranch_vccnz .LBB31_266
; %bb.261:
	v_cmp_lt_i16_e32 vcc_lo, 3, v17
	s_cbranch_vccz .LBB31_263
; %bb.262:
	v_dual_mov_b32 v2, s6 :: v_dual_mov_b32 v3, s7
	s_mov_b32 s19, 0
	global_store_b64 v[6:7], v[2:3], off
.LBB31_263:
	s_and_not1_b32 vcc_lo, exec_lo, s19
	s_cbranch_vccnz .LBB31_265
; %bb.264:
	v_mov_b32_e32 v2, s6
	global_store_b32 v[6:7], v2, off
.LBB31_265:
	s_mov_b32 s19, 0
.LBB31_266:
	s_delay_alu instid0(SALU_CYCLE_1)
	s_and_not1_b32 vcc_lo, exec_lo, s19
	s_cbranch_vccnz .LBB31_268
; %bb.267:
	v_mov_b32_e32 v2, s6
	global_store_b16 v[6:7], v2, off
.LBB31_268:
	s_mov_b32 s19, 0
.LBB31_269:
	s_delay_alu instid0(SALU_CYCLE_1)
	s_and_not1_b32 vcc_lo, exec_lo, s19
	s_cbranch_vccnz .LBB31_274
; %bb.270:
	v_cmp_lt_i16_e32 vcc_lo, 0, v17
	s_mov_b32 s19, -1
	s_cbranch_vccz .LBB31_272
; %bb.271:
	v_mov_b32_e32 v2, s6
	s_mov_b32 s19, 0
	global_store_b8 v[6:7], v2, off
.LBB31_272:
	s_and_not1_b32 vcc_lo, exec_lo, s19
	s_cbranch_vccnz .LBB31_274
; %bb.273:
	v_mov_b32_e32 v2, s6
	global_store_b8 v[6:7], v2, off
.LBB31_274:
	s_branch .LBB31_362
.LBB31_275:
	s_mov_b32 s19, 0
                                        ; implicit-def: $vgpr8
	s_branch .LBB31_363
.LBB31_276:
	s_mov_b32 s18, s50
	s_branch .LBB31_338
.LBB31_277:
	s_mov_b32 s18, s50
	s_branch .LBB31_324
.LBB31_278:
	s_mov_b32 s5, 0
.LBB31_279:
	s_and_b32 vcc_lo, exec_lo, s10
	s_cbranch_vccz .LBB31_284
; %bb.280:
	v_cmp_eq_u16_e64 s5, s4, 44
	s_delay_alu instid0(VALU_DEP_1)
	s_and_b32 vcc_lo, exec_lo, s5
	s_mov_b32 s5, -1
	s_cbranch_vccz .LBB31_284
; %bb.281:
	s_xor_b32 s5, s2, s3
	s_cls_i32 s9, s3
	s_ashr_i32 s5, s5, 31
	s_add_i32 s9, s9, -1
	s_add_i32 s5, s5, 32
	v_mov_b32_e32 v6, 0xff
	s_min_u32 s5, s9, s5
	s_delay_alu instid0(SALU_CYCLE_1) | instskip(SKIP_2) | instid1(SALU_CYCLE_1)
	s_lshl_b64 s[10:11], s[2:3], s5
	s_sub_i32 s5, 32, s5
	s_min_u32 s9, s10, 1
	s_or_b32 s9, s11, s9
	s_delay_alu instid0(SALU_CYCLE_1) | instskip(SKIP_1) | instid1(VALU_DEP_1)
	v_cvt_f32_i32_e32 v5, s9
	s_mov_b32 s9, -1
	v_ldexp_f32 v5, v5, s5
	s_delay_alu instid0(VALU_DEP_1) | instskip(NEXT) | instid1(VALU_DEP_1)
	v_readfirstlane_b32 s5, v5
	s_bfe_u32 s10, s5, 0x80017
	s_delay_alu instid0(SALU_CYCLE_1)
	s_cmpk_eq_i32 s10, 0xff
	s_cbranch_scc1 .LBB31_283
; %bb.282:
	s_bitcmp1_b32 s5, 22
	v_lshrrev_b32_e32 v5, 23, v5
	s_cselect_b32 s11, -1, 0
	s_and_b32 s5, s5, 0x3fffff
	s_delay_alu instid0(SALU_CYCLE_1) | instskip(NEXT) | instid1(SALU_CYCLE_1)
	s_or_b32 s5, s10, s5
	s_cmp_lg_u32 s5, 0
	s_cselect_b32 s5, -1, 0
	s_delay_alu instid0(SALU_CYCLE_1) | instskip(NEXT) | instid1(SALU_CYCLE_1)
	s_and_b32 s5, s11, s5
	v_cndmask_b32_e64 v6, 0, 1, s5
	s_delay_alu instid0(VALU_DEP_1)
	v_add_nc_u32_e32 v6, v5, v6
.LBB31_283:
	s_mov_b32 s5, 0
	global_store_b8 v[3:4], v6, off
.LBB31_284:
	s_branch .LBB31_287
.LBB31_285:
	v_cmp_eq_u16_e64 s5, s4, 29
	s_delay_alu instid0(VALU_DEP_1)
	s_and_b32 vcc_lo, exec_lo, s5
	s_mov_b32 s5, -1
	s_cbranch_vccz .LBB31_287
; %bb.286:
	v_dual_mov_b32 v6, s3 :: v_dual_mov_b32 v5, s2
	s_mov_b32 s5, 0
	s_mov_b32 s9, -1
	s_mov_b32 s10, 0
	global_store_b64 v[3:4], v[5:6], off
	s_branch .LBB31_288
.LBB31_287:
	s_mov_b32 s10, 0
.LBB31_288:
	s_delay_alu instid0(SALU_CYCLE_1)
	s_and_b32 vcc_lo, exec_lo, s10
	s_cbranch_vccz .LBB31_307
; %bb.289:
	v_cmp_lt_i16_e64 s9, s4, 27
	s_delay_alu instid0(VALU_DEP_1)
	s_and_b32 vcc_lo, exec_lo, s9
	s_mov_b32 s9, -1
	s_cbranch_vccnz .LBB31_295
; %bb.290:
	v_cmp_gt_i16_e64 s9, s4, 27
	s_delay_alu instid0(VALU_DEP_1)
	s_and_b32 vcc_lo, exec_lo, s9
	s_mov_b32 s9, -1
	s_cbranch_vccz .LBB31_292
; %bb.291:
	v_mov_b32_e32 v5, s2
	s_mov_b32 s9, 0
	global_store_b32 v[3:4], v5, off
.LBB31_292:
	s_and_not1_b32 vcc_lo, exec_lo, s9
	s_cbranch_vccnz .LBB31_294
; %bb.293:
	v_mov_b32_e32 v5, s2
	global_store_b16 v[3:4], v5, off
.LBB31_294:
	s_mov_b32 s9, 0
.LBB31_295:
	s_delay_alu instid0(SALU_CYCLE_1)
	s_and_not1_b32 vcc_lo, exec_lo, s9
	s_cbranch_vccnz .LBB31_306
; %bb.296:
	s_xor_b32 s9, s2, s3
	s_cls_i32 s10, s3
	s_ashr_i32 s9, s9, 31
	s_add_i32 s10, s10, -1
	s_add_i32 s9, s9, 32
	v_mov_b32_e32 v6, 0x80
	s_min_u32 s9, s10, s9
	s_delay_alu instid0(SALU_CYCLE_1) | instskip(SKIP_2) | instid1(SALU_CYCLE_1)
	s_lshl_b64 s[10:11], s[2:3], s9
	s_sub_i32 s9, 32, s9
	s_min_u32 s10, s10, 1
	s_or_b32 s10, s11, s10
	s_mov_b32 s11, -1
	v_cvt_f32_i32_e32 v5, s10
	s_delay_alu instid0(VALU_DEP_1) | instskip(NEXT) | instid1(VALU_DEP_1)
	v_ldexp_f32 v5, v5, s9
	v_readfirstlane_b32 s9, v5
	s_delay_alu instid0(VALU_DEP_1) | instskip(NEXT) | instid1(SALU_CYCLE_1)
	s_and_b32 s10, s9, 0x7fffffff
	s_cmp_gt_u32 s10, 0x437fffff
	s_cbranch_scc1 .LBB31_305
; %bb.297:
	s_cmp_gt_u32 s10, 0x3bffffff
	s_cbranch_scc0 .LBB31_300
; %bb.298:
	s_bfe_u32 s10, s9, 0x10014
	s_mov_b32 s11, 0
	s_add_i32 s10, s9, s10
	s_delay_alu instid0(SALU_CYCLE_1) | instskip(NEXT) | instid1(SALU_CYCLE_1)
	s_add_i32 s10, s10, 0x487ffff
	s_lshr_b32 s12, s10, 20
	s_mov_b32 s10, -1
	s_branch .LBB31_301
.LBB31_299:
	s_mov_b32 s18, s50
	s_branch .LBB31_320
.LBB31_300:
	s_mov_b32 s10, 0
                                        ; implicit-def: $sgpr12
.LBB31_301:
	v_mov_b32_e32 v5, s12
	s_and_not1_b32 vcc_lo, exec_lo, s11
                                        ; implicit-def: $sgpr11
	s_cbranch_vccnz .LBB31_303
; %bb.302:
	v_add_f32_e64 v5, 0x46000000, |s9|
	s_mov_b32 s11, 0
	s_delay_alu instid0(VALU_DEP_1) | instskip(NEXT) | instid1(VALU_DEP_1)
	v_and_b32_e32 v5, 0xff, v5
	v_cmp_ne_u32_e64 s10, 0, v5
.LBB31_303:
	v_mov_b32_e32 v6, s11
	s_delay_alu instid0(VALU_DEP_2)
	s_and_not1_b32 vcc_lo, exec_lo, s10
	s_cbranch_vccnz .LBB31_305
; %bb.304:
	s_lshr_b32 s9, s9, 24
	s_delay_alu instid0(SALU_CYCLE_1) | instskip(NEXT) | instid1(SALU_CYCLE_1)
	s_and_b32 s9, s9, 0x80
	v_or_b32_e32 v6, s9, v5
.LBB31_305:
	global_store_b8 v[3:4], v6, off
.LBB31_306:
	s_mov_b32 s9, -1
.LBB31_307:
	s_mov_b32 s10, 0
.LBB31_308:
	s_delay_alu instid0(SALU_CYCLE_1)
	s_and_b32 vcc_lo, exec_lo, s10
	s_cbranch_vccz .LBB31_469
; %bb.309:
	v_cmp_gt_i16_e64 s8, s4, 22
	s_delay_alu instid0(VALU_DEP_1)
	s_and_b32 vcc_lo, exec_lo, s8
	s_mov_b32 s8, -1
	s_cbranch_vccz .LBB31_462
; %bb.310:
	v_cmp_lt_i16_e64 s8, s4, 24
	s_delay_alu instid0(VALU_DEP_1)
	s_and_b32 vcc_lo, exec_lo, s8
	s_mov_b32 s8, -1
	s_cbranch_vccnz .LBB31_449
; %bb.311:
	v_cmp_gt_i16_e64 s8, s4, 24
	s_delay_alu instid0(VALU_DEP_1)
	s_and_b32 vcc_lo, exec_lo, s8
	s_mov_b32 s8, -1
	s_cbranch_vccz .LBB31_436
; %bb.312:
	s_xor_b32 s8, s2, s3
	s_cls_i32 s9, s3
	s_ashr_i32 s8, s8, 31
	s_add_i32 s9, s9, -1
	s_add_i32 s8, s8, 32
	v_mov_b32_e32 v6, 0x80
	s_min_u32 s10, s9, s8
	s_delay_alu instid0(SALU_CYCLE_1) | instskip(NEXT) | instid1(SALU_CYCLE_1)
	s_lshl_b64 s[8:9], s[2:3], s10
	s_min_u32 s8, s8, 1
	s_delay_alu instid0(SALU_CYCLE_1) | instskip(NEXT) | instid1(SALU_CYCLE_1)
	s_or_b32 s8, s9, s8
	v_cvt_f32_i32_e32 v5, s8
	s_sub_i32 s8, 32, s10
	s_mov_b32 s10, -1
	s_delay_alu instid0(VALU_DEP_1) | instskip(NEXT) | instid1(VALU_DEP_1)
	v_ldexp_f32 v5, v5, s8
	v_readfirstlane_b32 s8, v5
	s_delay_alu instid0(VALU_DEP_1) | instskip(NEXT) | instid1(SALU_CYCLE_1)
	s_and_b32 s9, s8, 0x7fffffff
	s_cmp_gt_u32 s9, 0x477fffff
	s_cbranch_scc1 .LBB31_435
; %bb.313:
	s_cmp_gt_u32 s9, 0x37ffffff
	s_cbranch_scc0 .LBB31_430
; %bb.314:
	s_bfe_u32 s9, s8, 0x10015
	s_mov_b32 s10, 0
	s_add_i32 s9, s8, s9
	s_delay_alu instid0(SALU_CYCLE_1) | instskip(NEXT) | instid1(SALU_CYCLE_1)
	s_add_i32 s9, s9, 0x88fffff
	s_lshr_b32 s11, s9, 21
	s_mov_b32 s9, -1
	s_branch .LBB31_431
.LBB31_315:
	s_mov_b32 s18, s50
.LBB31_316:
	s_and_b32 vcc_lo, exec_lo, s20
	s_cbranch_vccz .LBB31_319
; %bb.317:
	v_cmp_eq_u16_e32 vcc_lo, 44, v17
	s_mov_b32 s18, -1
	s_cbranch_vccz .LBB31_319
; %bb.318:
	v_cndmask_b32_e64 v2, v16, 0xff, s2
	s_mov_b32 s19, -1
	s_mov_b32 s18, 0
	global_store_b8 v[6:7], v2, off
.LBB31_319:
	s_mov_b32 s20, 0
.LBB31_320:
	s_delay_alu instid0(SALU_CYCLE_1)
	s_and_b32 vcc_lo, exec_lo, s20
	s_cbranch_vccz .LBB31_323
; %bb.321:
	v_cmp_eq_u16_e32 vcc_lo, 29, v17
	s_mov_b32 s18, -1
	s_cbranch_vccz .LBB31_323
; %bb.322:
	v_dual_mov_b32 v2, s6 :: v_dual_mov_b32 v3, s7
	s_mov_b32 s19, -1
	s_mov_b32 s18, 0
	s_mov_b32 s20, 0
	global_store_b64 v[6:7], v[2:3], off
	s_branch .LBB31_324
.LBB31_323:
	s_mov_b32 s20, 0
.LBB31_324:
	s_delay_alu instid0(SALU_CYCLE_1)
	s_and_b32 vcc_lo, exec_lo, s20
	s_cbranch_vccz .LBB31_337
; %bb.325:
	v_cmp_gt_i16_e32 vcc_lo, 27, v17
	s_mov_b32 s19, -1
	s_cbranch_vccnz .LBB31_331
; %bb.326:
	v_cmp_lt_i16_e32 vcc_lo, 27, v17
	s_cbranch_vccz .LBB31_328
; %bb.327:
	v_mov_b32_e32 v2, s6
	s_mov_b32 s19, 0
	global_store_b32 v[6:7], v2, off
.LBB31_328:
	s_and_not1_b32 vcc_lo, exec_lo, s19
	s_cbranch_vccnz .LBB31_330
; %bb.329:
	v_mov_b32_e32 v2, s6
	global_store_b16 v[6:7], v2, off
.LBB31_330:
	s_mov_b32 s19, 0
.LBB31_331:
	s_delay_alu instid0(SALU_CYCLE_1)
	s_and_not1_b32 vcc_lo, exec_lo, s19
	s_cbranch_vccnz .LBB31_336
; %bb.332:
	v_mov_b32_e32 v2, 0x80
	s_and_not1_b32 vcc_lo, exec_lo, s43
	s_cbranch_vccnz .LBB31_335
; %bb.333:
	v_mov_b32_e32 v2, 0
	s_or_b32 s19, s41, s44
	s_delay_alu instid0(SALU_CYCLE_1)
	s_and_not1_b32 vcc_lo, exec_lo, s19
	s_cbranch_vccnz .LBB31_335
; %bb.334:
	v_cndmask_b32_e64 v2, v15, s42, s41
	s_delay_alu instid0(VALU_DEP_1)
	v_or_b32_e32 v2, v2, v13
.LBB31_335:
	global_store_b8 v[6:7], v2, off
.LBB31_336:
	s_mov_b32 s19, -1
.LBB31_337:
	s_mov_b32 s20, 0
.LBB31_338:
	s_delay_alu instid0(SALU_CYCLE_1)
	s_and_b32 vcc_lo, exec_lo, s20
	s_cbranch_vccz .LBB31_360
; %bb.339:
	v_cmp_lt_i16_e32 vcc_lo, 22, v17
	s_mov_b32 s20, -1
	s_cbranch_vccz .LBB31_352
; %bb.340:
	v_cmp_gt_i16_e32 vcc_lo, 24, v17
	s_mov_b32 s19, -1
	s_cbranch_vccnz .LBB31_349
; %bb.341:
	v_cmp_lt_i16_e32 vcc_lo, 24, v17
	s_cbranch_vccz .LBB31_346
; %bb.342:
	v_mov_b32_e32 v2, 0x80
	s_and_not1_b32 vcc_lo, exec_lo, s37
	s_cbranch_vccnz .LBB31_345
; %bb.343:
	v_mov_b32_e32 v2, 0
	s_or_b32 s19, s33, s40
	s_delay_alu instid0(SALU_CYCLE_1)
	s_and_not1_b32 vcc_lo, exec_lo, s19
	s_cbranch_vccnz .LBB31_345
; %bb.344:
	v_cndmask_b32_e64 v2, v14, s36, s33
	s_delay_alu instid0(VALU_DEP_1)
	v_or_b32_e32 v2, v2, v13
.LBB31_345:
	s_mov_b32 s19, 0
	global_store_b8 v[6:7], v2, off
.LBB31_346:
	s_and_b32 vcc_lo, exec_lo, s19
	s_cbranch_vccz .LBB31_348
; %bb.347:
	s_and_b32 s19, s30, exec_lo
	s_cselect_b32 s19, s39, s35
	s_and_b32 s20, s29, exec_lo
	s_cselect_b32 s19, s38, s19
	s_delay_alu instid0(SALU_CYCLE_1)
	v_or_b32_e32 v2, s19, v13
	global_store_b8 v[6:7], v2, off
.LBB31_348:
	s_mov_b32 s19, 0
.LBB31_349:
	s_delay_alu instid0(SALU_CYCLE_1)
	s_and_not1_b32 vcc_lo, exec_lo, s19
	s_cbranch_vccnz .LBB31_351
; %bb.350:
	s_and_b32 s19, s27, exec_lo
	s_cselect_b32 s19, s34, s28
	s_and_b32 s20, s26, exec_lo
	s_cselect_b32 s19, s31, s19
	s_delay_alu instid0(SALU_CYCLE_1)
	v_or_b32_e32 v2, s19, v13
	global_store_b8 v[6:7], v2, off
.LBB31_351:
	s_mov_b32 s20, 0
	s_mov_b32 s19, -1
.LBB31_352:
	s_and_not1_b32 vcc_lo, exec_lo, s20
	s_cbranch_vccnz .LBB31_360
; %bb.353:
	v_cmp_lt_i16_e32 vcc_lo, 14, v17
	s_mov_b32 s20, -1
	s_cbranch_vccz .LBB31_357
; %bb.354:
	v_cmp_eq_u16_e32 vcc_lo, 15, v17
	s_mov_b32 s18, -1
	s_cbranch_vccz .LBB31_356
; %bb.355:
	s_mov_b32 s19, -1
	s_mov_b32 s18, 0
	global_store_b16 v[6:7], v12, off
.LBB31_356:
	s_mov_b32 s20, 0
.LBB31_357:
	s_delay_alu instid0(SALU_CYCLE_1)
	s_and_b32 vcc_lo, exec_lo, s20
	s_cbranch_vccz .LBB31_360
; %bb.358:
	v_cmp_eq_u16_e32 vcc_lo, 11, v17
	s_mov_b32 s18, -1
	s_cbranch_vccz .LBB31_360
; %bb.359:
	s_mov_b32 s19, -1
	s_mov_b32 s18, 0
	global_store_b8 v[6:7], v11, off
.LBB31_360:
.LBB31_361:
	s_and_not1_b32 vcc_lo, exec_lo, s19
	s_cbranch_vccnz .LBB31_275
.LBB31_362:
	v_add_nc_u32_e32 v8, 0x80, v8
	s_mov_b32 s19, -1
.LBB31_363:
	s_and_not1_b32 s20, s50, exec_lo
	s_and_b32 s18, s18, exec_lo
	s_delay_alu instid0(SALU_CYCLE_1)
	s_or_b32 s52, s20, s18
	s_or_not1_b32 s20, s19, exec_lo
.LBB31_364:
	s_or_b32 exec_lo, exec_lo, s53
	s_mov_b32 s18, 0
	s_mov_b32 s19, 0
                                        ; implicit-def: $vgpr17
                                        ; implicit-def: $vgpr6_vgpr7
	s_and_saveexec_b32 s53, s20
	s_cbranch_execz .LBB31_681
; %bb.365:
	s_mov_b32 s55, -1
	s_mov_b32 s20, s52
	s_mov_b32 s54, exec_lo
	v_cmpx_gt_i32_e64 s47, v8
	s_cbranch_execz .LBB31_612
; %bb.366:
	s_and_not1_b32 vcc_lo, exec_lo, s25
	s_cbranch_vccnz .LBB31_371
; %bb.367:
	v_mov_b32_e32 v2, 0
	s_and_not1_b32 vcc_lo, exec_lo, s49
	s_cbranch_vccnz .LBB31_376
; %bb.368:
	s_add_i32 s56, s48, 1
	s_cmp_eq_u32 s23, 2
	s_mov_b32 s55, 0
	s_cbranch_scc1 .LBB31_372
; %bb.369:
	v_dual_mov_b32 v2, 0 :: v_dual_mov_b32 v3, v8
	s_and_b32 s55, s56, 28
	s_mov_b32 s57, 0
	s_mov_b64 s[18:19], s[0:1]
	s_mov_b64 s[20:21], s[12:13]
.LBB31_370:                             ; =>This Inner Loop Header: Depth=1
	s_clause 0x1
	s_load_b256 s[60:67], s[18:19], 0x4
	s_load_b128 s[68:71], s[18:19], 0x24
	s_load_b128 s[72:75], s[20:21], 0x0
	s_add_u32 s18, s18, 48
	s_addc_u32 s19, s19, 0
	s_add_i32 s57, s57, 4
	s_add_u32 s20, s20, 16
	s_addc_u32 s21, s21, 0
	s_cmp_eq_u32 s55, s57
	s_waitcnt lgkmcnt(0)
	v_mul_hi_u32 v5, s61, v3
	s_delay_alu instid0(VALU_DEP_1) | instskip(NEXT) | instid1(VALU_DEP_1)
	v_add_nc_u32_e32 v5, v3, v5
	v_lshrrev_b32_e32 v5, s62, v5
	s_delay_alu instid0(VALU_DEP_1) | instskip(SKIP_1) | instid1(VALU_DEP_2)
	v_mul_hi_u32 v6, s64, v5
	v_mul_lo_u32 v18, v5, s60
	v_add_nc_u32_e32 v6, v5, v6
	s_delay_alu instid0(VALU_DEP_2) | instskip(NEXT) | instid1(VALU_DEP_2)
	v_sub_nc_u32_e32 v18, v3, v18
	v_lshrrev_b32_e32 v6, s65, v6
	s_delay_alu instid0(VALU_DEP_2) | instskip(NEXT) | instid1(VALU_DEP_2)
	v_mul_lo_u32 v18, v18, s72
	v_mul_hi_u32 v7, s67, v6
	v_mul_lo_u32 v19, v6, s63
	s_delay_alu instid0(VALU_DEP_2) | instskip(NEXT) | instid1(VALU_DEP_2)
	v_add_nc_u32_e32 v7, v6, v7
	v_sub_nc_u32_e32 v5, v5, v19
	s_delay_alu instid0(VALU_DEP_2) | instskip(NEXT) | instid1(VALU_DEP_2)
	v_lshrrev_b32_e32 v7, s68, v7
	v_mul_lo_u32 v5, v5, s73
	s_delay_alu instid0(VALU_DEP_2) | instskip(NEXT) | instid1(VALU_DEP_2)
	v_mul_hi_u32 v17, s70, v7
	v_add3_u32 v2, v18, v2, v5
	s_delay_alu instid0(VALU_DEP_2) | instskip(NEXT) | instid1(VALU_DEP_1)
	v_add_nc_u32_e32 v17, v7, v17
	v_lshrrev_b32_e32 v3, s71, v17
	v_mul_lo_u32 v17, v7, s66
	s_delay_alu instid0(VALU_DEP_2) | instskip(NEXT) | instid1(VALU_DEP_2)
	v_mul_lo_u32 v20, v3, s69
	v_sub_nc_u32_e32 v6, v6, v17
	s_delay_alu instid0(VALU_DEP_2) | instskip(NEXT) | instid1(VALU_DEP_2)
	v_sub_nc_u32_e32 v7, v7, v20
	v_mul_lo_u32 v6, v6, s74
	s_delay_alu instid0(VALU_DEP_2) | instskip(NEXT) | instid1(VALU_DEP_1)
	v_mul_lo_u32 v7, v7, s75
	v_add3_u32 v2, v6, v2, v7
	s_cbranch_scc0 .LBB31_370
	s_branch .LBB31_373
.LBB31_371:
	s_mov_b32 s18, -1
                                        ; implicit-def: $vgpr2
	s_branch .LBB31_377
.LBB31_372:
	v_mov_b32_e32 v3, v8
.LBB31_373:
	s_and_b32 s56, s56, 3
	s_delay_alu instid0(SALU_CYCLE_1)
	s_cmp_eq_u32 s56, 0
	s_cbranch_scc1 .LBB31_376
; %bb.374:
	s_lshl_b32 s18, s55, 2
	s_mul_i32 s20, s55, 12
	s_add_u32 s18, s18, s0
	s_addc_u32 s19, s1, 0
	s_add_u32 s18, s18, 0xc4
	s_addc_u32 s19, s19, 0
	;; [unrolled: 2-line block ×3, first 2 shown]
	.p2align	6
.LBB31_375:                             ; =>This Inner Loop Header: Depth=1
	s_clause 0x1
	s_load_b64 s[58:59], s[20:21], 0x4
	s_load_b32 s55, s[20:21], 0xc
	s_load_b32 s57, s[18:19], 0x0
	s_add_u32 s20, s20, 12
	s_addc_u32 s21, s21, 0
	s_add_u32 s18, s18, 4
	s_addc_u32 s19, s19, 0
	s_add_i32 s56, s56, -1
	s_delay_alu instid0(SALU_CYCLE_1) | instskip(SKIP_2) | instid1(VALU_DEP_1)
	s_cmp_lg_u32 s56, 0
	s_waitcnt lgkmcnt(0)
	v_mul_hi_u32 v5, s59, v3
	v_add_nc_u32_e32 v5, v3, v5
	s_delay_alu instid0(VALU_DEP_1) | instskip(NEXT) | instid1(VALU_DEP_1)
	v_lshrrev_b32_e32 v7, s55, v5
	v_mul_lo_u32 v5, v7, s58
	s_delay_alu instid0(VALU_DEP_1) | instskip(NEXT) | instid1(VALU_DEP_1)
	v_sub_nc_u32_e32 v3, v3, v5
	v_mad_u64_u32 v[5:6], null, v3, s57, v[2:3]
	s_delay_alu instid0(VALU_DEP_1)
	v_dual_mov_b32 v3, v7 :: v_dual_mov_b32 v2, v5
	s_cbranch_scc1 .LBB31_375
.LBB31_376:
	s_mov_b32 s18, 0
.LBB31_377:
	s_delay_alu instid0(SALU_CYCLE_1)
	s_and_not1_b32 vcc_lo, exec_lo, s18
	s_cbranch_vccnz .LBB31_380
; %bb.378:
	s_waitcnt lgkmcnt(0)
	v_mul_hi_u32 v2, s9, v8
	s_and_not1_b32 vcc_lo, exec_lo, s45
	s_delay_alu instid0(VALU_DEP_1) | instskip(NEXT) | instid1(VALU_DEP_1)
	v_add_nc_u32_e32 v2, v8, v2
	v_lshrrev_b32_e32 v3, s10, v2
	s_delay_alu instid0(VALU_DEP_1) | instskip(NEXT) | instid1(VALU_DEP_1)
	v_mul_lo_u32 v2, v3, s8
	v_sub_nc_u32_e32 v2, v8, v2
	s_delay_alu instid0(VALU_DEP_1)
	v_mul_lo_u32 v2, v2, s14
	s_cbranch_vccnz .LBB31_380
; %bb.379:
	v_mul_hi_u32 v5, s16, v3
	s_delay_alu instid0(VALU_DEP_1) | instskip(NEXT) | instid1(VALU_DEP_1)
	v_add_nc_u32_e32 v5, v3, v5
	v_lshrrev_b32_e32 v5, s17, v5
	s_delay_alu instid0(VALU_DEP_1) | instskip(NEXT) | instid1(VALU_DEP_1)
	v_mul_lo_u32 v5, v5, s11
	v_sub_nc_u32_e32 v3, v3, v5
	s_delay_alu instid0(VALU_DEP_1) | instskip(NEXT) | instid1(VALU_DEP_1)
	v_mad_u64_u32 v[5:6], null, v3, s15, v[2:3]
	v_mov_b32_e32 v2, v5
.LBB31_380:
	v_and_b32_e64 v17, 0xff, s46
	s_delay_alu instid0(VALU_DEP_2) | instskip(NEXT) | instid1(VALU_DEP_1)
	v_add_co_u32 v6, s18, s4, v2
	v_add_co_ci_u32_e64 v7, null, s5, 0, s18
	s_delay_alu instid0(VALU_DEP_3)
	v_cmp_gt_i16_e32 vcc_lo, 11, v17
	s_mov_b32 s19, 0
	s_mov_b32 s20, -1
	s_mov_b32 s18, s52
	s_cbranch_vccnz .LBB31_387
; %bb.381:
	v_cmp_lt_i16_e32 vcc_lo, 25, v17
	s_cbranch_vccz .LBB31_427
; %bb.382:
	v_cmp_lt_i16_e32 vcc_lo, 28, v17
	s_cbranch_vccz .LBB31_428
	;; [unrolled: 3-line block ×4, first 2 shown]
; %bb.385:
	v_cmp_eq_u16_e32 vcc_lo, 46, v17
	s_mov_b32 s20, 0
	s_mov_b32 s18, -1
	s_cbranch_vccz .LBB31_564
; %bb.386:
	s_mov_b32 s19, -1
	s_mov_b32 s18, 0
	global_store_b32 v[6:7], v12, off
	s_branch .LBB31_564
.LBB31_387:
	s_and_b32 vcc_lo, exec_lo, s20
	s_cbranch_vccz .LBB31_609
; %bb.388:
	v_cmp_gt_i16_e32 vcc_lo, 5, v17
	s_mov_b32 s19, -1
	s_cbranch_vccnz .LBB31_409
; %bb.389:
	v_cmp_gt_i16_e32 vcc_lo, 8, v17
	s_cbranch_vccnz .LBB31_399
; %bb.390:
	v_cmp_gt_i16_e32 vcc_lo, 9, v17
	s_cbranch_vccnz .LBB31_396
; %bb.391:
	v_cmp_lt_i16_e32 vcc_lo, 9, v17
	s_cbranch_vccz .LBB31_393
; %bb.392:
	v_mov_b32_e32 v2, 0
	s_mov_b32 s19, 0
	s_delay_alu instid0(VALU_DEP_1)
	v_mov_b32_e32 v3, v2
	global_store_b128 v[6:7], v[0:3], off
.LBB31_393:
	s_and_not1_b32 vcc_lo, exec_lo, s19
	s_cbranch_vccnz .LBB31_395
; %bb.394:
	v_mov_b32_e32 v5, 0
	global_store_b64 v[6:7], v[4:5], off
.LBB31_395:
	s_mov_b32 s19, 0
.LBB31_396:
	s_delay_alu instid0(SALU_CYCLE_1)
	s_and_not1_b32 vcc_lo, exec_lo, s19
	s_cbranch_vccnz .LBB31_398
; %bb.397:
	global_store_b32 v[6:7], v10, off
.LBB31_398:
	s_mov_b32 s19, 0
.LBB31_399:
	s_delay_alu instid0(SALU_CYCLE_1)
	s_and_not1_b32 vcc_lo, exec_lo, s19
	s_cbranch_vccnz .LBB31_408
; %bb.400:
	v_cmp_gt_i16_e32 vcc_lo, 6, v17
	s_mov_b32 s19, -1
	s_cbranch_vccnz .LBB31_406
; %bb.401:
	v_cmp_lt_i16_e32 vcc_lo, 6, v17
	s_cbranch_vccz .LBB31_403
; %bb.402:
	s_mov_b32 s19, 0
	global_store_b64 v[6:7], v[0:1], off
.LBB31_403:
	s_and_not1_b32 vcc_lo, exec_lo, s19
	s_cbranch_vccnz .LBB31_405
; %bb.404:
	global_store_b32 v[6:7], v4, off
.LBB31_405:
	s_mov_b32 s19, 0
.LBB31_406:
	s_delay_alu instid0(SALU_CYCLE_1)
	s_and_not1_b32 vcc_lo, exec_lo, s19
	s_cbranch_vccnz .LBB31_408
; %bb.407:
	global_store_b16 v[6:7], v9, off
.LBB31_408:
	s_mov_b32 s19, 0
.LBB31_409:
	s_delay_alu instid0(SALU_CYCLE_1)
	s_and_not1_b32 vcc_lo, exec_lo, s19
	s_cbranch_vccnz .LBB31_425
; %bb.410:
	v_cmp_gt_i16_e32 vcc_lo, 2, v17
	s_mov_b32 s19, -1
	s_cbranch_vccnz .LBB31_420
; %bb.411:
	v_cmp_gt_i16_e32 vcc_lo, 3, v17
	s_cbranch_vccnz .LBB31_417
; %bb.412:
	v_cmp_lt_i16_e32 vcc_lo, 3, v17
	s_cbranch_vccz .LBB31_414
; %bb.413:
	v_dual_mov_b32 v2, s6 :: v_dual_mov_b32 v3, s7
	s_mov_b32 s19, 0
	global_store_b64 v[6:7], v[2:3], off
.LBB31_414:
	s_and_not1_b32 vcc_lo, exec_lo, s19
	s_cbranch_vccnz .LBB31_416
; %bb.415:
	v_mov_b32_e32 v2, s6
	global_store_b32 v[6:7], v2, off
.LBB31_416:
	s_mov_b32 s19, 0
.LBB31_417:
	s_delay_alu instid0(SALU_CYCLE_1)
	s_and_not1_b32 vcc_lo, exec_lo, s19
	s_cbranch_vccnz .LBB31_419
; %bb.418:
	v_mov_b32_e32 v2, s6
	global_store_b16 v[6:7], v2, off
.LBB31_419:
	s_mov_b32 s19, 0
.LBB31_420:
	s_delay_alu instid0(SALU_CYCLE_1)
	s_and_not1_b32 vcc_lo, exec_lo, s19
	s_cbranch_vccnz .LBB31_425
; %bb.421:
	v_cmp_lt_i16_e32 vcc_lo, 0, v17
	s_mov_b32 s19, -1
	s_cbranch_vccz .LBB31_423
; %bb.422:
	v_mov_b32_e32 v2, s6
	s_mov_b32 s19, 0
	global_store_b8 v[6:7], v2, off
.LBB31_423:
	s_and_not1_b32 vcc_lo, exec_lo, s19
	s_cbranch_vccnz .LBB31_425
; %bb.424:
	v_mov_b32_e32 v2, s6
	global_store_b8 v[6:7], v2, off
.LBB31_425:
	s_branch .LBB31_610
.LBB31_426:
	s_mov_b32 s19, 0
                                        ; implicit-def: $vgpr8
	s_branch .LBB31_611
.LBB31_427:
	s_mov_b32 s18, s52
	s_branch .LBB31_586
.LBB31_428:
	s_mov_b32 s18, s52
	s_branch .LBB31_572
.LBB31_429:
	s_mov_b32 s18, s52
	s_branch .LBB31_568
.LBB31_430:
	s_mov_b32 s9, 0
                                        ; implicit-def: $sgpr11
.LBB31_431:
	v_mov_b32_e32 v5, s11
	s_and_not1_b32 vcc_lo, exec_lo, s10
                                        ; implicit-def: $sgpr10
	s_cbranch_vccnz .LBB31_433
; %bb.432:
	v_add_f32_e64 v5, 0x42800000, |s8|
	s_mov_b32 s10, 0
	s_delay_alu instid0(VALU_DEP_1) | instskip(NEXT) | instid1(VALU_DEP_1)
	v_and_b32_e32 v5, 0xff, v5
	v_cmp_ne_u32_e64 s9, 0, v5
.LBB31_433:
	v_mov_b32_e32 v6, s10
	s_delay_alu instid0(VALU_DEP_2)
	s_and_not1_b32 vcc_lo, exec_lo, s9
	s_cbranch_vccnz .LBB31_435
; %bb.434:
	s_lshr_b32 s8, s8, 24
	s_delay_alu instid0(SALU_CYCLE_1) | instskip(NEXT) | instid1(SALU_CYCLE_1)
	s_and_b32 s8, s8, 0x80
	v_or_b32_e32 v6, s8, v5
.LBB31_435:
	s_mov_b32 s8, 0
	global_store_b8 v[3:4], v6, off
.LBB31_436:
	s_and_b32 vcc_lo, exec_lo, s8
	s_cbranch_vccz .LBB31_448
; %bb.437:
	s_xor_b32 s8, s2, s3
	s_cls_i32 s9, s3
	s_ashr_i32 s8, s8, 31
	s_add_i32 s9, s9, -1
	s_add_i32 s8, s8, 32
	s_delay_alu instid0(SALU_CYCLE_1) | instskip(NEXT) | instid1(SALU_CYCLE_1)
	s_min_u32 s10, s9, s8
	s_lshl_b64 s[8:9], s[2:3], s10
	s_delay_alu instid0(SALU_CYCLE_1) | instskip(NEXT) | instid1(SALU_CYCLE_1)
	s_min_u32 s8, s8, 1
	s_or_b32 s8, s9, s8
	s_delay_alu instid0(SALU_CYCLE_1) | instskip(SKIP_2) | instid1(VALU_DEP_1)
	v_cvt_f32_i32_e32 v5, s8
	s_sub_i32 s8, 32, s10
	s_mov_b32 s10, -1
	v_ldexp_f32 v5, v5, s8
	s_delay_alu instid0(VALU_DEP_1) | instskip(NEXT) | instid1(VALU_DEP_1)
	v_readfirstlane_b32 s8, v5
	s_and_b32 s9, s8, 0x7fffffff
	s_delay_alu instid0(SALU_CYCLE_1)
	s_cmp_lt_u32 s9, 0x43f00000
	s_cbranch_scc0 .LBB31_440
; %bb.438:
	s_cmp_gt_u32 s9, 0x3c7fffff
	s_cbranch_scc0 .LBB31_441
; %bb.439:
	s_bfe_u32 s10, s8, 0x10014
	s_delay_alu instid0(SALU_CYCLE_1) | instskip(NEXT) | instid1(SALU_CYCLE_1)
	s_add_i32 s10, s8, s10
	s_add_i32 s10, s10, 0x407ffff
	s_delay_alu instid0(SALU_CYCLE_1)
	s_and_b32 s11, s10, 0xff00000
	s_lshr_b32 s10, s10, 20
	s_cmp_lg_u32 s11, 0x7f00000
	s_cselect_b32 s11, s10, 0x7e
	s_mov_b32 s10, 0
	s_branch .LBB31_442
.LBB31_440:
                                        ; implicit-def: $vgpr6
	s_branch .LBB31_445
.LBB31_441:
                                        ; implicit-def: $sgpr11
.LBB31_442:
	v_mov_b32_e32 v6, s11
	s_and_not1_b32 vcc_lo, exec_lo, s10
	s_cbranch_vccnz .LBB31_444
; %bb.443:
	v_add_f32_e64 v6, 0x46800000, |v5|
.LBB31_444:
	s_mov_b32 s10, 0
.LBB31_445:
	s_delay_alu instid0(SALU_CYCLE_1)
	s_and_not1_b32 vcc_lo, exec_lo, s10
	s_cbranch_vccnz .LBB31_447
; %bb.446:
	s_cmp_gt_u32 s9, 0x7f800000
	s_movk_i32 s9, 0x7f
	s_delay_alu instid0(SALU_CYCLE_1) | instskip(NEXT) | instid1(SALU_CYCLE_1)
	s_cselect_b32 s9, s9, 0x7e
	v_mov_b32_e32 v6, s9
.LBB31_447:
	s_lshr_b32 s8, s8, 24
	s_delay_alu instid0(SALU_CYCLE_1)
	s_and_b32 s8, s8, 0x80
	s_delay_alu instid0(VALU_DEP_1) | instid1(SALU_CYCLE_1)
	v_or_b32_e32 v5, s8, v6
	global_store_b8 v[3:4], v5, off
.LBB31_448:
	s_mov_b32 s8, 0
.LBB31_449:
	s_delay_alu instid0(SALU_CYCLE_1)
	s_and_not1_b32 vcc_lo, exec_lo, s8
	s_cbranch_vccnz .LBB31_461
; %bb.450:
	s_xor_b32 s8, s2, s3
	s_cls_i32 s9, s3
	s_ashr_i32 s8, s8, 31
	s_add_i32 s9, s9, -1
	s_add_i32 s8, s8, 32
	s_delay_alu instid0(SALU_CYCLE_1) | instskip(NEXT) | instid1(SALU_CYCLE_1)
	s_min_u32 s10, s9, s8
	s_lshl_b64 s[8:9], s[2:3], s10
	s_delay_alu instid0(SALU_CYCLE_1) | instskip(NEXT) | instid1(SALU_CYCLE_1)
	s_min_u32 s8, s8, 1
	s_or_b32 s8, s9, s8
	s_delay_alu instid0(SALU_CYCLE_1) | instskip(SKIP_2) | instid1(VALU_DEP_1)
	v_cvt_f32_i32_e32 v5, s8
	s_sub_i32 s8, 32, s10
	s_mov_b32 s10, -1
	v_ldexp_f32 v5, v5, s8
	s_delay_alu instid0(VALU_DEP_1) | instskip(NEXT) | instid1(VALU_DEP_1)
	v_readfirstlane_b32 s8, v5
	s_and_b32 s9, s8, 0x7fffffff
	s_delay_alu instid0(SALU_CYCLE_1)
	s_cmp_lt_u32 s9, 0x47800000
	s_cbranch_scc0 .LBB31_453
; %bb.451:
	s_cmp_gt_u32 s9, 0x387fffff
	s_cbranch_scc0 .LBB31_454
; %bb.452:
	s_bfe_u32 s10, s8, 0x10015
	s_delay_alu instid0(SALU_CYCLE_1) | instskip(NEXT) | instid1(SALU_CYCLE_1)
	s_add_i32 s10, s8, s10
	s_add_i32 s10, s10, 0x80fffff
	s_delay_alu instid0(SALU_CYCLE_1)
	s_lshr_b32 s11, s10, 21
	s_mov_b32 s10, 0
	s_branch .LBB31_455
.LBB31_453:
                                        ; implicit-def: $vgpr6
	s_branch .LBB31_458
.LBB31_454:
                                        ; implicit-def: $sgpr11
.LBB31_455:
	v_mov_b32_e32 v6, s11
	s_and_not1_b32 vcc_lo, exec_lo, s10
	s_cbranch_vccnz .LBB31_457
; %bb.456:
	v_add_f32_e64 v6, 0x43000000, |v5|
.LBB31_457:
	s_mov_b32 s10, 0
.LBB31_458:
	s_delay_alu instid0(SALU_CYCLE_1)
	s_and_not1_b32 vcc_lo, exec_lo, s10
	s_cbranch_vccnz .LBB31_460
; %bb.459:
	s_cmp_gt_u32 s9, 0x7f800000
	s_movk_i32 s9, 0x7f
	s_delay_alu instid0(SALU_CYCLE_1) | instskip(NEXT) | instid1(SALU_CYCLE_1)
	s_cselect_b32 s9, s9, 0x7c
	v_mov_b32_e32 v6, s9
.LBB31_460:
	s_lshr_b32 s8, s8, 24
	s_delay_alu instid0(SALU_CYCLE_1)
	s_and_b32 s8, s8, 0x80
	s_delay_alu instid0(VALU_DEP_1) | instid1(SALU_CYCLE_1)
	v_or_b32_e32 v5, s8, v6
	global_store_b8 v[3:4], v5, off
.LBB31_461:
	s_mov_b32 s8, 0
	s_mov_b32 s9, -1
.LBB31_462:
	s_and_not1_b32 vcc_lo, exec_lo, s8
	s_mov_b32 s8, 0
	s_cbranch_vccnz .LBB31_469
; %bb.463:
	v_cmp_gt_i16_e64 s8, s4, 14
	s_delay_alu instid0(VALU_DEP_1)
	s_and_b32 vcc_lo, exec_lo, s8
	s_mov_b32 s8, -1
	s_cbranch_vccz .LBB31_467
; %bb.464:
	v_cmp_eq_u16_e64 s5, s4, 15
	s_delay_alu instid0(VALU_DEP_1)
	s_and_b32 vcc_lo, exec_lo, s5
	s_mov_b32 s5, -1
	s_cbranch_vccz .LBB31_466
; %bb.465:
	s_xor_b32 s5, s2, s3
	s_cls_i32 s8, s3
	s_ashr_i32 s5, s5, 31
	s_add_i32 s8, s8, -1
	s_add_i32 s5, s5, 32
	s_delay_alu instid0(SALU_CYCLE_1) | instskip(NEXT) | instid1(SALU_CYCLE_1)
	s_min_u32 s5, s8, s5
	s_lshl_b64 s[8:9], s[2:3], s5
	s_sub_i32 s5, 32, s5
	s_min_u32 s8, s8, 1
	s_delay_alu instid0(SALU_CYCLE_1) | instskip(SKIP_2) | instid1(VALU_DEP_1)
	s_or_b32 s8, s9, s8
	s_mov_b32 s9, -1
	v_cvt_f32_i32_e32 v5, s8
	v_ldexp_f32 v5, v5, s5
	s_mov_b32 s5, 0
	s_delay_alu instid0(VALU_DEP_1) | instskip(NEXT) | instid1(VALU_DEP_1)
	v_bfe_u32 v6, v5, 16, 1
	v_add_nc_u32_e32 v5, v5, v6
	s_delay_alu instid0(VALU_DEP_1)
	v_add_nc_u32_e32 v5, 0x7fff, v5
	global_store_d16_hi_b16 v[3:4], v5, off
.LBB31_466:
	s_mov_b32 s8, 0
.LBB31_467:
	s_delay_alu instid0(SALU_CYCLE_1)
	s_and_b32 vcc_lo, exec_lo, s8
	s_mov_b32 s8, 0
	s_cbranch_vccz .LBB31_469
; %bb.468:
	v_cmp_ne_u16_e64 s5, s4, 11
	s_mov_b32 s8, -1
.LBB31_469:
	s_delay_alu instid0(VALU_DEP_1)
	s_and_b32 vcc_lo, exec_lo, s5
	s_mov_b32 s5, s6
	s_cbranch_vccnz .LBB31_522
; %bb.470:
	s_and_not1_b32 vcc_lo, exec_lo, s8
	s_cbranch_vccnz .LBB31_472
.LBB31_471:
	s_cmp_lg_u64 s[2:3], 0
	s_mov_b32 s9, -1
	s_cselect_b32 s8, -1, 0
	s_delay_alu instid0(SALU_CYCLE_1)
	v_cndmask_b32_e64 v5, 0, 1, s8
	global_store_b8 v[3:4], v5, off
.LBB31_472:
	s_mov_b32 s8, 0
.LBB31_473:
	s_delay_alu instid0(SALU_CYCLE_1)
	s_and_b32 vcc_lo, exec_lo, s8
	s_cbranch_vccz .LBB31_512
; %bb.474:
	v_cmp_lt_i16_e64 s8, s4, 5
	s_delay_alu instid0(VALU_DEP_1)
	s_and_b32 vcc_lo, exec_lo, s8
	s_mov_b32 s8, -1
	s_cbranch_vccnz .LBB31_495
; %bb.475:
	v_cmp_lt_i16_e64 s8, s4, 8
	s_delay_alu instid0(VALU_DEP_1)
	s_and_b32 vcc_lo, exec_lo, s8
	s_mov_b32 s8, -1
	s_cbranch_vccnz .LBB31_485
	;; [unrolled: 6-line block ×3, first 2 shown]
; %bb.477:
	v_cmp_gt_i16_e64 s8, s4, 9
	s_delay_alu instid0(VALU_DEP_1)
	s_and_b32 vcc_lo, exec_lo, s8
	s_mov_b32 s8, -1
	s_cbranch_vccz .LBB31_479
; %bb.478:
	v_cvt_f64_i32_e32 v[5:6], s3
	v_cvt_f64_u32_e32 v[7:8], s2
	s_mov_b32 s8, 0
	s_delay_alu instid0(VALU_DEP_2) | instskip(NEXT) | instid1(VALU_DEP_1)
	v_ldexp_f64 v[5:6], v[5:6], 32
	v_add_f64 v[5:6], v[5:6], v[7:8]
	v_mov_b32_e32 v7, 0
	s_delay_alu instid0(VALU_DEP_1)
	v_mov_b32_e32 v8, v7
	global_store_b128 v[3:4], v[5:8], off
.LBB31_479:
	s_and_not1_b32 vcc_lo, exec_lo, s8
	s_cbranch_vccnz .LBB31_481
; %bb.480:
	s_xor_b32 s8, s2, s3
	s_cls_i32 s9, s3
	s_ashr_i32 s8, s8, 31
	s_add_i32 s9, s9, -1
	s_add_i32 s8, s8, 32
	v_mov_b32_e32 v6, 0
	s_min_u32 s10, s9, s8
	s_delay_alu instid0(SALU_CYCLE_1) | instskip(NEXT) | instid1(SALU_CYCLE_1)
	s_lshl_b64 s[8:9], s[2:3], s10
	s_min_u32 s8, s8, 1
	s_delay_alu instid0(SALU_CYCLE_1) | instskip(NEXT) | instid1(SALU_CYCLE_1)
	s_or_b32 s8, s9, s8
	v_cvt_f32_i32_e32 v5, s8
	s_sub_i32 s8, 32, s10
	s_delay_alu instid0(VALU_DEP_1) | instid1(SALU_CYCLE_1)
	v_ldexp_f32 v5, v5, s8
	global_store_b64 v[3:4], v[5:6], off
.LBB31_481:
	s_mov_b32 s8, 0
.LBB31_482:
	s_delay_alu instid0(SALU_CYCLE_1)
	s_and_not1_b32 vcc_lo, exec_lo, s8
	s_cbranch_vccnz .LBB31_484
; %bb.483:
	s_xor_b32 s8, s2, s3
	s_cls_i32 s9, s3
	s_ashr_i32 s8, s8, 31
	s_add_i32 s9, s9, -1
	s_add_i32 s8, s8, 32
	s_delay_alu instid0(SALU_CYCLE_1) | instskip(NEXT) | instid1(SALU_CYCLE_1)
	s_min_u32 s10, s9, s8
	s_lshl_b64 s[8:9], s[2:3], s10
	s_delay_alu instid0(SALU_CYCLE_1) | instskip(NEXT) | instid1(SALU_CYCLE_1)
	s_min_u32 s8, s8, 1
	s_or_b32 s8, s9, s8
	s_delay_alu instid0(SALU_CYCLE_1)
	v_cvt_f32_i32_e32 v5, s8
	s_sub_i32 s8, 32, s10
	s_delay_alu instid0(VALU_DEP_1) | instid1(SALU_CYCLE_1)
	v_ldexp_f32 v5, v5, s8
	s_delay_alu instid0(VALU_DEP_1) | instskip(NEXT) | instid1(VALU_DEP_1)
	v_cvt_f16_f32_e32 v5, v5
	v_and_b32_e32 v5, 0xffff, v5
	global_store_b32 v[3:4], v5, off
.LBB31_484:
	s_mov_b32 s8, 0
.LBB31_485:
	s_delay_alu instid0(SALU_CYCLE_1)
	s_and_not1_b32 vcc_lo, exec_lo, s8
	s_cbranch_vccnz .LBB31_494
; %bb.486:
	v_cmp_lt_i16_e64 s8, s4, 6
	s_delay_alu instid0(VALU_DEP_1)
	s_and_b32 vcc_lo, exec_lo, s8
	s_mov_b32 s8, -1
	s_cbranch_vccnz .LBB31_492
; %bb.487:
	v_cmp_gt_i16_e64 s8, s4, 6
	s_delay_alu instid0(VALU_DEP_1)
	s_and_b32 vcc_lo, exec_lo, s8
	s_mov_b32 s8, -1
	s_cbranch_vccz .LBB31_489
; %bb.488:
	v_cvt_f64_i32_e32 v[5:6], s3
	v_cvt_f64_u32_e32 v[7:8], s2
	s_mov_b32 s8, 0
	s_delay_alu instid0(VALU_DEP_2) | instskip(NEXT) | instid1(VALU_DEP_1)
	v_ldexp_f64 v[5:6], v[5:6], 32
	v_add_f64 v[5:6], v[5:6], v[7:8]
	global_store_b64 v[3:4], v[5:6], off
.LBB31_489:
	s_and_not1_b32 vcc_lo, exec_lo, s8
	s_cbranch_vccnz .LBB31_491
; %bb.490:
	s_xor_b32 s8, s2, s3
	s_cls_i32 s9, s3
	s_ashr_i32 s8, s8, 31
	s_add_i32 s9, s9, -1
	s_add_i32 s8, s8, 32
	s_delay_alu instid0(SALU_CYCLE_1) | instskip(NEXT) | instid1(SALU_CYCLE_1)
	s_min_u32 s10, s9, s8
	s_lshl_b64 s[8:9], s[2:3], s10
	s_delay_alu instid0(SALU_CYCLE_1) | instskip(NEXT) | instid1(SALU_CYCLE_1)
	s_min_u32 s8, s8, 1
	s_or_b32 s8, s9, s8
	s_delay_alu instid0(SALU_CYCLE_1)
	v_cvt_f32_i32_e32 v5, s8
	s_sub_i32 s8, 32, s10
	s_delay_alu instid0(VALU_DEP_1) | instid1(SALU_CYCLE_1)
	v_ldexp_f32 v5, v5, s8
	global_store_b32 v[3:4], v5, off
.LBB31_491:
	s_mov_b32 s8, 0
.LBB31_492:
	s_delay_alu instid0(SALU_CYCLE_1)
	s_and_not1_b32 vcc_lo, exec_lo, s8
	s_cbranch_vccnz .LBB31_494
; %bb.493:
	s_xor_b32 s8, s2, s3
	s_cls_i32 s9, s3
	s_ashr_i32 s8, s8, 31
	s_add_i32 s9, s9, -1
	s_add_i32 s8, s8, 32
	s_delay_alu instid0(SALU_CYCLE_1) | instskip(NEXT) | instid1(SALU_CYCLE_1)
	s_min_u32 s10, s9, s8
	s_lshl_b64 s[8:9], s[2:3], s10
	s_delay_alu instid0(SALU_CYCLE_1) | instskip(NEXT) | instid1(SALU_CYCLE_1)
	s_min_u32 s8, s8, 1
	s_or_b32 s8, s9, s8
	s_delay_alu instid0(SALU_CYCLE_1)
	v_cvt_f32_i32_e32 v5, s8
	s_sub_i32 s8, 32, s10
	s_delay_alu instid0(VALU_DEP_1) | instid1(SALU_CYCLE_1)
	v_ldexp_f32 v5, v5, s8
	s_delay_alu instid0(VALU_DEP_1)
	v_cvt_f16_f32_e32 v5, v5
	global_store_b16 v[3:4], v5, off
.LBB31_494:
	s_mov_b32 s8, 0
.LBB31_495:
	s_delay_alu instid0(SALU_CYCLE_1)
	s_and_not1_b32 vcc_lo, exec_lo, s8
	s_cbranch_vccnz .LBB31_511
; %bb.496:
	v_cmp_lt_i16_e64 s8, s4, 2
	s_delay_alu instid0(VALU_DEP_1)
	s_and_b32 vcc_lo, exec_lo, s8
	s_mov_b32 s8, -1
	s_cbranch_vccnz .LBB31_506
; %bb.497:
	v_cmp_lt_i16_e64 s8, s4, 3
	s_delay_alu instid0(VALU_DEP_1)
	s_and_b32 vcc_lo, exec_lo, s8
	s_mov_b32 s8, -1
	s_cbranch_vccnz .LBB31_503
; %bb.498:
	v_cmp_gt_i16_e64 s8, s4, 3
	s_delay_alu instid0(VALU_DEP_1)
	s_and_b32 vcc_lo, exec_lo, s8
	s_mov_b32 s8, -1
	s_cbranch_vccz .LBB31_500
; %bb.499:
	v_dual_mov_b32 v6, s3 :: v_dual_mov_b32 v5, s2
	s_mov_b32 s8, 0
	global_store_b64 v[3:4], v[5:6], off
.LBB31_500:
	s_and_not1_b32 vcc_lo, exec_lo, s8
	s_cbranch_vccnz .LBB31_502
; %bb.501:
	v_mov_b32_e32 v5, s2
	global_store_b32 v[3:4], v5, off
.LBB31_502:
	s_mov_b32 s8, 0
.LBB31_503:
	s_delay_alu instid0(SALU_CYCLE_1)
	s_and_not1_b32 vcc_lo, exec_lo, s8
	s_cbranch_vccnz .LBB31_505
; %bb.504:
	v_mov_b32_e32 v5, s2
	global_store_b16 v[3:4], v5, off
.LBB31_505:
	s_mov_b32 s8, 0
.LBB31_506:
	s_delay_alu instid0(SALU_CYCLE_1)
	s_and_not1_b32 vcc_lo, exec_lo, s8
	s_cbranch_vccnz .LBB31_511
; %bb.507:
	v_cmp_gt_i16_e64 s8, s4, 0
	s_delay_alu instid0(VALU_DEP_1)
	s_and_b32 vcc_lo, exec_lo, s8
	s_mov_b32 s8, -1
	s_cbranch_vccz .LBB31_509
; %bb.508:
	v_mov_b32_e32 v5, s2
	s_mov_b32 s8, 0
	global_store_b8 v[3:4], v5, off
.LBB31_509:
	s_and_not1_b32 vcc_lo, exec_lo, s8
	s_cbranch_vccnz .LBB31_511
; %bb.510:
	v_mov_b32_e32 v5, s2
	global_store_b8 v[3:4], v5, off
.LBB31_511:
	s_mov_b32 s9, -1
.LBB31_512:
	s_delay_alu instid0(SALU_CYCLE_1)
	s_and_not1_b32 vcc_lo, exec_lo, s9
	s_cbranch_vccnz .LBB31_910
; %bb.513:
	v_cmp_lt_i16_e64 s8, s4, 11
	v_add_co_u32 v2, s9, s0, v2
	s_delay_alu instid0(VALU_DEP_1) | instskip(SKIP_1) | instid1(VALU_DEP_3)
	v_add_co_ci_u32_e64 v3, null, s1, 0, s9
	s_mov_b32 s10, 0
	s_and_b32 vcc_lo, exec_lo, s8
	s_mov_b32 s8, -1
	s_cbranch_vccnz .LBB31_729
; %bb.514:
	v_cmp_gt_i16_e64 s8, s4, 25
	s_mov_b32 s11, -1
	s_mov_b32 s9, 0
	s_delay_alu instid0(VALU_DEP_1)
	s_and_b32 vcc_lo, exec_lo, s8
	s_mov_b32 s8, 0
	s_cbranch_vccz .LBB31_556
; %bb.515:
	v_cmp_gt_i16_e64 s8, s4, 28
	s_delay_alu instid0(VALU_DEP_1)
	s_and_b32 vcc_lo, exec_lo, s8
	s_cbranch_vccz .LBB31_520
; %bb.516:
	v_cmp_gt_i16_e64 s8, s4, 43
	s_delay_alu instid0(VALU_DEP_1)
	s_and_b32 vcc_lo, exec_lo, s8
	s_cbranch_vccz .LBB31_521
; %bb.517:
	v_cmp_gt_i16_e64 s8, s4, 45
	s_delay_alu instid0(VALU_DEP_1)
	s_and_b32 vcc_lo, exec_lo, s8
	s_cbranch_vccz .LBB31_524
; %bb.518:
	v_cmp_eq_u16_e64 s10, s4, 46
	s_mov_b32 s8, -1
	s_mov_b32 s11, 0
	s_delay_alu instid0(VALU_DEP_1)
	s_and_b32 vcc_lo, exec_lo, s10
	s_mov_b32 s10, 0
	s_cbranch_vccz .LBB31_525
; %bb.519:
	s_xor_b32 s8, s2, s3
	s_cls_i32 s10, s3
	s_ashr_i32 s8, s8, 31
	s_add_i32 s10, s10, -1
	s_add_i32 s8, s8, 32
	s_delay_alu instid0(SALU_CYCLE_1) | instskip(NEXT) | instid1(SALU_CYCLE_1)
	s_min_u32 s8, s10, s8
	s_lshl_b64 s[12:13], s[2:3], s8
	s_sub_i32 s8, 32, s8
	s_min_u32 s10, s12, 1
	s_delay_alu instid0(SALU_CYCLE_1) | instskip(NEXT) | instid1(SALU_CYCLE_1)
	s_or_b32 s10, s13, s10
	v_cvt_f32_i32_e32 v4, s10
	s_mov_b32 s10, -1
	s_delay_alu instid0(VALU_DEP_1) | instskip(SKIP_1) | instid1(VALU_DEP_1)
	v_ldexp_f32 v4, v4, s8
	s_mov_b32 s8, 0
	v_bfe_u32 v5, v4, 16, 1
	s_delay_alu instid0(VALU_DEP_1) | instskip(NEXT) | instid1(VALU_DEP_1)
	v_add_nc_u32_e32 v4, v4, v5
	v_add_nc_u32_e32 v4, 0x7fff, v4
	s_delay_alu instid0(VALU_DEP_1)
	v_lshrrev_b32_e32 v4, 16, v4
	global_store_b32 v[2:3], v4, off
	s_branch .LBB31_525
.LBB31_520:
	s_mov_b32 s8, 0
	s_branch .LBB31_535
.LBB31_521:
	s_mov_b32 s8, 0
	s_branch .LBB31_531
.LBB31_522:
	s_cbranch_execnz .LBB31_546
; %bb.523:
	s_or_b32 s5, s6, exec_lo
	s_cbranch_execz .LBB31_471
	s_branch .LBB31_472
.LBB31_524:
	s_mov_b32 s8, 0
.LBB31_525:
	s_and_b32 vcc_lo, exec_lo, s11
	s_cbranch_vccz .LBB31_530
; %bb.526:
	v_cmp_eq_u16_e64 s8, s4, 44
	s_delay_alu instid0(VALU_DEP_1)
	s_and_b32 vcc_lo, exec_lo, s8
	s_mov_b32 s8, -1
	s_cbranch_vccz .LBB31_530
; %bb.527:
	s_xor_b32 s8, s2, s3
	s_cls_i32 s10, s3
	s_ashr_i32 s8, s8, 31
	s_add_i32 s10, s10, -1
	s_add_i32 s8, s8, 32
	v_mov_b32_e32 v5, 0xff
	s_min_u32 s8, s10, s8
	s_delay_alu instid0(SALU_CYCLE_1) | instskip(SKIP_2) | instid1(SALU_CYCLE_1)
	s_lshl_b64 s[10:11], s[2:3], s8
	s_sub_i32 s8, 32, s8
	s_min_u32 s10, s10, 1
	s_or_b32 s10, s11, s10
	s_delay_alu instid0(SALU_CYCLE_1) | instskip(SKIP_1) | instid1(VALU_DEP_1)
	v_cvt_f32_i32_e32 v4, s10
	s_mov_b32 s10, -1
	v_ldexp_f32 v4, v4, s8
	s_delay_alu instid0(VALU_DEP_1) | instskip(NEXT) | instid1(VALU_DEP_1)
	v_readfirstlane_b32 s8, v4
	s_bfe_u32 s11, s8, 0x80017
	s_delay_alu instid0(SALU_CYCLE_1)
	s_cmpk_eq_i32 s11, 0xff
	s_cbranch_scc1 .LBB31_529
; %bb.528:
	s_bitcmp1_b32 s8, 22
	v_lshrrev_b32_e32 v4, 23, v4
	s_cselect_b32 s12, -1, 0
	s_and_b32 s8, s8, 0x3fffff
	s_delay_alu instid0(SALU_CYCLE_1) | instskip(NEXT) | instid1(SALU_CYCLE_1)
	s_or_b32 s8, s11, s8
	s_cmp_lg_u32 s8, 0
	s_cselect_b32 s8, -1, 0
	s_delay_alu instid0(SALU_CYCLE_1) | instskip(NEXT) | instid1(SALU_CYCLE_1)
	s_and_b32 s8, s12, s8
	v_cndmask_b32_e64 v5, 0, 1, s8
	s_delay_alu instid0(VALU_DEP_1)
	v_add_nc_u32_e32 v5, v4, v5
.LBB31_529:
	s_mov_b32 s8, 0
	global_store_b8 v[2:3], v5, off
.LBB31_530:
	s_mov_b32 s11, 0
.LBB31_531:
	s_delay_alu instid0(SALU_CYCLE_1)
	s_and_b32 vcc_lo, exec_lo, s11
	s_cbranch_vccz .LBB31_534
; %bb.532:
	v_cmp_eq_u16_e64 s8, s4, 29
	s_delay_alu instid0(VALU_DEP_1)
	s_and_b32 vcc_lo, exec_lo, s8
	s_mov_b32 s8, -1
	s_cbranch_vccz .LBB31_534
; %bb.533:
	v_dual_mov_b32 v5, s3 :: v_dual_mov_b32 v4, s2
	s_mov_b32 s8, 0
	s_mov_b32 s10, -1
	s_mov_b32 s11, 0
	global_store_b64 v[2:3], v[4:5], off
	s_branch .LBB31_535
.LBB31_534:
	s_mov_b32 s11, 0
.LBB31_535:
	s_delay_alu instid0(SALU_CYCLE_1)
	s_and_b32 vcc_lo, exec_lo, s11
	s_cbranch_vccz .LBB31_555
; %bb.536:
	v_cmp_lt_i16_e64 s10, s4, 27
	s_delay_alu instid0(VALU_DEP_1)
	s_and_b32 vcc_lo, exec_lo, s10
	s_mov_b32 s10, -1
	s_cbranch_vccnz .LBB31_542
; %bb.537:
	v_cmp_gt_i16_e64 s10, s4, 27
	s_delay_alu instid0(VALU_DEP_1)
	s_and_b32 vcc_lo, exec_lo, s10
	s_mov_b32 s10, -1
	s_cbranch_vccz .LBB31_539
; %bb.538:
	v_mov_b32_e32 v4, s2
	s_mov_b32 s10, 0
	global_store_b32 v[2:3], v4, off
.LBB31_539:
	s_and_not1_b32 vcc_lo, exec_lo, s10
	s_cbranch_vccnz .LBB31_541
; %bb.540:
	v_mov_b32_e32 v4, s2
	global_store_b16 v[2:3], v4, off
.LBB31_541:
	s_mov_b32 s10, 0
.LBB31_542:
	s_delay_alu instid0(SALU_CYCLE_1)
	s_and_not1_b32 vcc_lo, exec_lo, s10
	s_cbranch_vccnz .LBB31_554
; %bb.543:
	s_xor_b32 s10, s2, s3
	s_cls_i32 s11, s3
	s_ashr_i32 s10, s10, 31
	s_add_i32 s11, s11, -1
	s_add_i32 s10, s10, 32
	v_mov_b32_e32 v5, 0x80
	s_min_u32 s12, s11, s10
	s_delay_alu instid0(SALU_CYCLE_1) | instskip(NEXT) | instid1(SALU_CYCLE_1)
	s_lshl_b64 s[10:11], s[2:3], s12
	s_min_u32 s10, s10, 1
	s_delay_alu instid0(SALU_CYCLE_1) | instskip(NEXT) | instid1(SALU_CYCLE_1)
	s_or_b32 s10, s11, s10
	v_cvt_f32_i32_e32 v4, s10
	s_sub_i32 s10, 32, s12
	s_mov_b32 s12, -1
	s_delay_alu instid0(VALU_DEP_1) | instskip(NEXT) | instid1(VALU_DEP_1)
	v_ldexp_f32 v4, v4, s10
	v_readfirstlane_b32 s10, v4
	s_delay_alu instid0(VALU_DEP_1) | instskip(NEXT) | instid1(SALU_CYCLE_1)
	s_and_b32 s11, s10, 0x7fffffff
	s_cmp_gt_u32 s11, 0x437fffff
	s_cbranch_scc1 .LBB31_553
; %bb.544:
	s_cmp_gt_u32 s11, 0x3bffffff
	s_cbranch_scc0 .LBB31_548
; %bb.545:
	s_bfe_u32 s11, s10, 0x10014
	s_mov_b32 s12, 0
	s_add_i32 s11, s10, s11
	s_delay_alu instid0(SALU_CYCLE_1) | instskip(NEXT) | instid1(SALU_CYCLE_1)
	s_add_i32 s11, s11, 0x487ffff
	s_lshr_b32 s13, s11, 20
	s_mov_b32 s11, -1
	s_branch .LBB31_549
.LBB31_546:
	s_trap 2
	s_sendmsg_rtn_b32 s0, sendmsg(MSG_RTN_GET_DOORBELL)
	s_mov_b32 ttmp2, m0
	s_waitcnt lgkmcnt(0)
	s_and_b32 s0, s0, 0x3ff
	s_delay_alu instid0(SALU_CYCLE_1) | instskip(NEXT) | instid1(SALU_CYCLE_1)
	s_bitset1_b32 s0, 10
	s_mov_b32 m0, s0
	s_sendmsg sendmsg(MSG_INTERRUPT)
	s_mov_b32 m0, ttmp2
.LBB31_547:                             ; =>This Inner Loop Header: Depth=1
	s_sethalt 5
	s_branch .LBB31_547
.LBB31_548:
	s_mov_b32 s11, 0
                                        ; implicit-def: $sgpr13
.LBB31_549:
	v_mov_b32_e32 v4, s13
	s_and_not1_b32 vcc_lo, exec_lo, s12
                                        ; implicit-def: $sgpr12
	s_cbranch_vccnz .LBB31_551
; %bb.550:
	v_add_f32_e64 v4, 0x46000000, |s10|
	s_mov_b32 s12, 0
	s_delay_alu instid0(VALU_DEP_1) | instskip(NEXT) | instid1(VALU_DEP_1)
	v_and_b32_e32 v4, 0xff, v4
	v_cmp_ne_u32_e64 s11, 0, v4
.LBB31_551:
	v_mov_b32_e32 v5, s12
	s_delay_alu instid0(VALU_DEP_2)
	s_and_not1_b32 vcc_lo, exec_lo, s11
	s_cbranch_vccnz .LBB31_553
; %bb.552:
	s_lshr_b32 s10, s10, 24
	s_delay_alu instid0(SALU_CYCLE_1) | instskip(NEXT) | instid1(SALU_CYCLE_1)
	s_and_b32 s10, s10, 0x80
	v_or_b32_e32 v5, s10, v4
.LBB31_553:
	global_store_b8 v[2:3], v5, off
.LBB31_554:
	s_mov_b32 s10, -1
.LBB31_555:
	s_mov_b32 s11, 0
.LBB31_556:
	s_delay_alu instid0(SALU_CYCLE_1)
	s_and_b32 vcc_lo, exec_lo, s11
	s_cbranch_vccz .LBB31_725
; %bb.557:
	v_cmp_gt_i16_e64 s9, s4, 22
	s_delay_alu instid0(VALU_DEP_1)
	s_and_b32 vcc_lo, exec_lo, s9
	s_mov_b32 s9, -1
	s_cbranch_vccz .LBB31_718
; %bb.558:
	v_cmp_lt_i16_e64 s9, s4, 24
	s_delay_alu instid0(VALU_DEP_1)
	s_and_b32 vcc_lo, exec_lo, s9
	s_mov_b32 s9, -1
	s_cbranch_vccnz .LBB31_705
; %bb.559:
	v_cmp_gt_i16_e64 s9, s4, 24
	s_delay_alu instid0(VALU_DEP_1)
	s_and_b32 vcc_lo, exec_lo, s9
	s_mov_b32 s9, -1
	s_cbranch_vccz .LBB31_692
; %bb.560:
	s_xor_b32 s9, s2, s3
	s_cls_i32 s10, s3
	s_ashr_i32 s9, s9, 31
	s_add_i32 s10, s10, -1
	s_add_i32 s9, s9, 32
	v_mov_b32_e32 v5, 0x80
	s_min_u32 s9, s10, s9
	s_delay_alu instid0(SALU_CYCLE_1) | instskip(SKIP_2) | instid1(SALU_CYCLE_1)
	s_lshl_b64 s[10:11], s[2:3], s9
	s_sub_i32 s9, 32, s9
	s_min_u32 s10, s10, 1
	s_or_b32 s10, s11, s10
	s_mov_b32 s11, -1
	v_cvt_f32_i32_e32 v4, s10
	s_delay_alu instid0(VALU_DEP_1) | instskip(NEXT) | instid1(VALU_DEP_1)
	v_ldexp_f32 v4, v4, s9
	v_readfirstlane_b32 s9, v4
	s_delay_alu instid0(VALU_DEP_1) | instskip(NEXT) | instid1(SALU_CYCLE_1)
	s_and_b32 s10, s9, 0x7fffffff
	s_cmp_gt_u32 s10, 0x477fffff
	s_cbranch_scc1 .LBB31_691
; %bb.561:
	s_cmp_gt_u32 s10, 0x37ffffff
	s_cbranch_scc0 .LBB31_686
; %bb.562:
	s_bfe_u32 s10, s9, 0x10015
	s_mov_b32 s11, 0
	s_add_i32 s10, s9, s10
	s_delay_alu instid0(SALU_CYCLE_1) | instskip(NEXT) | instid1(SALU_CYCLE_1)
	s_add_i32 s10, s10, 0x88fffff
	s_lshr_b32 s12, s10, 21
	s_mov_b32 s10, -1
	s_branch .LBB31_687
.LBB31_563:
	s_mov_b32 s18, s52
.LBB31_564:
	s_and_b32 vcc_lo, exec_lo, s20
	s_cbranch_vccz .LBB31_567
; %bb.565:
	v_cmp_eq_u16_e32 vcc_lo, 44, v17
	s_mov_b32 s18, -1
	s_cbranch_vccz .LBB31_567
; %bb.566:
	v_cndmask_b32_e64 v2, v16, 0xff, s2
	s_mov_b32 s19, -1
	s_mov_b32 s18, 0
	global_store_b8 v[6:7], v2, off
.LBB31_567:
	s_mov_b32 s20, 0
.LBB31_568:
	s_delay_alu instid0(SALU_CYCLE_1)
	s_and_b32 vcc_lo, exec_lo, s20
	s_cbranch_vccz .LBB31_571
; %bb.569:
	v_cmp_eq_u16_e32 vcc_lo, 29, v17
	s_mov_b32 s18, -1
	s_cbranch_vccz .LBB31_571
; %bb.570:
	v_dual_mov_b32 v2, s6 :: v_dual_mov_b32 v3, s7
	s_mov_b32 s19, -1
	s_mov_b32 s18, 0
	s_mov_b32 s20, 0
	global_store_b64 v[6:7], v[2:3], off
	s_branch .LBB31_572
.LBB31_571:
	s_mov_b32 s20, 0
.LBB31_572:
	s_delay_alu instid0(SALU_CYCLE_1)
	s_and_b32 vcc_lo, exec_lo, s20
	s_cbranch_vccz .LBB31_585
; %bb.573:
	v_cmp_gt_i16_e32 vcc_lo, 27, v17
	s_mov_b32 s19, -1
	s_cbranch_vccnz .LBB31_579
; %bb.574:
	v_cmp_lt_i16_e32 vcc_lo, 27, v17
	s_cbranch_vccz .LBB31_576
; %bb.575:
	v_mov_b32_e32 v2, s6
	s_mov_b32 s19, 0
	global_store_b32 v[6:7], v2, off
.LBB31_576:
	s_and_not1_b32 vcc_lo, exec_lo, s19
	s_cbranch_vccnz .LBB31_578
; %bb.577:
	v_mov_b32_e32 v2, s6
	global_store_b16 v[6:7], v2, off
.LBB31_578:
	s_mov_b32 s19, 0
.LBB31_579:
	s_delay_alu instid0(SALU_CYCLE_1)
	s_and_not1_b32 vcc_lo, exec_lo, s19
	s_cbranch_vccnz .LBB31_584
; %bb.580:
	v_mov_b32_e32 v2, 0x80
	s_and_not1_b32 vcc_lo, exec_lo, s43
	s_cbranch_vccnz .LBB31_583
; %bb.581:
	v_mov_b32_e32 v2, 0
	s_or_b32 s19, s41, s44
	s_delay_alu instid0(SALU_CYCLE_1)
	s_and_not1_b32 vcc_lo, exec_lo, s19
	s_cbranch_vccnz .LBB31_583
; %bb.582:
	v_cndmask_b32_e64 v2, v15, s42, s41
	s_delay_alu instid0(VALU_DEP_1)
	v_or_b32_e32 v2, v2, v13
.LBB31_583:
	global_store_b8 v[6:7], v2, off
.LBB31_584:
	s_mov_b32 s19, -1
.LBB31_585:
	s_mov_b32 s20, 0
.LBB31_586:
	s_delay_alu instid0(SALU_CYCLE_1)
	s_and_b32 vcc_lo, exec_lo, s20
	s_cbranch_vccz .LBB31_608
; %bb.587:
	v_cmp_lt_i16_e32 vcc_lo, 22, v17
	s_mov_b32 s20, -1
	s_cbranch_vccz .LBB31_600
; %bb.588:
	v_cmp_gt_i16_e32 vcc_lo, 24, v17
	s_mov_b32 s19, -1
	s_cbranch_vccnz .LBB31_597
; %bb.589:
	v_cmp_lt_i16_e32 vcc_lo, 24, v17
	s_cbranch_vccz .LBB31_594
; %bb.590:
	v_mov_b32_e32 v2, 0x80
	s_and_not1_b32 vcc_lo, exec_lo, s37
	s_cbranch_vccnz .LBB31_593
; %bb.591:
	v_mov_b32_e32 v2, 0
	s_or_b32 s19, s33, s40
	s_delay_alu instid0(SALU_CYCLE_1)
	s_and_not1_b32 vcc_lo, exec_lo, s19
	s_cbranch_vccnz .LBB31_593
; %bb.592:
	v_cndmask_b32_e64 v2, v14, s36, s33
	s_delay_alu instid0(VALU_DEP_1)
	v_or_b32_e32 v2, v2, v13
.LBB31_593:
	s_mov_b32 s19, 0
	global_store_b8 v[6:7], v2, off
.LBB31_594:
	s_and_b32 vcc_lo, exec_lo, s19
	s_cbranch_vccz .LBB31_596
; %bb.595:
	s_and_b32 s19, s30, exec_lo
	s_cselect_b32 s19, s39, s35
	s_and_b32 s20, s29, exec_lo
	s_cselect_b32 s19, s38, s19
	s_delay_alu instid0(SALU_CYCLE_1)
	v_or_b32_e32 v2, s19, v13
	global_store_b8 v[6:7], v2, off
.LBB31_596:
	s_mov_b32 s19, 0
.LBB31_597:
	s_delay_alu instid0(SALU_CYCLE_1)
	s_and_not1_b32 vcc_lo, exec_lo, s19
	s_cbranch_vccnz .LBB31_599
; %bb.598:
	s_and_b32 s19, s27, exec_lo
	s_cselect_b32 s19, s34, s28
	s_and_b32 s20, s26, exec_lo
	s_cselect_b32 s19, s31, s19
	s_delay_alu instid0(SALU_CYCLE_1)
	v_or_b32_e32 v2, s19, v13
	global_store_b8 v[6:7], v2, off
.LBB31_599:
	s_mov_b32 s20, 0
	s_mov_b32 s19, -1
.LBB31_600:
	s_and_not1_b32 vcc_lo, exec_lo, s20
	s_cbranch_vccnz .LBB31_608
; %bb.601:
	v_cmp_lt_i16_e32 vcc_lo, 14, v17
	s_mov_b32 s20, -1
	s_cbranch_vccz .LBB31_605
; %bb.602:
	v_cmp_eq_u16_e32 vcc_lo, 15, v17
	s_mov_b32 s18, -1
	s_cbranch_vccz .LBB31_604
; %bb.603:
	s_mov_b32 s19, -1
	s_mov_b32 s18, 0
	global_store_b16 v[6:7], v12, off
.LBB31_604:
	s_mov_b32 s20, 0
.LBB31_605:
	s_delay_alu instid0(SALU_CYCLE_1)
	s_and_b32 vcc_lo, exec_lo, s20
	s_cbranch_vccz .LBB31_608
; %bb.606:
	v_cmp_eq_u16_e32 vcc_lo, 11, v17
	s_mov_b32 s18, -1
	s_cbranch_vccz .LBB31_608
; %bb.607:
	s_mov_b32 s19, -1
	s_mov_b32 s18, 0
	global_store_b8 v[6:7], v11, off
.LBB31_608:
.LBB31_609:
	s_and_not1_b32 vcc_lo, exec_lo, s19
	s_cbranch_vccnz .LBB31_426
.LBB31_610:
	v_add_nc_u32_e32 v8, 0x80, v8
	s_mov_b32 s19, -1
.LBB31_611:
	s_and_not1_b32 s20, s52, exec_lo
	s_and_b32 s18, s18, exec_lo
	s_or_not1_b32 s55, s19, exec_lo
	s_or_b32 s20, s20, s18
.LBB31_612:
	s_or_b32 exec_lo, exec_lo, s54
	s_mov_b32 s18, 0
	s_mov_b32 s19, 0
                                        ; implicit-def: $vgpr17
                                        ; implicit-def: $vgpr6_vgpr7
	s_and_saveexec_b32 s21, s55
	s_cbranch_execz .LBB31_680
; %bb.613:
	v_cmp_gt_i32_e32 vcc_lo, s47, v8
	s_mov_b32 s54, s20
                                        ; implicit-def: $vgpr17
                                        ; implicit-def: $vgpr6_vgpr7
	s_and_saveexec_b32 s47, vcc_lo
	s_cbranch_execz .LBB31_679
; %bb.614:
	s_and_not1_b32 vcc_lo, exec_lo, s25
	s_cbranch_vccnz .LBB31_619
; %bb.615:
	v_mov_b32_e32 v2, 0
	s_and_not1_b32 vcc_lo, exec_lo, s49
	s_cbranch_vccnz .LBB31_624
; %bb.616:
	s_add_i32 s49, s48, 1
	s_cmp_eq_u32 s23, 2
	s_mov_b32 s48, 0
	s_cbranch_scc1 .LBB31_620
; %bb.617:
	v_dual_mov_b32 v2, 0 :: v_dual_mov_b32 v3, v8
	s_and_b32 s48, s49, 28
	s_mov_b32 s54, 0
	s_mov_b64 s[18:19], s[0:1]
.LBB31_618:                             ; =>This Inner Loop Header: Depth=1
	s_clause 0x1
	s_load_b256 s[56:63], s[18:19], 0x4
	s_load_b128 s[64:67], s[18:19], 0x24
	s_load_b128 s[68:71], s[12:13], 0x0
	s_add_u32 s18, s18, 48
	s_addc_u32 s19, s19, 0
	s_add_i32 s54, s54, 4
	s_add_u32 s12, s12, 16
	s_addc_u32 s13, s13, 0
	s_cmp_eq_u32 s48, s54
	s_waitcnt lgkmcnt(0)
	v_mul_hi_u32 v5, s57, v3
	s_delay_alu instid0(VALU_DEP_1) | instskip(NEXT) | instid1(VALU_DEP_1)
	v_add_nc_u32_e32 v5, v3, v5
	v_lshrrev_b32_e32 v5, s58, v5
	s_delay_alu instid0(VALU_DEP_1) | instskip(SKIP_1) | instid1(VALU_DEP_2)
	v_mul_hi_u32 v6, s60, v5
	v_mul_lo_u32 v18, v5, s56
	v_add_nc_u32_e32 v6, v5, v6
	s_delay_alu instid0(VALU_DEP_2) | instskip(NEXT) | instid1(VALU_DEP_2)
	v_sub_nc_u32_e32 v18, v3, v18
	v_lshrrev_b32_e32 v6, s61, v6
	s_delay_alu instid0(VALU_DEP_2) | instskip(NEXT) | instid1(VALU_DEP_2)
	v_mul_lo_u32 v18, v18, s68
	v_mul_hi_u32 v7, s63, v6
	v_mul_lo_u32 v19, v6, s59
	s_delay_alu instid0(VALU_DEP_2) | instskip(NEXT) | instid1(VALU_DEP_2)
	v_add_nc_u32_e32 v7, v6, v7
	v_sub_nc_u32_e32 v5, v5, v19
	s_delay_alu instid0(VALU_DEP_2) | instskip(NEXT) | instid1(VALU_DEP_2)
	v_lshrrev_b32_e32 v7, s64, v7
	v_mul_lo_u32 v5, v5, s69
	s_delay_alu instid0(VALU_DEP_2) | instskip(NEXT) | instid1(VALU_DEP_2)
	v_mul_hi_u32 v17, s66, v7
	v_add3_u32 v2, v18, v2, v5
	s_delay_alu instid0(VALU_DEP_2) | instskip(NEXT) | instid1(VALU_DEP_1)
	v_add_nc_u32_e32 v17, v7, v17
	v_lshrrev_b32_e32 v3, s67, v17
	v_mul_lo_u32 v17, v7, s62
	s_delay_alu instid0(VALU_DEP_2) | instskip(NEXT) | instid1(VALU_DEP_2)
	v_mul_lo_u32 v20, v3, s65
	v_sub_nc_u32_e32 v6, v6, v17
	s_delay_alu instid0(VALU_DEP_2) | instskip(NEXT) | instid1(VALU_DEP_2)
	v_sub_nc_u32_e32 v7, v7, v20
	v_mul_lo_u32 v6, v6, s70
	s_delay_alu instid0(VALU_DEP_2) | instskip(NEXT) | instid1(VALU_DEP_1)
	v_mul_lo_u32 v7, v7, s71
	v_add3_u32 v2, v6, v2, v7
	s_cbranch_scc0 .LBB31_618
	s_branch .LBB31_621
.LBB31_619:
	s_mov_b32 s12, -1
                                        ; implicit-def: $vgpr2
	s_branch .LBB31_625
.LBB31_620:
	v_mov_b32_e32 v3, v8
.LBB31_621:
	s_and_b32 s49, s49, 3
	s_delay_alu instid0(SALU_CYCLE_1)
	s_cmp_eq_u32 s49, 0
	s_cbranch_scc1 .LBB31_624
; %bb.622:
	s_lshl_b32 s12, s48, 2
	s_mul_i32 s18, s48, 12
	s_add_u32 s12, s12, s0
	s_addc_u32 s13, s1, 0
	s_add_u32 s12, s12, 0xc4
	s_addc_u32 s13, s13, 0
	;; [unrolled: 2-line block ×3, first 2 shown]
.LBB31_623:                             ; =>This Inner Loop Header: Depth=1
	s_clause 0x1
	s_load_b64 s[54:55], s[18:19], 0x4
	s_load_b32 s48, s[18:19], 0xc
	s_add_u32 s18, s18, 12
	s_addc_u32 s19, s19, 0
	s_waitcnt lgkmcnt(0)
	v_mul_hi_u32 v5, s55, v3
	s_load_b32 s55, s[12:13], 0x0
	s_add_u32 s12, s12, 4
	s_addc_u32 s13, s13, 0
	s_add_i32 s49, s49, -1
	s_delay_alu instid0(SALU_CYCLE_1) | instskip(NEXT) | instid1(VALU_DEP_1)
	s_cmp_lg_u32 s49, 0
	v_add_nc_u32_e32 v5, v3, v5
	s_delay_alu instid0(VALU_DEP_1) | instskip(NEXT) | instid1(VALU_DEP_1)
	v_lshrrev_b32_e32 v7, s48, v5
	v_mul_lo_u32 v5, v7, s54
	s_delay_alu instid0(VALU_DEP_1) | instskip(SKIP_1) | instid1(VALU_DEP_1)
	v_sub_nc_u32_e32 v3, v3, v5
	s_waitcnt lgkmcnt(0)
	v_mad_u64_u32 v[5:6], null, v3, s55, v[2:3]
	s_delay_alu instid0(VALU_DEP_1)
	v_dual_mov_b32 v3, v7 :: v_dual_mov_b32 v2, v5
	s_cbranch_scc1 .LBB31_623
.LBB31_624:
	s_mov_b32 s12, 0
.LBB31_625:
	s_delay_alu instid0(SALU_CYCLE_1)
	s_and_not1_b32 vcc_lo, exec_lo, s12
	s_cbranch_vccnz .LBB31_628
; %bb.626:
	s_waitcnt lgkmcnt(0)
	v_mul_hi_u32 v2, s9, v8
	s_and_not1_b32 vcc_lo, exec_lo, s45
	s_delay_alu instid0(VALU_DEP_1) | instskip(NEXT) | instid1(VALU_DEP_1)
	v_add_nc_u32_e32 v2, v8, v2
	v_lshrrev_b32_e32 v3, s10, v2
	s_delay_alu instid0(VALU_DEP_1) | instskip(NEXT) | instid1(VALU_DEP_1)
	v_mul_lo_u32 v2, v3, s8
	v_sub_nc_u32_e32 v2, v8, v2
	s_delay_alu instid0(VALU_DEP_1)
	v_mul_lo_u32 v2, v2, s14
	s_cbranch_vccnz .LBB31_628
; %bb.627:
	v_mul_hi_u32 v5, s16, v3
	s_delay_alu instid0(VALU_DEP_1) | instskip(NEXT) | instid1(VALU_DEP_1)
	v_add_nc_u32_e32 v5, v3, v5
	v_lshrrev_b32_e32 v5, s17, v5
	s_delay_alu instid0(VALU_DEP_1) | instskip(NEXT) | instid1(VALU_DEP_1)
	v_mul_lo_u32 v5, v5, s11
	v_sub_nc_u32_e32 v3, v3, v5
	s_delay_alu instid0(VALU_DEP_1) | instskip(NEXT) | instid1(VALU_DEP_1)
	v_mad_u64_u32 v[5:6], null, v3, s15, v[2:3]
	v_mov_b32_e32 v2, v5
.LBB31_628:
	v_and_b32_e64 v17, 0xff, s46
	s_delay_alu instid0(VALU_DEP_2) | instskip(NEXT) | instid1(VALU_DEP_1)
	v_add_co_u32 v6, s4, s4, v2
	v_add_co_ci_u32_e64 v7, null, s5, 0, s4
	s_delay_alu instid0(VALU_DEP_3)
	v_cmp_gt_i16_e32 vcc_lo, 11, v17
	s_waitcnt lgkmcnt(0)
	s_mov_b32 s8, 0
	s_mov_b32 s5, -1
	s_mov_b32 s4, s20
	s_cbranch_vccnz .LBB31_678
; %bb.629:
	v_cmp_lt_i16_e32 vcc_lo, 25, v17
	s_mov_b32 s4, s20
	s_cbranch_vccz .LBB31_657
; %bb.630:
	v_cmp_lt_i16_e32 vcc_lo, 28, v17
	s_mov_b32 s4, s20
	s_cbranch_vccz .LBB31_644
; %bb.631:
	v_cmp_lt_i16_e32 vcc_lo, 43, v17
	s_mov_b32 s4, s20
	s_cbranch_vccz .LBB31_640
; %bb.632:
	v_cmp_lt_i16_e32 vcc_lo, 45, v17
	s_mov_b32 s4, s20
	s_cbranch_vccz .LBB31_636
; %bb.633:
	v_cmp_eq_u16_e32 vcc_lo, 46, v17
	s_mov_b32 s4, -1
	s_cbranch_vccz .LBB31_635
; %bb.634:
	s_mov_b32 s4, 0
	global_store_b32 v[6:7], v12, off
.LBB31_635:
	s_mov_b32 s5, 0
.LBB31_636:
	s_delay_alu instid0(SALU_CYCLE_1)
	s_and_b32 vcc_lo, exec_lo, s5
	s_cbranch_vccz .LBB31_639
; %bb.637:
	v_cmp_eq_u16_e32 vcc_lo, 44, v17
	s_mov_b32 s4, -1
	s_cbranch_vccz .LBB31_639
; %bb.638:
	v_cndmask_b32_e64 v2, v16, 0xff, s2
	s_mov_b32 s4, 0
	global_store_b8 v[6:7], v2, off
.LBB31_639:
	s_mov_b32 s5, 0
.LBB31_640:
	s_delay_alu instid0(SALU_CYCLE_1)
	s_and_b32 vcc_lo, exec_lo, s5
	s_cbranch_vccz .LBB31_643
; %bb.641:
	v_cmp_eq_u16_e32 vcc_lo, 29, v17
	s_mov_b32 s4, -1
	s_cbranch_vccz .LBB31_643
; %bb.642:
	v_dual_mov_b32 v2, s6 :: v_dual_mov_b32 v3, s7
	s_mov_b32 s4, 0
	global_store_b64 v[6:7], v[2:3], off
.LBB31_643:
	s_mov_b32 s5, 0
.LBB31_644:
	s_delay_alu instid0(SALU_CYCLE_1)
	s_and_b32 vcc_lo, exec_lo, s5
	s_cbranch_vccz .LBB31_656
; %bb.645:
	v_cmp_gt_i16_e32 vcc_lo, 27, v17
	s_mov_b32 s2, -1
	s_cbranch_vccnz .LBB31_651
; %bb.646:
	v_cmp_lt_i16_e32 vcc_lo, 27, v17
	s_cbranch_vccz .LBB31_648
; %bb.647:
	v_mov_b32_e32 v2, s6
	s_mov_b32 s2, 0
	global_store_b32 v[6:7], v2, off
.LBB31_648:
	s_and_not1_b32 vcc_lo, exec_lo, s2
	s_cbranch_vccnz .LBB31_650
; %bb.649:
	v_mov_b32_e32 v2, s6
	global_store_b16 v[6:7], v2, off
.LBB31_650:
	s_mov_b32 s2, 0
.LBB31_651:
	s_delay_alu instid0(SALU_CYCLE_1)
	s_and_not1_b32 vcc_lo, exec_lo, s2
	s_cbranch_vccnz .LBB31_656
; %bb.652:
	v_mov_b32_e32 v2, 0x80
	s_and_not1_b32 vcc_lo, exec_lo, s43
	s_cbranch_vccnz .LBB31_655
; %bb.653:
	v_mov_b32_e32 v2, 0
	s_or_b32 s2, s41, s44
	s_delay_alu instid0(SALU_CYCLE_1)
	s_and_not1_b32 vcc_lo, exec_lo, s2
	s_cbranch_vccnz .LBB31_655
; %bb.654:
	v_cndmask_b32_e64 v2, v15, s42, s41
	s_delay_alu instid0(VALU_DEP_1)
	v_or_b32_e32 v2, v2, v13
.LBB31_655:
	global_store_b8 v[6:7], v2, off
.LBB31_656:
	s_mov_b32 s5, 0
.LBB31_657:
	s_delay_alu instid0(SALU_CYCLE_1)
	s_and_b32 vcc_lo, exec_lo, s5
	s_mov_b32 s5, 0
	s_cbranch_vccz .LBB31_678
; %bb.658:
	v_cmp_lt_i16_e32 vcc_lo, 22, v17
	s_mov_b32 s2, -1
	s_cbranch_vccz .LBB31_671
; %bb.659:
	v_cmp_gt_i16_e32 vcc_lo, 24, v17
	s_cbranch_vccnz .LBB31_668
; %bb.660:
	v_cmp_lt_i16_e32 vcc_lo, 24, v17
	s_cbranch_vccz .LBB31_665
; %bb.661:
	v_mov_b32_e32 v2, 0x80
	s_and_not1_b32 vcc_lo, exec_lo, s37
	s_cbranch_vccnz .LBB31_664
; %bb.662:
	v_mov_b32_e32 v2, 0
	s_or_b32 s2, s33, s40
	s_delay_alu instid0(SALU_CYCLE_1)
	s_and_not1_b32 vcc_lo, exec_lo, s2
	s_cbranch_vccnz .LBB31_664
; %bb.663:
	v_cndmask_b32_e64 v2, v14, s36, s33
	s_delay_alu instid0(VALU_DEP_1)
	v_or_b32_e32 v2, v2, v13
.LBB31_664:
	s_mov_b32 s2, 0
	global_store_b8 v[6:7], v2, off
.LBB31_665:
	s_and_b32 vcc_lo, exec_lo, s2
	s_cbranch_vccz .LBB31_667
; %bb.666:
	s_and_b32 s2, s30, exec_lo
	s_cselect_b32 s2, s39, s35
	s_and_b32 s8, s29, exec_lo
	s_cselect_b32 s2, s38, s2
	s_delay_alu instid0(SALU_CYCLE_1)
	v_or_b32_e32 v2, s2, v13
	global_store_b8 v[6:7], v2, off
.LBB31_667:
	s_mov_b32 s2, 0
.LBB31_668:
	s_delay_alu instid0(SALU_CYCLE_1)
	s_and_not1_b32 vcc_lo, exec_lo, s2
	s_cbranch_vccnz .LBB31_670
; %bb.669:
	s_and_b32 s2, s27, exec_lo
	s_cselect_b32 s2, s34, s28
	s_and_b32 s8, s26, exec_lo
	s_cselect_b32 s2, s31, s2
	s_delay_alu instid0(SALU_CYCLE_1)
	v_or_b32_e32 v2, s2, v13
	global_store_b8 v[6:7], v2, off
.LBB31_670:
	s_mov_b32 s2, 0
.LBB31_671:
	s_delay_alu instid0(SALU_CYCLE_1)
	s_and_not1_b32 vcc_lo, exec_lo, s2
	s_mov_b32 s8, 0
	s_cbranch_vccnz .LBB31_678
; %bb.672:
	v_cmp_lt_i16_e32 vcc_lo, 14, v17
	s_mov_b32 s2, -1
	s_cbranch_vccz .LBB31_676
; %bb.673:
	v_cmp_eq_u16_e32 vcc_lo, 15, v17
	s_mov_b32 s4, -1
	s_cbranch_vccz .LBB31_675
; %bb.674:
	s_mov_b32 s4, 0
	global_store_b16 v[6:7], v12, off
.LBB31_675:
	s_mov_b32 s2, 0
.LBB31_676:
	s_delay_alu instid0(SALU_CYCLE_1)
	s_and_b32 vcc_lo, exec_lo, s2
	s_cbranch_vccz .LBB31_678
; %bb.677:
	v_cmp_ne_u16_e32 vcc_lo, 11, v17
	s_and_not1_b32 s2, s4, exec_lo
	s_mov_b32 s8, -1
	s_and_b32 s4, vcc_lo, exec_lo
	s_delay_alu instid0(SALU_CYCLE_1)
	s_or_b32 s4, s2, s4
.LBB31_678:
	s_and_not1_b32 s2, s20, exec_lo
	s_and_b32 s4, s4, exec_lo
	s_and_b32 s19, s5, exec_lo
	;; [unrolled: 1-line block ×3, first 2 shown]
	s_or_b32 s54, s2, s4
.LBB31_679:
	s_or_b32 exec_lo, exec_lo, s47
	s_delay_alu instid0(SALU_CYCLE_1)
	s_and_not1_b32 s2, s20, exec_lo
	s_and_b32 s4, s54, exec_lo
	s_and_b32 s19, s19, exec_lo
	;; [unrolled: 1-line block ×3, first 2 shown]
	s_or_b32 s20, s2, s4
.LBB31_680:
	s_or_b32 exec_lo, exec_lo, s21
	s_delay_alu instid0(SALU_CYCLE_1)
	s_and_not1_b32 s2, s52, exec_lo
	s_and_b32 s4, s20, exec_lo
	s_and_b32 s19, s19, exec_lo
	;; [unrolled: 1-line block ×3, first 2 shown]
	s_or_b32 s52, s2, s4
.LBB31_681:
	s_or_b32 exec_lo, exec_lo, s53
	s_delay_alu instid0(SALU_CYCLE_1)
	s_and_not1_b32 s2, s50, exec_lo
	s_and_b32 s4, s52, exec_lo
	s_and_b32 s19, s19, exec_lo
	;; [unrolled: 1-line block ×3, first 2 shown]
	s_or_b32 s50, s2, s4
	s_or_b32 exec_lo, exec_lo, s51
	s_mov_b32 s2, 0
	s_and_saveexec_b32 s4, s50
	s_cbranch_execz .LBB31_118
.LBB31_682:
	s_cbranch_execnz .LBB31_684
; %bb.683:
	s_mov_b32 s2, exec_lo
	s_and_not1_b32 s52, s52, exec_lo
	s_or_b32 exec_lo, exec_lo, s4
	s_and_saveexec_b32 s4, s52
	s_delay_alu instid0(SALU_CYCLE_1)
	s_xor_b32 s4, exec_lo, s4
	s_cbranch_execnz .LBB31_119
	s_branch .LBB31_120
.LBB31_684:
	s_trap 2
	s_sendmsg_rtn_b32 s0, sendmsg(MSG_RTN_GET_DOORBELL)
	s_mov_b32 ttmp2, m0
	s_waitcnt lgkmcnt(0)
	s_and_b32 s0, s0, 0x3ff
	s_delay_alu instid0(SALU_CYCLE_1) | instskip(NEXT) | instid1(SALU_CYCLE_1)
	s_bitset1_b32 s0, 10
	s_mov_b32 m0, s0
	s_sendmsg sendmsg(MSG_INTERRUPT)
	s_mov_b32 m0, ttmp2
.LBB31_685:                             ; =>This Inner Loop Header: Depth=1
	s_sethalt 5
	s_branch .LBB31_685
.LBB31_686:
	s_mov_b32 s10, 0
                                        ; implicit-def: $sgpr12
.LBB31_687:
	v_mov_b32_e32 v4, s12
	s_and_not1_b32 vcc_lo, exec_lo, s11
                                        ; implicit-def: $sgpr11
	s_cbranch_vccnz .LBB31_689
; %bb.688:
	v_add_f32_e64 v4, 0x42800000, |s9|
	s_mov_b32 s11, 0
	s_delay_alu instid0(VALU_DEP_1) | instskip(NEXT) | instid1(VALU_DEP_1)
	v_and_b32_e32 v4, 0xff, v4
	v_cmp_ne_u32_e64 s10, 0, v4
.LBB31_689:
	v_mov_b32_e32 v5, s11
	s_delay_alu instid0(VALU_DEP_2)
	s_and_not1_b32 vcc_lo, exec_lo, s10
	s_cbranch_vccnz .LBB31_691
; %bb.690:
	s_lshr_b32 s9, s9, 24
	s_delay_alu instid0(SALU_CYCLE_1) | instskip(NEXT) | instid1(SALU_CYCLE_1)
	s_and_b32 s9, s9, 0x80
	v_or_b32_e32 v5, s9, v4
.LBB31_691:
	s_mov_b32 s9, 0
	global_store_b8 v[2:3], v5, off
.LBB31_692:
	s_and_b32 vcc_lo, exec_lo, s9
	s_cbranch_vccz .LBB31_704
; %bb.693:
	s_xor_b32 s9, s2, s3
	s_cls_i32 s10, s3
	s_ashr_i32 s9, s9, 31
	s_add_i32 s10, s10, -1
	s_add_i32 s9, s9, 32
	s_delay_alu instid0(SALU_CYCLE_1) | instskip(NEXT) | instid1(SALU_CYCLE_1)
	s_min_u32 s9, s10, s9
	s_lshl_b64 s[10:11], s[2:3], s9
	s_sub_i32 s9, 32, s9
	s_min_u32 s10, s10, 1
	s_delay_alu instid0(SALU_CYCLE_1) | instskip(SKIP_2) | instid1(VALU_DEP_1)
	s_or_b32 s10, s11, s10
	s_mov_b32 s11, -1
	v_cvt_f32_i32_e32 v4, s10
	v_ldexp_f32 v4, v4, s9
	s_delay_alu instid0(VALU_DEP_1) | instskip(NEXT) | instid1(VALU_DEP_1)
	v_readfirstlane_b32 s9, v4
	s_and_b32 s10, s9, 0x7fffffff
	s_delay_alu instid0(SALU_CYCLE_1)
	s_cmp_lt_u32 s10, 0x43f00000
	s_cbranch_scc0 .LBB31_696
; %bb.694:
	s_cmp_gt_u32 s10, 0x3c7fffff
	s_cbranch_scc0 .LBB31_697
; %bb.695:
	s_bfe_u32 s11, s9, 0x10014
	s_delay_alu instid0(SALU_CYCLE_1) | instskip(NEXT) | instid1(SALU_CYCLE_1)
	s_add_i32 s11, s9, s11
	s_add_i32 s11, s11, 0x407ffff
	s_delay_alu instid0(SALU_CYCLE_1)
	s_and_b32 s12, s11, 0xff00000
	s_lshr_b32 s11, s11, 20
	s_cmp_lg_u32 s12, 0x7f00000
	s_cselect_b32 s12, s11, 0x7e
	s_mov_b32 s11, 0
	s_branch .LBB31_698
.LBB31_696:
                                        ; implicit-def: $vgpr5
	s_branch .LBB31_701
.LBB31_697:
                                        ; implicit-def: $sgpr12
.LBB31_698:
	v_mov_b32_e32 v5, s12
	s_and_not1_b32 vcc_lo, exec_lo, s11
	s_cbranch_vccnz .LBB31_700
; %bb.699:
	v_add_f32_e64 v5, 0x46800000, |v4|
.LBB31_700:
	s_mov_b32 s11, 0
.LBB31_701:
	s_delay_alu instid0(SALU_CYCLE_1)
	s_and_not1_b32 vcc_lo, exec_lo, s11
	s_cbranch_vccnz .LBB31_703
; %bb.702:
	s_cmp_gt_u32 s10, 0x7f800000
	s_movk_i32 s10, 0x7f
	s_delay_alu instid0(SALU_CYCLE_1) | instskip(NEXT) | instid1(SALU_CYCLE_1)
	s_cselect_b32 s10, s10, 0x7e
	v_mov_b32_e32 v5, s10
.LBB31_703:
	s_lshr_b32 s9, s9, 24
	s_delay_alu instid0(SALU_CYCLE_1)
	s_and_b32 s9, s9, 0x80
	s_delay_alu instid0(VALU_DEP_1) | instid1(SALU_CYCLE_1)
	v_or_b32_e32 v4, s9, v5
	global_store_b8 v[2:3], v4, off
.LBB31_704:
	s_mov_b32 s9, 0
.LBB31_705:
	s_delay_alu instid0(SALU_CYCLE_1)
	s_and_not1_b32 vcc_lo, exec_lo, s9
	s_cbranch_vccnz .LBB31_717
; %bb.706:
	s_xor_b32 s9, s2, s3
	s_cls_i32 s10, s3
	s_ashr_i32 s9, s9, 31
	s_add_i32 s10, s10, -1
	s_add_i32 s9, s9, 32
	s_delay_alu instid0(SALU_CYCLE_1) | instskip(NEXT) | instid1(SALU_CYCLE_1)
	s_min_u32 s9, s10, s9
	s_lshl_b64 s[10:11], s[2:3], s9
	s_sub_i32 s9, 32, s9
	s_min_u32 s10, s10, 1
	s_delay_alu instid0(SALU_CYCLE_1) | instskip(SKIP_2) | instid1(VALU_DEP_1)
	s_or_b32 s10, s11, s10
	s_mov_b32 s11, -1
	v_cvt_f32_i32_e32 v4, s10
	v_ldexp_f32 v4, v4, s9
	s_delay_alu instid0(VALU_DEP_1) | instskip(NEXT) | instid1(VALU_DEP_1)
	v_readfirstlane_b32 s9, v4
	s_and_b32 s10, s9, 0x7fffffff
	s_delay_alu instid0(SALU_CYCLE_1)
	s_cmp_lt_u32 s10, 0x47800000
	s_cbranch_scc0 .LBB31_709
; %bb.707:
	s_cmp_gt_u32 s10, 0x387fffff
	s_cbranch_scc0 .LBB31_710
; %bb.708:
	s_bfe_u32 s11, s9, 0x10015
	s_delay_alu instid0(SALU_CYCLE_1) | instskip(NEXT) | instid1(SALU_CYCLE_1)
	s_add_i32 s11, s9, s11
	s_add_i32 s11, s11, 0x80fffff
	s_delay_alu instid0(SALU_CYCLE_1)
	s_lshr_b32 s12, s11, 21
	s_mov_b32 s11, 0
	s_branch .LBB31_711
.LBB31_709:
                                        ; implicit-def: $vgpr5
	s_branch .LBB31_714
.LBB31_710:
                                        ; implicit-def: $sgpr12
.LBB31_711:
	v_mov_b32_e32 v5, s12
	s_and_not1_b32 vcc_lo, exec_lo, s11
	s_cbranch_vccnz .LBB31_713
; %bb.712:
	v_add_f32_e64 v5, 0x43000000, |v4|
.LBB31_713:
	s_mov_b32 s11, 0
.LBB31_714:
	s_delay_alu instid0(SALU_CYCLE_1)
	s_and_not1_b32 vcc_lo, exec_lo, s11
	s_cbranch_vccnz .LBB31_716
; %bb.715:
	s_cmp_gt_u32 s10, 0x7f800000
	s_movk_i32 s10, 0x7f
	s_delay_alu instid0(SALU_CYCLE_1) | instskip(NEXT) | instid1(SALU_CYCLE_1)
	s_cselect_b32 s10, s10, 0x7c
	v_mov_b32_e32 v5, s10
.LBB31_716:
	s_lshr_b32 s9, s9, 24
	s_delay_alu instid0(SALU_CYCLE_1)
	s_and_b32 s9, s9, 0x80
	s_delay_alu instid0(VALU_DEP_1) | instid1(SALU_CYCLE_1)
	v_or_b32_e32 v4, s9, v5
	global_store_b8 v[2:3], v4, off
.LBB31_717:
	s_mov_b32 s9, 0
	s_mov_b32 s10, -1
.LBB31_718:
	s_and_not1_b32 vcc_lo, exec_lo, s9
	s_mov_b32 s9, 0
	s_cbranch_vccnz .LBB31_725
; %bb.719:
	v_cmp_gt_i16_e64 s9, s4, 14
	s_delay_alu instid0(VALU_DEP_1)
	s_and_b32 vcc_lo, exec_lo, s9
	s_mov_b32 s9, -1
	s_cbranch_vccz .LBB31_723
; %bb.720:
	v_cmp_eq_u16_e64 s8, s4, 15
	s_delay_alu instid0(VALU_DEP_1)
	s_and_b32 vcc_lo, exec_lo, s8
	s_mov_b32 s8, -1
	s_cbranch_vccz .LBB31_722
; %bb.721:
	s_xor_b32 s8, s2, s3
	s_cls_i32 s9, s3
	s_ashr_i32 s8, s8, 31
	s_add_i32 s9, s9, -1
	s_add_i32 s8, s8, 32
	s_delay_alu instid0(SALU_CYCLE_1) | instskip(NEXT) | instid1(SALU_CYCLE_1)
	s_min_u32 s10, s9, s8
	s_lshl_b64 s[8:9], s[2:3], s10
	s_delay_alu instid0(SALU_CYCLE_1) | instskip(NEXT) | instid1(SALU_CYCLE_1)
	s_min_u32 s8, s8, 1
	s_or_b32 s8, s9, s8
	s_delay_alu instid0(SALU_CYCLE_1) | instskip(SKIP_2) | instid1(VALU_DEP_1)
	v_cvt_f32_i32_e32 v4, s8
	s_sub_i32 s8, 32, s10
	s_mov_b32 s10, -1
	v_ldexp_f32 v4, v4, s8
	s_mov_b32 s8, 0
	s_delay_alu instid0(VALU_DEP_1) | instskip(NEXT) | instid1(VALU_DEP_1)
	v_bfe_u32 v5, v4, 16, 1
	v_add_nc_u32_e32 v4, v4, v5
	s_delay_alu instid0(VALU_DEP_1)
	v_add_nc_u32_e32 v4, 0x7fff, v4
	global_store_d16_hi_b16 v[2:3], v4, off
.LBB31_722:
	s_mov_b32 s9, 0
.LBB31_723:
	s_delay_alu instid0(SALU_CYCLE_1)
	s_and_b32 vcc_lo, exec_lo, s9
	s_mov_b32 s9, 0
	s_cbranch_vccz .LBB31_725
; %bb.724:
	v_cmp_ne_u16_e64 s8, s4, 11
	s_mov_b32 s9, -1
.LBB31_725:
	s_delay_alu instid0(VALU_DEP_1)
	s_and_b32 vcc_lo, exec_lo, s8
	s_cbranch_vccnz .LBB31_778
; %bb.726:
	s_and_not1_b32 vcc_lo, exec_lo, s9
	s_cbranch_vccnz .LBB31_728
.LBB31_727:
	s_cmp_lg_u64 s[2:3], 0
	s_mov_b32 s10, -1
	s_cselect_b32 s8, -1, 0
	s_delay_alu instid0(SALU_CYCLE_1)
	v_cndmask_b32_e64 v4, 0, 1, s8
	global_store_b8 v[2:3], v4, off
.LBB31_728:
	s_mov_b32 s8, 0
.LBB31_729:
	s_delay_alu instid0(SALU_CYCLE_1)
	s_and_b32 vcc_lo, exec_lo, s8
	s_cbranch_vccz .LBB31_768
; %bb.730:
	v_cmp_lt_i16_e64 s8, s4, 5
	s_delay_alu instid0(VALU_DEP_1)
	s_and_b32 vcc_lo, exec_lo, s8
	s_mov_b32 s8, -1
	s_cbranch_vccnz .LBB31_751
; %bb.731:
	v_cmp_lt_i16_e64 s8, s4, 8
	s_delay_alu instid0(VALU_DEP_1)
	s_and_b32 vcc_lo, exec_lo, s8
	s_mov_b32 s8, -1
	s_cbranch_vccnz .LBB31_741
	;; [unrolled: 6-line block ×3, first 2 shown]
; %bb.733:
	v_cmp_gt_i16_e64 s8, s4, 9
	s_delay_alu instid0(VALU_DEP_1)
	s_and_b32 vcc_lo, exec_lo, s8
	s_mov_b32 s8, -1
	s_cbranch_vccz .LBB31_735
; %bb.734:
	v_cvt_f64_i32_e32 v[4:5], s3
	v_cvt_f64_u32_e32 v[6:7], s2
	s_mov_b32 s8, 0
	s_delay_alu instid0(VALU_DEP_2) | instskip(NEXT) | instid1(VALU_DEP_1)
	v_ldexp_f64 v[4:5], v[4:5], 32
	v_add_f64 v[4:5], v[4:5], v[6:7]
	v_mov_b32_e32 v6, 0
	s_delay_alu instid0(VALU_DEP_1)
	v_mov_b32_e32 v7, v6
	global_store_b128 v[2:3], v[4:7], off
.LBB31_735:
	s_and_not1_b32 vcc_lo, exec_lo, s8
	s_cbranch_vccnz .LBB31_737
; %bb.736:
	s_xor_b32 s8, s2, s3
	s_cls_i32 s9, s3
	s_ashr_i32 s8, s8, 31
	s_add_i32 s9, s9, -1
	s_add_i32 s8, s8, 32
	v_mov_b32_e32 v5, 0
	s_min_u32 s10, s9, s8
	s_delay_alu instid0(SALU_CYCLE_1) | instskip(NEXT) | instid1(SALU_CYCLE_1)
	s_lshl_b64 s[8:9], s[2:3], s10
	s_min_u32 s8, s8, 1
	s_delay_alu instid0(SALU_CYCLE_1) | instskip(NEXT) | instid1(SALU_CYCLE_1)
	s_or_b32 s8, s9, s8
	v_cvt_f32_i32_e32 v4, s8
	s_sub_i32 s8, 32, s10
	s_delay_alu instid0(VALU_DEP_1) | instid1(SALU_CYCLE_1)
	v_ldexp_f32 v4, v4, s8
	global_store_b64 v[2:3], v[4:5], off
.LBB31_737:
	s_mov_b32 s8, 0
.LBB31_738:
	s_delay_alu instid0(SALU_CYCLE_1)
	s_and_not1_b32 vcc_lo, exec_lo, s8
	s_cbranch_vccnz .LBB31_740
; %bb.739:
	s_xor_b32 s8, s2, s3
	s_cls_i32 s9, s3
	s_ashr_i32 s8, s8, 31
	s_add_i32 s9, s9, -1
	s_add_i32 s8, s8, 32
	s_delay_alu instid0(SALU_CYCLE_1) | instskip(NEXT) | instid1(SALU_CYCLE_1)
	s_min_u32 s10, s9, s8
	s_lshl_b64 s[8:9], s[2:3], s10
	s_delay_alu instid0(SALU_CYCLE_1) | instskip(NEXT) | instid1(SALU_CYCLE_1)
	s_min_u32 s8, s8, 1
	s_or_b32 s8, s9, s8
	s_delay_alu instid0(SALU_CYCLE_1)
	v_cvt_f32_i32_e32 v4, s8
	s_sub_i32 s8, 32, s10
	s_delay_alu instid0(VALU_DEP_1) | instid1(SALU_CYCLE_1)
	v_ldexp_f32 v4, v4, s8
	s_delay_alu instid0(VALU_DEP_1) | instskip(NEXT) | instid1(VALU_DEP_1)
	v_cvt_f16_f32_e32 v4, v4
	v_and_b32_e32 v4, 0xffff, v4
	global_store_b32 v[2:3], v4, off
.LBB31_740:
	s_mov_b32 s8, 0
.LBB31_741:
	s_delay_alu instid0(SALU_CYCLE_1)
	s_and_not1_b32 vcc_lo, exec_lo, s8
	s_cbranch_vccnz .LBB31_750
; %bb.742:
	v_cmp_lt_i16_e64 s8, s4, 6
	s_delay_alu instid0(VALU_DEP_1)
	s_and_b32 vcc_lo, exec_lo, s8
	s_mov_b32 s8, -1
	s_cbranch_vccnz .LBB31_748
; %bb.743:
	v_cmp_gt_i16_e64 s8, s4, 6
	s_delay_alu instid0(VALU_DEP_1)
	s_and_b32 vcc_lo, exec_lo, s8
	s_mov_b32 s8, -1
	s_cbranch_vccz .LBB31_745
; %bb.744:
	v_cvt_f64_i32_e32 v[4:5], s3
	v_cvt_f64_u32_e32 v[6:7], s2
	s_mov_b32 s8, 0
	s_delay_alu instid0(VALU_DEP_2) | instskip(NEXT) | instid1(VALU_DEP_1)
	v_ldexp_f64 v[4:5], v[4:5], 32
	v_add_f64 v[4:5], v[4:5], v[6:7]
	global_store_b64 v[2:3], v[4:5], off
.LBB31_745:
	s_and_not1_b32 vcc_lo, exec_lo, s8
	s_cbranch_vccnz .LBB31_747
; %bb.746:
	s_xor_b32 s8, s2, s3
	s_cls_i32 s9, s3
	s_ashr_i32 s8, s8, 31
	s_add_i32 s9, s9, -1
	s_add_i32 s8, s8, 32
	s_delay_alu instid0(SALU_CYCLE_1) | instskip(NEXT) | instid1(SALU_CYCLE_1)
	s_min_u32 s10, s9, s8
	s_lshl_b64 s[8:9], s[2:3], s10
	s_delay_alu instid0(SALU_CYCLE_1) | instskip(NEXT) | instid1(SALU_CYCLE_1)
	s_min_u32 s8, s8, 1
	s_or_b32 s8, s9, s8
	s_delay_alu instid0(SALU_CYCLE_1)
	v_cvt_f32_i32_e32 v4, s8
	s_sub_i32 s8, 32, s10
	s_delay_alu instid0(VALU_DEP_1) | instid1(SALU_CYCLE_1)
	v_ldexp_f32 v4, v4, s8
	global_store_b32 v[2:3], v4, off
.LBB31_747:
	s_mov_b32 s8, 0
.LBB31_748:
	s_delay_alu instid0(SALU_CYCLE_1)
	s_and_not1_b32 vcc_lo, exec_lo, s8
	s_cbranch_vccnz .LBB31_750
; %bb.749:
	s_xor_b32 s8, s2, s3
	s_cls_i32 s9, s3
	s_ashr_i32 s8, s8, 31
	s_add_i32 s9, s9, -1
	s_add_i32 s8, s8, 32
	s_delay_alu instid0(SALU_CYCLE_1) | instskip(NEXT) | instid1(SALU_CYCLE_1)
	s_min_u32 s10, s9, s8
	s_lshl_b64 s[8:9], s[2:3], s10
	s_delay_alu instid0(SALU_CYCLE_1) | instskip(NEXT) | instid1(SALU_CYCLE_1)
	s_min_u32 s8, s8, 1
	s_or_b32 s8, s9, s8
	s_delay_alu instid0(SALU_CYCLE_1)
	v_cvt_f32_i32_e32 v4, s8
	s_sub_i32 s8, 32, s10
	s_delay_alu instid0(VALU_DEP_1) | instid1(SALU_CYCLE_1)
	v_ldexp_f32 v4, v4, s8
	s_delay_alu instid0(VALU_DEP_1)
	v_cvt_f16_f32_e32 v4, v4
	global_store_b16 v[2:3], v4, off
.LBB31_750:
	s_mov_b32 s8, 0
.LBB31_751:
	s_delay_alu instid0(SALU_CYCLE_1)
	s_and_not1_b32 vcc_lo, exec_lo, s8
	s_cbranch_vccnz .LBB31_767
; %bb.752:
	v_cmp_lt_i16_e64 s8, s4, 2
	s_delay_alu instid0(VALU_DEP_1)
	s_and_b32 vcc_lo, exec_lo, s8
	s_mov_b32 s8, -1
	s_cbranch_vccnz .LBB31_762
; %bb.753:
	v_cmp_lt_i16_e64 s8, s4, 3
	s_delay_alu instid0(VALU_DEP_1)
	s_and_b32 vcc_lo, exec_lo, s8
	s_mov_b32 s8, -1
	s_cbranch_vccnz .LBB31_759
; %bb.754:
	v_cmp_gt_i16_e64 s8, s4, 3
	s_delay_alu instid0(VALU_DEP_1)
	s_and_b32 vcc_lo, exec_lo, s8
	s_mov_b32 s8, -1
	s_cbranch_vccz .LBB31_756
; %bb.755:
	v_dual_mov_b32 v5, s3 :: v_dual_mov_b32 v4, s2
	s_mov_b32 s8, 0
	global_store_b64 v[2:3], v[4:5], off
.LBB31_756:
	s_and_not1_b32 vcc_lo, exec_lo, s8
	s_cbranch_vccnz .LBB31_758
; %bb.757:
	v_mov_b32_e32 v4, s2
	global_store_b32 v[2:3], v4, off
.LBB31_758:
	s_mov_b32 s8, 0
.LBB31_759:
	s_delay_alu instid0(SALU_CYCLE_1)
	s_and_not1_b32 vcc_lo, exec_lo, s8
	s_cbranch_vccnz .LBB31_761
; %bb.760:
	v_mov_b32_e32 v4, s2
	global_store_b16 v[2:3], v4, off
.LBB31_761:
	s_mov_b32 s8, 0
.LBB31_762:
	s_delay_alu instid0(SALU_CYCLE_1)
	s_and_not1_b32 vcc_lo, exec_lo, s8
	s_cbranch_vccnz .LBB31_767
; %bb.763:
	v_cmp_gt_i16_e64 s8, s4, 0
	s_delay_alu instid0(VALU_DEP_1)
	s_and_b32 vcc_lo, exec_lo, s8
	s_mov_b32 s8, -1
	s_cbranch_vccz .LBB31_765
; %bb.764:
	v_mov_b32_e32 v4, s2
	s_mov_b32 s8, 0
	global_store_b8 v[2:3], v4, off
.LBB31_765:
	s_and_not1_b32 vcc_lo, exec_lo, s8
	s_cbranch_vccnz .LBB31_767
; %bb.766:
	v_mov_b32_e32 v4, s2
	global_store_b8 v[2:3], v4, off
.LBB31_767:
	s_mov_b32 s10, -1
.LBB31_768:
	s_delay_alu instid0(SALU_CYCLE_1)
	s_and_not1_b32 vcc_lo, exec_lo, s10
	s_cbranch_vccnz .LBB31_910
; %bb.769:
	v_cmp_lt_i16_e64 s8, s4, 11
	v_add_co_u32 v1, s9, s0, v1
	s_delay_alu instid0(VALU_DEP_1) | instskip(SKIP_1) | instid1(VALU_DEP_3)
	v_add_co_ci_u32_e64 v2, null, s1, 0, s9
	s_mov_b32 s10, 0
	s_and_b32 vcc_lo, exec_lo, s8
	s_mov_b32 s8, -1
	s_cbranch_vccnz .LBB31_862
; %bb.770:
	v_cmp_gt_i16_e64 s8, s4, 25
	s_mov_b32 s11, -1
	s_mov_b32 s9, 0
	s_delay_alu instid0(VALU_DEP_1)
	s_and_b32 vcc_lo, exec_lo, s8
	s_mov_b32 s8, 0
	s_cbranch_vccz .LBB31_812
; %bb.771:
	v_cmp_gt_i16_e64 s8, s4, 28
	s_delay_alu instid0(VALU_DEP_1)
	s_and_b32 vcc_lo, exec_lo, s8
	s_cbranch_vccz .LBB31_776
; %bb.772:
	v_cmp_gt_i16_e64 s8, s4, 43
	s_delay_alu instid0(VALU_DEP_1)
	s_and_b32 vcc_lo, exec_lo, s8
	;; [unrolled: 5-line block ×3, first 2 shown]
	s_cbranch_vccz .LBB31_780
; %bb.774:
	v_cmp_eq_u16_e64 s10, s4, 46
	s_mov_b32 s8, -1
	s_mov_b32 s11, 0
	s_delay_alu instid0(VALU_DEP_1)
	s_and_b32 vcc_lo, exec_lo, s10
	s_mov_b32 s10, 0
	s_cbranch_vccz .LBB31_781
; %bb.775:
	s_xor_b32 s8, s2, s3
	s_cls_i32 s10, s3
	s_ashr_i32 s8, s8, 31
	s_add_i32 s10, s10, -1
	s_add_i32 s8, s8, 32
	s_delay_alu instid0(SALU_CYCLE_1) | instskip(NEXT) | instid1(SALU_CYCLE_1)
	s_min_u32 s8, s10, s8
	s_lshl_b64 s[12:13], s[2:3], s8
	s_sub_i32 s8, 32, s8
	s_min_u32 s10, s12, 1
	s_delay_alu instid0(SALU_CYCLE_1) | instskip(NEXT) | instid1(SALU_CYCLE_1)
	s_or_b32 s10, s13, s10
	v_cvt_f32_i32_e32 v3, s10
	s_mov_b32 s10, -1
	s_delay_alu instid0(VALU_DEP_1) | instskip(SKIP_1) | instid1(VALU_DEP_1)
	v_ldexp_f32 v3, v3, s8
	s_mov_b32 s8, 0
	v_bfe_u32 v4, v3, 16, 1
	s_delay_alu instid0(VALU_DEP_1) | instskip(NEXT) | instid1(VALU_DEP_1)
	v_add_nc_u32_e32 v3, v3, v4
	v_add_nc_u32_e32 v3, 0x7fff, v3
	s_delay_alu instid0(VALU_DEP_1)
	v_lshrrev_b32_e32 v3, 16, v3
	global_store_b32 v[1:2], v3, off
	s_branch .LBB31_781
.LBB31_776:
	s_mov_b32 s8, 0
	s_branch .LBB31_791
.LBB31_777:
	s_mov_b32 s8, 0
	s_branch .LBB31_787
.LBB31_778:
	s_cbranch_execnz .LBB31_802
; %bb.779:
	s_or_b32 s5, s5, exec_lo
	s_cbranch_execz .LBB31_727
	s_branch .LBB31_728
.LBB31_780:
	s_mov_b32 s8, 0
.LBB31_781:
	s_and_b32 vcc_lo, exec_lo, s11
	s_cbranch_vccz .LBB31_786
; %bb.782:
	v_cmp_eq_u16_e64 s8, s4, 44
	s_delay_alu instid0(VALU_DEP_1)
	s_and_b32 vcc_lo, exec_lo, s8
	s_mov_b32 s8, -1
	s_cbranch_vccz .LBB31_786
; %bb.783:
	s_xor_b32 s8, s2, s3
	s_cls_i32 s10, s3
	s_ashr_i32 s8, s8, 31
	s_add_i32 s10, s10, -1
	s_add_i32 s8, s8, 32
	v_mov_b32_e32 v4, 0xff
	s_min_u32 s8, s10, s8
	s_delay_alu instid0(SALU_CYCLE_1) | instskip(SKIP_2) | instid1(SALU_CYCLE_1)
	s_lshl_b64 s[10:11], s[2:3], s8
	s_sub_i32 s8, 32, s8
	s_min_u32 s10, s10, 1
	s_or_b32 s10, s11, s10
	s_delay_alu instid0(SALU_CYCLE_1) | instskip(SKIP_1) | instid1(VALU_DEP_1)
	v_cvt_f32_i32_e32 v3, s10
	s_mov_b32 s10, -1
	v_ldexp_f32 v3, v3, s8
	s_delay_alu instid0(VALU_DEP_1) | instskip(NEXT) | instid1(VALU_DEP_1)
	v_readfirstlane_b32 s8, v3
	s_bfe_u32 s11, s8, 0x80017
	s_delay_alu instid0(SALU_CYCLE_1)
	s_cmpk_eq_i32 s11, 0xff
	s_cbranch_scc1 .LBB31_785
; %bb.784:
	s_bitcmp1_b32 s8, 22
	v_lshrrev_b32_e32 v3, 23, v3
	s_cselect_b32 s12, -1, 0
	s_and_b32 s8, s8, 0x3fffff
	s_delay_alu instid0(SALU_CYCLE_1) | instskip(NEXT) | instid1(SALU_CYCLE_1)
	s_or_b32 s8, s11, s8
	s_cmp_lg_u32 s8, 0
	s_cselect_b32 s8, -1, 0
	s_delay_alu instid0(SALU_CYCLE_1) | instskip(NEXT) | instid1(SALU_CYCLE_1)
	s_and_b32 s8, s12, s8
	v_cndmask_b32_e64 v4, 0, 1, s8
	s_delay_alu instid0(VALU_DEP_1)
	v_add_nc_u32_e32 v4, v3, v4
.LBB31_785:
	s_mov_b32 s8, 0
	global_store_b8 v[1:2], v4, off
.LBB31_786:
	s_mov_b32 s11, 0
.LBB31_787:
	s_delay_alu instid0(SALU_CYCLE_1)
	s_and_b32 vcc_lo, exec_lo, s11
	s_cbranch_vccz .LBB31_790
; %bb.788:
	v_cmp_eq_u16_e64 s8, s4, 29
	s_delay_alu instid0(VALU_DEP_1)
	s_and_b32 vcc_lo, exec_lo, s8
	s_mov_b32 s8, -1
	s_cbranch_vccz .LBB31_790
; %bb.789:
	v_dual_mov_b32 v4, s3 :: v_dual_mov_b32 v3, s2
	s_mov_b32 s8, 0
	s_mov_b32 s10, -1
	s_mov_b32 s11, 0
	global_store_b64 v[1:2], v[3:4], off
	s_branch .LBB31_791
.LBB31_790:
	s_mov_b32 s11, 0
.LBB31_791:
	s_delay_alu instid0(SALU_CYCLE_1)
	s_and_b32 vcc_lo, exec_lo, s11
	s_cbranch_vccz .LBB31_811
; %bb.792:
	v_cmp_lt_i16_e64 s10, s4, 27
	s_delay_alu instid0(VALU_DEP_1)
	s_and_b32 vcc_lo, exec_lo, s10
	s_mov_b32 s10, -1
	s_cbranch_vccnz .LBB31_798
; %bb.793:
	v_cmp_gt_i16_e64 s10, s4, 27
	s_delay_alu instid0(VALU_DEP_1)
	s_and_b32 vcc_lo, exec_lo, s10
	s_mov_b32 s10, -1
	s_cbranch_vccz .LBB31_795
; %bb.794:
	v_mov_b32_e32 v3, s2
	s_mov_b32 s10, 0
	global_store_b32 v[1:2], v3, off
.LBB31_795:
	s_and_not1_b32 vcc_lo, exec_lo, s10
	s_cbranch_vccnz .LBB31_797
; %bb.796:
	v_mov_b32_e32 v3, s2
	global_store_b16 v[1:2], v3, off
.LBB31_797:
	s_mov_b32 s10, 0
.LBB31_798:
	s_delay_alu instid0(SALU_CYCLE_1)
	s_and_not1_b32 vcc_lo, exec_lo, s10
	s_cbranch_vccnz .LBB31_810
; %bb.799:
	s_xor_b32 s10, s2, s3
	s_cls_i32 s11, s3
	s_ashr_i32 s10, s10, 31
	s_add_i32 s11, s11, -1
	s_add_i32 s10, s10, 32
	v_mov_b32_e32 v4, 0x80
	s_min_u32 s12, s11, s10
	s_delay_alu instid0(SALU_CYCLE_1) | instskip(NEXT) | instid1(SALU_CYCLE_1)
	s_lshl_b64 s[10:11], s[2:3], s12
	s_min_u32 s10, s10, 1
	s_delay_alu instid0(SALU_CYCLE_1) | instskip(NEXT) | instid1(SALU_CYCLE_1)
	s_or_b32 s10, s11, s10
	v_cvt_f32_i32_e32 v3, s10
	s_sub_i32 s10, 32, s12
	s_mov_b32 s12, -1
	s_delay_alu instid0(VALU_DEP_1) | instskip(NEXT) | instid1(VALU_DEP_1)
	v_ldexp_f32 v3, v3, s10
	v_readfirstlane_b32 s10, v3
	s_delay_alu instid0(VALU_DEP_1) | instskip(NEXT) | instid1(SALU_CYCLE_1)
	s_and_b32 s11, s10, 0x7fffffff
	s_cmp_gt_u32 s11, 0x437fffff
	s_cbranch_scc1 .LBB31_809
; %bb.800:
	s_cmp_gt_u32 s11, 0x3bffffff
	s_cbranch_scc0 .LBB31_804
; %bb.801:
	s_bfe_u32 s11, s10, 0x10014
	s_mov_b32 s12, 0
	s_add_i32 s11, s10, s11
	s_delay_alu instid0(SALU_CYCLE_1) | instskip(NEXT) | instid1(SALU_CYCLE_1)
	s_add_i32 s11, s11, 0x487ffff
	s_lshr_b32 s13, s11, 20
	s_mov_b32 s11, -1
	s_branch .LBB31_805
.LBB31_802:
	s_trap 2
	s_sendmsg_rtn_b32 s0, sendmsg(MSG_RTN_GET_DOORBELL)
	s_mov_b32 ttmp2, m0
	s_waitcnt lgkmcnt(0)
	s_and_b32 s0, s0, 0x3ff
	s_delay_alu instid0(SALU_CYCLE_1) | instskip(NEXT) | instid1(SALU_CYCLE_1)
	s_bitset1_b32 s0, 10
	s_mov_b32 m0, s0
	s_sendmsg sendmsg(MSG_INTERRUPT)
	s_mov_b32 m0, ttmp2
.LBB31_803:                             ; =>This Inner Loop Header: Depth=1
	s_sethalt 5
	s_branch .LBB31_803
.LBB31_804:
	s_mov_b32 s11, 0
                                        ; implicit-def: $sgpr13
.LBB31_805:
	v_mov_b32_e32 v3, s13
	s_and_not1_b32 vcc_lo, exec_lo, s12
                                        ; implicit-def: $sgpr12
	s_cbranch_vccnz .LBB31_807
; %bb.806:
	v_add_f32_e64 v3, 0x46000000, |s10|
	s_mov_b32 s12, 0
	s_delay_alu instid0(VALU_DEP_1) | instskip(NEXT) | instid1(VALU_DEP_1)
	v_and_b32_e32 v3, 0xff, v3
	v_cmp_ne_u32_e64 s11, 0, v3
.LBB31_807:
	v_mov_b32_e32 v4, s12
	s_delay_alu instid0(VALU_DEP_2)
	s_and_not1_b32 vcc_lo, exec_lo, s11
	s_cbranch_vccnz .LBB31_809
; %bb.808:
	s_lshr_b32 s10, s10, 24
	s_delay_alu instid0(SALU_CYCLE_1) | instskip(NEXT) | instid1(SALU_CYCLE_1)
	s_and_b32 s10, s10, 0x80
	v_or_b32_e32 v4, s10, v3
.LBB31_809:
	global_store_b8 v[1:2], v4, off
.LBB31_810:
	s_mov_b32 s10, -1
.LBB31_811:
	s_mov_b32 s11, 0
.LBB31_812:
	s_delay_alu instid0(SALU_CYCLE_1)
	s_and_b32 vcc_lo, exec_lo, s11
	s_cbranch_vccz .LBB31_858
; %bb.813:
	v_cmp_gt_i16_e64 s9, s4, 22
	s_delay_alu instid0(VALU_DEP_1)
	s_and_b32 vcc_lo, exec_lo, s9
	s_mov_b32 s9, -1
	s_cbranch_vccz .LBB31_851
; %bb.814:
	v_cmp_lt_i16_e64 s9, s4, 24
	s_delay_alu instid0(VALU_DEP_1)
	s_and_b32 vcc_lo, exec_lo, s9
	s_mov_b32 s9, -1
	s_cbranch_vccnz .LBB31_838
; %bb.815:
	v_cmp_gt_i16_e64 s9, s4, 24
	s_delay_alu instid0(VALU_DEP_1)
	s_and_b32 vcc_lo, exec_lo, s9
	s_mov_b32 s9, -1
	s_cbranch_vccz .LBB31_825
; %bb.816:
	s_xor_b32 s9, s2, s3
	s_cls_i32 s10, s3
	s_ashr_i32 s9, s9, 31
	s_add_i32 s10, s10, -1
	s_add_i32 s9, s9, 32
	v_mov_b32_e32 v4, 0x80
	s_min_u32 s9, s10, s9
	s_delay_alu instid0(SALU_CYCLE_1) | instskip(SKIP_2) | instid1(SALU_CYCLE_1)
	s_lshl_b64 s[10:11], s[2:3], s9
	s_sub_i32 s9, 32, s9
	s_min_u32 s10, s10, 1
	s_or_b32 s10, s11, s10
	s_mov_b32 s11, -1
	v_cvt_f32_i32_e32 v3, s10
	s_delay_alu instid0(VALU_DEP_1) | instskip(NEXT) | instid1(VALU_DEP_1)
	v_ldexp_f32 v3, v3, s9
	v_readfirstlane_b32 s9, v3
	s_delay_alu instid0(VALU_DEP_1) | instskip(NEXT) | instid1(SALU_CYCLE_1)
	s_and_b32 s10, s9, 0x7fffffff
	s_cmp_gt_u32 s10, 0x477fffff
	s_cbranch_scc1 .LBB31_824
; %bb.817:
	s_cmp_gt_u32 s10, 0x37ffffff
	s_cbranch_scc0 .LBB31_819
; %bb.818:
	s_bfe_u32 s10, s9, 0x10015
	s_mov_b32 s11, 0
	s_add_i32 s10, s9, s10
	s_delay_alu instid0(SALU_CYCLE_1) | instskip(NEXT) | instid1(SALU_CYCLE_1)
	s_add_i32 s10, s10, 0x88fffff
	s_lshr_b32 s12, s10, 21
	s_mov_b32 s10, -1
	s_branch .LBB31_820
.LBB31_819:
	s_mov_b32 s10, 0
                                        ; implicit-def: $sgpr12
.LBB31_820:
	v_mov_b32_e32 v3, s12
	s_and_not1_b32 vcc_lo, exec_lo, s11
                                        ; implicit-def: $sgpr11
	s_cbranch_vccnz .LBB31_822
; %bb.821:
	v_add_f32_e64 v3, 0x42800000, |s9|
	s_mov_b32 s11, 0
	s_delay_alu instid0(VALU_DEP_1) | instskip(NEXT) | instid1(VALU_DEP_1)
	v_and_b32_e32 v3, 0xff, v3
	v_cmp_ne_u32_e64 s10, 0, v3
.LBB31_822:
	v_mov_b32_e32 v4, s11
	s_delay_alu instid0(VALU_DEP_2)
	s_and_not1_b32 vcc_lo, exec_lo, s10
	s_cbranch_vccnz .LBB31_824
; %bb.823:
	s_lshr_b32 s9, s9, 24
	s_delay_alu instid0(SALU_CYCLE_1) | instskip(NEXT) | instid1(SALU_CYCLE_1)
	s_and_b32 s9, s9, 0x80
	v_or_b32_e32 v4, s9, v3
.LBB31_824:
	s_mov_b32 s9, 0
	global_store_b8 v[1:2], v4, off
.LBB31_825:
	s_and_b32 vcc_lo, exec_lo, s9
	s_cbranch_vccz .LBB31_837
; %bb.826:
	s_xor_b32 s9, s2, s3
	s_cls_i32 s10, s3
	s_ashr_i32 s9, s9, 31
	s_add_i32 s10, s10, -1
	s_add_i32 s9, s9, 32
	s_delay_alu instid0(SALU_CYCLE_1) | instskip(NEXT) | instid1(SALU_CYCLE_1)
	s_min_u32 s9, s10, s9
	s_lshl_b64 s[10:11], s[2:3], s9
	s_sub_i32 s9, 32, s9
	s_min_u32 s10, s10, 1
	s_delay_alu instid0(SALU_CYCLE_1) | instskip(SKIP_2) | instid1(VALU_DEP_1)
	s_or_b32 s10, s11, s10
	s_mov_b32 s11, -1
	v_cvt_f32_i32_e32 v3, s10
	v_ldexp_f32 v3, v3, s9
	s_delay_alu instid0(VALU_DEP_1) | instskip(NEXT) | instid1(VALU_DEP_1)
	v_readfirstlane_b32 s9, v3
	s_and_b32 s10, s9, 0x7fffffff
	s_delay_alu instid0(SALU_CYCLE_1)
	s_cmp_lt_u32 s10, 0x43f00000
	s_cbranch_scc0 .LBB31_829
; %bb.827:
	s_cmp_gt_u32 s10, 0x3c7fffff
	s_cbranch_scc0 .LBB31_830
; %bb.828:
	s_bfe_u32 s11, s9, 0x10014
	s_delay_alu instid0(SALU_CYCLE_1) | instskip(NEXT) | instid1(SALU_CYCLE_1)
	s_add_i32 s11, s9, s11
	s_add_i32 s11, s11, 0x407ffff
	s_delay_alu instid0(SALU_CYCLE_1)
	s_and_b32 s12, s11, 0xff00000
	s_lshr_b32 s11, s11, 20
	s_cmp_lg_u32 s12, 0x7f00000
	s_cselect_b32 s12, s11, 0x7e
	s_mov_b32 s11, 0
	s_branch .LBB31_831
.LBB31_829:
                                        ; implicit-def: $vgpr4
	s_branch .LBB31_834
.LBB31_830:
                                        ; implicit-def: $sgpr12
.LBB31_831:
	v_mov_b32_e32 v4, s12
	s_and_not1_b32 vcc_lo, exec_lo, s11
	s_cbranch_vccnz .LBB31_833
; %bb.832:
	v_add_f32_e64 v4, 0x46800000, |v3|
.LBB31_833:
	s_mov_b32 s11, 0
.LBB31_834:
	s_delay_alu instid0(SALU_CYCLE_1)
	s_and_not1_b32 vcc_lo, exec_lo, s11
	s_cbranch_vccnz .LBB31_836
; %bb.835:
	s_cmp_gt_u32 s10, 0x7f800000
	s_movk_i32 s10, 0x7f
	s_delay_alu instid0(SALU_CYCLE_1) | instskip(NEXT) | instid1(SALU_CYCLE_1)
	s_cselect_b32 s10, s10, 0x7e
	v_mov_b32_e32 v4, s10
.LBB31_836:
	s_lshr_b32 s9, s9, 24
	s_delay_alu instid0(SALU_CYCLE_1)
	s_and_b32 s9, s9, 0x80
	s_delay_alu instid0(VALU_DEP_1) | instid1(SALU_CYCLE_1)
	v_or_b32_e32 v3, s9, v4
	global_store_b8 v[1:2], v3, off
.LBB31_837:
	s_mov_b32 s9, 0
.LBB31_838:
	s_delay_alu instid0(SALU_CYCLE_1)
	s_and_not1_b32 vcc_lo, exec_lo, s9
	s_cbranch_vccnz .LBB31_850
; %bb.839:
	s_xor_b32 s9, s2, s3
	s_cls_i32 s10, s3
	s_ashr_i32 s9, s9, 31
	s_add_i32 s10, s10, -1
	s_add_i32 s9, s9, 32
	s_delay_alu instid0(SALU_CYCLE_1) | instskip(NEXT) | instid1(SALU_CYCLE_1)
	s_min_u32 s9, s10, s9
	s_lshl_b64 s[10:11], s[2:3], s9
	s_sub_i32 s9, 32, s9
	s_min_u32 s10, s10, 1
	s_delay_alu instid0(SALU_CYCLE_1) | instskip(SKIP_2) | instid1(VALU_DEP_1)
	s_or_b32 s10, s11, s10
	s_mov_b32 s11, -1
	v_cvt_f32_i32_e32 v3, s10
	v_ldexp_f32 v3, v3, s9
	s_delay_alu instid0(VALU_DEP_1) | instskip(NEXT) | instid1(VALU_DEP_1)
	v_readfirstlane_b32 s9, v3
	s_and_b32 s10, s9, 0x7fffffff
	s_delay_alu instid0(SALU_CYCLE_1)
	s_cmp_lt_u32 s10, 0x47800000
	s_cbranch_scc0 .LBB31_842
; %bb.840:
	s_cmp_gt_u32 s10, 0x387fffff
	s_cbranch_scc0 .LBB31_843
; %bb.841:
	s_bfe_u32 s11, s9, 0x10015
	s_delay_alu instid0(SALU_CYCLE_1) | instskip(NEXT) | instid1(SALU_CYCLE_1)
	s_add_i32 s11, s9, s11
	s_add_i32 s11, s11, 0x80fffff
	s_delay_alu instid0(SALU_CYCLE_1)
	s_lshr_b32 s12, s11, 21
	s_mov_b32 s11, 0
	s_branch .LBB31_844
.LBB31_842:
                                        ; implicit-def: $vgpr4
	s_branch .LBB31_847
.LBB31_843:
                                        ; implicit-def: $sgpr12
.LBB31_844:
	v_mov_b32_e32 v4, s12
	s_and_not1_b32 vcc_lo, exec_lo, s11
	s_cbranch_vccnz .LBB31_846
; %bb.845:
	v_add_f32_e64 v4, 0x43000000, |v3|
.LBB31_846:
	s_mov_b32 s11, 0
.LBB31_847:
	s_delay_alu instid0(SALU_CYCLE_1)
	s_and_not1_b32 vcc_lo, exec_lo, s11
	s_cbranch_vccnz .LBB31_849
; %bb.848:
	s_cmp_gt_u32 s10, 0x7f800000
	s_movk_i32 s10, 0x7f
	s_delay_alu instid0(SALU_CYCLE_1) | instskip(NEXT) | instid1(SALU_CYCLE_1)
	s_cselect_b32 s10, s10, 0x7c
	v_mov_b32_e32 v4, s10
.LBB31_849:
	s_lshr_b32 s9, s9, 24
	s_delay_alu instid0(SALU_CYCLE_1)
	s_and_b32 s9, s9, 0x80
	s_delay_alu instid0(VALU_DEP_1) | instid1(SALU_CYCLE_1)
	v_or_b32_e32 v3, s9, v4
	global_store_b8 v[1:2], v3, off
.LBB31_850:
	s_mov_b32 s9, 0
	s_mov_b32 s10, -1
.LBB31_851:
	s_and_not1_b32 vcc_lo, exec_lo, s9
	s_mov_b32 s9, 0
	s_cbranch_vccnz .LBB31_858
; %bb.852:
	v_cmp_gt_i16_e64 s9, s4, 14
	s_delay_alu instid0(VALU_DEP_1)
	s_and_b32 vcc_lo, exec_lo, s9
	s_mov_b32 s9, -1
	s_cbranch_vccz .LBB31_856
; %bb.853:
	v_cmp_eq_u16_e64 s8, s4, 15
	s_delay_alu instid0(VALU_DEP_1)
	s_and_b32 vcc_lo, exec_lo, s8
	s_mov_b32 s8, -1
	s_cbranch_vccz .LBB31_855
; %bb.854:
	s_xor_b32 s8, s2, s3
	s_cls_i32 s9, s3
	s_ashr_i32 s8, s8, 31
	s_add_i32 s9, s9, -1
	s_add_i32 s8, s8, 32
	s_delay_alu instid0(SALU_CYCLE_1) | instskip(NEXT) | instid1(SALU_CYCLE_1)
	s_min_u32 s10, s9, s8
	s_lshl_b64 s[8:9], s[2:3], s10
	s_delay_alu instid0(SALU_CYCLE_1) | instskip(NEXT) | instid1(SALU_CYCLE_1)
	s_min_u32 s8, s8, 1
	s_or_b32 s8, s9, s8
	s_delay_alu instid0(SALU_CYCLE_1) | instskip(SKIP_2) | instid1(VALU_DEP_1)
	v_cvt_f32_i32_e32 v3, s8
	s_sub_i32 s8, 32, s10
	s_mov_b32 s10, -1
	v_ldexp_f32 v3, v3, s8
	s_mov_b32 s8, 0
	s_delay_alu instid0(VALU_DEP_1) | instskip(NEXT) | instid1(VALU_DEP_1)
	v_bfe_u32 v4, v3, 16, 1
	v_add_nc_u32_e32 v3, v3, v4
	s_delay_alu instid0(VALU_DEP_1)
	v_add_nc_u32_e32 v3, 0x7fff, v3
	global_store_d16_hi_b16 v[1:2], v3, off
.LBB31_855:
	s_mov_b32 s9, 0
.LBB31_856:
	s_delay_alu instid0(SALU_CYCLE_1)
	s_and_b32 vcc_lo, exec_lo, s9
	s_mov_b32 s9, 0
	s_cbranch_vccz .LBB31_858
; %bb.857:
	v_cmp_ne_u16_e64 s8, s4, 11
	s_mov_b32 s9, -1
.LBB31_858:
	s_delay_alu instid0(VALU_DEP_1)
	s_and_b32 vcc_lo, exec_lo, s8
	s_cbranch_vccnz .LBB31_957
; %bb.859:
	s_and_not1_b32 vcc_lo, exec_lo, s9
	s_cbranch_vccnz .LBB31_861
.LBB31_860:
	s_cmp_lg_u64 s[2:3], 0
	s_mov_b32 s10, -1
	s_cselect_b32 s8, -1, 0
	s_delay_alu instid0(SALU_CYCLE_1)
	v_cndmask_b32_e64 v3, 0, 1, s8
	global_store_b8 v[1:2], v3, off
.LBB31_861:
	s_mov_b32 s8, 0
.LBB31_862:
	s_delay_alu instid0(SALU_CYCLE_1)
	s_and_b32 vcc_lo, exec_lo, s8
	s_cbranch_vccz .LBB31_901
; %bb.863:
	v_cmp_lt_i16_e64 s8, s4, 5
	s_delay_alu instid0(VALU_DEP_1)
	s_and_b32 vcc_lo, exec_lo, s8
	s_mov_b32 s8, -1
	s_cbranch_vccnz .LBB31_884
; %bb.864:
	v_cmp_lt_i16_e64 s8, s4, 8
	s_delay_alu instid0(VALU_DEP_1)
	s_and_b32 vcc_lo, exec_lo, s8
	s_mov_b32 s8, -1
	s_cbranch_vccnz .LBB31_874
	;; [unrolled: 6-line block ×3, first 2 shown]
; %bb.866:
	v_cmp_gt_i16_e64 s8, s4, 9
	s_delay_alu instid0(VALU_DEP_1)
	s_and_b32 vcc_lo, exec_lo, s8
	s_mov_b32 s8, -1
	s_cbranch_vccz .LBB31_868
; %bb.867:
	v_cvt_f64_i32_e32 v[3:4], s3
	v_cvt_f64_u32_e32 v[5:6], s2
	s_mov_b32 s8, 0
	s_delay_alu instid0(VALU_DEP_2) | instskip(NEXT) | instid1(VALU_DEP_1)
	v_ldexp_f64 v[3:4], v[3:4], 32
	v_add_f64 v[3:4], v[3:4], v[5:6]
	v_mov_b32_e32 v5, 0
	s_delay_alu instid0(VALU_DEP_1)
	v_mov_b32_e32 v6, v5
	global_store_b128 v[1:2], v[3:6], off
.LBB31_868:
	s_and_not1_b32 vcc_lo, exec_lo, s8
	s_cbranch_vccnz .LBB31_870
; %bb.869:
	s_xor_b32 s8, s2, s3
	s_cls_i32 s9, s3
	s_ashr_i32 s8, s8, 31
	s_add_i32 s9, s9, -1
	s_add_i32 s8, s8, 32
	v_mov_b32_e32 v4, 0
	s_min_u32 s10, s9, s8
	s_delay_alu instid0(SALU_CYCLE_1) | instskip(NEXT) | instid1(SALU_CYCLE_1)
	s_lshl_b64 s[8:9], s[2:3], s10
	s_min_u32 s8, s8, 1
	s_delay_alu instid0(SALU_CYCLE_1) | instskip(NEXT) | instid1(SALU_CYCLE_1)
	s_or_b32 s8, s9, s8
	v_cvt_f32_i32_e32 v3, s8
	s_sub_i32 s8, 32, s10
	s_delay_alu instid0(VALU_DEP_1) | instid1(SALU_CYCLE_1)
	v_ldexp_f32 v3, v3, s8
	global_store_b64 v[1:2], v[3:4], off
.LBB31_870:
	s_mov_b32 s8, 0
.LBB31_871:
	s_delay_alu instid0(SALU_CYCLE_1)
	s_and_not1_b32 vcc_lo, exec_lo, s8
	s_cbranch_vccnz .LBB31_873
; %bb.872:
	s_xor_b32 s8, s2, s3
	s_cls_i32 s9, s3
	s_ashr_i32 s8, s8, 31
	s_add_i32 s9, s9, -1
	s_add_i32 s8, s8, 32
	s_delay_alu instid0(SALU_CYCLE_1) | instskip(NEXT) | instid1(SALU_CYCLE_1)
	s_min_u32 s10, s9, s8
	s_lshl_b64 s[8:9], s[2:3], s10
	s_delay_alu instid0(SALU_CYCLE_1) | instskip(NEXT) | instid1(SALU_CYCLE_1)
	s_min_u32 s8, s8, 1
	s_or_b32 s8, s9, s8
	s_delay_alu instid0(SALU_CYCLE_1)
	v_cvt_f32_i32_e32 v3, s8
	s_sub_i32 s8, 32, s10
	s_delay_alu instid0(VALU_DEP_1) | instid1(SALU_CYCLE_1)
	v_ldexp_f32 v3, v3, s8
	s_delay_alu instid0(VALU_DEP_1) | instskip(NEXT) | instid1(VALU_DEP_1)
	v_cvt_f16_f32_e32 v3, v3
	v_and_b32_e32 v3, 0xffff, v3
	global_store_b32 v[1:2], v3, off
.LBB31_873:
	s_mov_b32 s8, 0
.LBB31_874:
	s_delay_alu instid0(SALU_CYCLE_1)
	s_and_not1_b32 vcc_lo, exec_lo, s8
	s_cbranch_vccnz .LBB31_883
; %bb.875:
	v_cmp_lt_i16_e64 s8, s4, 6
	s_delay_alu instid0(VALU_DEP_1)
	s_and_b32 vcc_lo, exec_lo, s8
	s_mov_b32 s8, -1
	s_cbranch_vccnz .LBB31_881
; %bb.876:
	v_cmp_gt_i16_e64 s8, s4, 6
	s_delay_alu instid0(VALU_DEP_1)
	s_and_b32 vcc_lo, exec_lo, s8
	s_mov_b32 s8, -1
	s_cbranch_vccz .LBB31_878
; %bb.877:
	v_cvt_f64_i32_e32 v[3:4], s3
	v_cvt_f64_u32_e32 v[5:6], s2
	s_mov_b32 s8, 0
	s_delay_alu instid0(VALU_DEP_2) | instskip(NEXT) | instid1(VALU_DEP_1)
	v_ldexp_f64 v[3:4], v[3:4], 32
	v_add_f64 v[3:4], v[3:4], v[5:6]
	global_store_b64 v[1:2], v[3:4], off
.LBB31_878:
	s_and_not1_b32 vcc_lo, exec_lo, s8
	s_cbranch_vccnz .LBB31_880
; %bb.879:
	s_xor_b32 s8, s2, s3
	s_cls_i32 s9, s3
	s_ashr_i32 s8, s8, 31
	s_add_i32 s9, s9, -1
	s_add_i32 s8, s8, 32
	s_delay_alu instid0(SALU_CYCLE_1) | instskip(NEXT) | instid1(SALU_CYCLE_1)
	s_min_u32 s10, s9, s8
	s_lshl_b64 s[8:9], s[2:3], s10
	s_delay_alu instid0(SALU_CYCLE_1) | instskip(NEXT) | instid1(SALU_CYCLE_1)
	s_min_u32 s8, s8, 1
	s_or_b32 s8, s9, s8
	s_delay_alu instid0(SALU_CYCLE_1)
	v_cvt_f32_i32_e32 v3, s8
	s_sub_i32 s8, 32, s10
	s_delay_alu instid0(VALU_DEP_1) | instid1(SALU_CYCLE_1)
	v_ldexp_f32 v3, v3, s8
	global_store_b32 v[1:2], v3, off
.LBB31_880:
	s_mov_b32 s8, 0
.LBB31_881:
	s_delay_alu instid0(SALU_CYCLE_1)
	s_and_not1_b32 vcc_lo, exec_lo, s8
	s_cbranch_vccnz .LBB31_883
; %bb.882:
	s_xor_b32 s8, s2, s3
	s_cls_i32 s9, s3
	s_ashr_i32 s8, s8, 31
	s_add_i32 s9, s9, -1
	s_add_i32 s8, s8, 32
	s_delay_alu instid0(SALU_CYCLE_1) | instskip(NEXT) | instid1(SALU_CYCLE_1)
	s_min_u32 s10, s9, s8
	s_lshl_b64 s[8:9], s[2:3], s10
	s_delay_alu instid0(SALU_CYCLE_1) | instskip(NEXT) | instid1(SALU_CYCLE_1)
	s_min_u32 s8, s8, 1
	s_or_b32 s8, s9, s8
	s_delay_alu instid0(SALU_CYCLE_1)
	v_cvt_f32_i32_e32 v3, s8
	s_sub_i32 s8, 32, s10
	s_delay_alu instid0(VALU_DEP_1) | instid1(SALU_CYCLE_1)
	v_ldexp_f32 v3, v3, s8
	s_delay_alu instid0(VALU_DEP_1)
	v_cvt_f16_f32_e32 v3, v3
	global_store_b16 v[1:2], v3, off
.LBB31_883:
	s_mov_b32 s8, 0
.LBB31_884:
	s_delay_alu instid0(SALU_CYCLE_1)
	s_and_not1_b32 vcc_lo, exec_lo, s8
	s_cbranch_vccnz .LBB31_900
; %bb.885:
	v_cmp_lt_i16_e64 s8, s4, 2
	s_delay_alu instid0(VALU_DEP_1)
	s_and_b32 vcc_lo, exec_lo, s8
	s_mov_b32 s8, -1
	s_cbranch_vccnz .LBB31_895
; %bb.886:
	v_cmp_lt_i16_e64 s8, s4, 3
	s_delay_alu instid0(VALU_DEP_1)
	s_and_b32 vcc_lo, exec_lo, s8
	s_mov_b32 s8, -1
	s_cbranch_vccnz .LBB31_892
; %bb.887:
	v_cmp_gt_i16_e64 s8, s4, 3
	s_delay_alu instid0(VALU_DEP_1)
	s_and_b32 vcc_lo, exec_lo, s8
	s_mov_b32 s8, -1
	s_cbranch_vccz .LBB31_889
; %bb.888:
	v_dual_mov_b32 v4, s3 :: v_dual_mov_b32 v3, s2
	s_mov_b32 s8, 0
	global_store_b64 v[1:2], v[3:4], off
.LBB31_889:
	s_and_not1_b32 vcc_lo, exec_lo, s8
	s_cbranch_vccnz .LBB31_891
; %bb.890:
	v_mov_b32_e32 v3, s2
	global_store_b32 v[1:2], v3, off
.LBB31_891:
	s_mov_b32 s8, 0
.LBB31_892:
	s_delay_alu instid0(SALU_CYCLE_1)
	s_and_not1_b32 vcc_lo, exec_lo, s8
	s_cbranch_vccnz .LBB31_894
; %bb.893:
	v_mov_b32_e32 v3, s2
	global_store_b16 v[1:2], v3, off
.LBB31_894:
	s_mov_b32 s8, 0
.LBB31_895:
	s_delay_alu instid0(SALU_CYCLE_1)
	s_and_not1_b32 vcc_lo, exec_lo, s8
	s_cbranch_vccnz .LBB31_900
; %bb.896:
	v_cmp_gt_i16_e64 s8, s4, 0
	s_delay_alu instid0(VALU_DEP_1)
	s_and_b32 vcc_lo, exec_lo, s8
	s_mov_b32 s8, -1
	s_cbranch_vccz .LBB31_898
; %bb.897:
	v_mov_b32_e32 v3, s2
	s_mov_b32 s8, 0
	global_store_b8 v[1:2], v3, off
.LBB31_898:
	s_and_not1_b32 vcc_lo, exec_lo, s8
	s_cbranch_vccnz .LBB31_900
; %bb.899:
	v_mov_b32_e32 v3, s2
	global_store_b8 v[1:2], v3, off
.LBB31_900:
	s_mov_b32 s10, -1
.LBB31_901:
	s_delay_alu instid0(SALU_CYCLE_1)
	s_and_not1_b32 vcc_lo, exec_lo, s10
	s_cbranch_vccnz .LBB31_910
; %bb.902:
	v_cmp_lt_i16_e64 s9, s4, 11
	v_add_co_u32 v0, s0, s0, v0
	s_delay_alu instid0(VALU_DEP_1) | instskip(SKIP_1) | instid1(VALU_DEP_3)
	v_add_co_ci_u32_e64 v1, null, s1, 0, s0
	s_mov_b32 s8, 0
	s_and_b32 vcc_lo, exec_lo, s9
	s_mov_b32 s0, -1
	s_cbranch_vccnz .LBB31_911
; %bb.903:
	v_cmp_gt_i16_e64 s0, s4, 25
	s_mov_b32 s1, -1
	s_delay_alu instid0(VALU_DEP_1)
	s_and_b32 vcc_lo, exec_lo, s0
	s_mov_b32 s0, 0
	s_cbranch_vccz .LBB31_990
; %bb.904:
	v_cmp_gt_i16_e64 s0, s4, 28
	s_delay_alu instid0(VALU_DEP_1)
	s_and_b32 vcc_lo, exec_lo, s0
	s_cbranch_vccz .LBB31_955
; %bb.905:
	v_cmp_gt_i16_e64 s0, s4, 43
	s_delay_alu instid0(VALU_DEP_1)
	s_and_b32 vcc_lo, exec_lo, s0
	;; [unrolled: 5-line block ×3, first 2 shown]
	s_cbranch_vccz .LBB31_959
; %bb.907:
	v_cmp_eq_u16_e64 s0, s4, 46
	s_delay_alu instid0(VALU_DEP_1)
	s_and_b32 vcc_lo, exec_lo, s0
	s_mov_b32 s0, -1
	s_cbranch_vccz .LBB31_909
; %bb.908:
	s_xor_b32 s0, s2, s3
	s_cls_i32 s1, s3
	s_ashr_i32 s0, s0, 31
	s_add_i32 s1, s1, -1
	s_add_i32 s0, s0, 32
	s_delay_alu instid0(SALU_CYCLE_1) | instskip(NEXT) | instid1(SALU_CYCLE_1)
	s_min_u32 s9, s1, s0
	s_lshl_b64 s[0:1], s[2:3], s9
	s_delay_alu instid0(SALU_CYCLE_1) | instskip(NEXT) | instid1(SALU_CYCLE_1)
	s_min_u32 s0, s0, 1
	s_or_b32 s0, s1, s0
	s_delay_alu instid0(SALU_CYCLE_1)
	v_cvt_f32_i32_e32 v2, s0
	s_sub_i32 s0, 32, s9
	s_delay_alu instid0(VALU_DEP_1) | instid1(SALU_CYCLE_1)
	v_ldexp_f32 v2, v2, s0
	s_mov_b32 s0, 0
	s_delay_alu instid0(VALU_DEP_1) | instskip(NEXT) | instid1(VALU_DEP_1)
	v_bfe_u32 v3, v2, 16, 1
	v_add_nc_u32_e32 v2, v2, v3
	s_delay_alu instid0(VALU_DEP_1) | instskip(NEXT) | instid1(VALU_DEP_1)
	v_add_nc_u32_e32 v2, 0x7fff, v2
	v_lshrrev_b32_e32 v2, 16, v2
	global_store_b32 v[0:1], v2, off
.LBB31_909:
	s_mov_b32 s1, 0
	s_branch .LBB31_960
.LBB31_910:
	s_mov_b32 s0, 0
	s_mov_b32 s8, 0
                                        ; implicit-def: $sgpr4
                                        ; implicit-def: $vgpr0_vgpr1
.LBB31_911:
	s_and_b32 s9, s0, exec_lo
	s_and_not1_b32 s0, s6, exec_lo
	s_and_b32 s1, s5, exec_lo
	s_and_b32 s24, s8, exec_lo
	s_or_b32 s6, s0, s1
.LBB31_912:
	s_or_b32 exec_lo, exec_lo, s7
	s_and_saveexec_b32 s0, s6
	s_cbranch_execz .LBB31_915
; %bb.913:
	; divergent unreachable
	s_or_b32 exec_lo, exec_lo, s0
	s_and_saveexec_b32 s0, s24
	s_delay_alu instid0(SALU_CYCLE_1)
	s_xor_b32 s0, exec_lo, s0
	s_cbranch_execnz .LBB31_916
.LBB31_914:
	s_or_b32 exec_lo, exec_lo, s0
	s_and_saveexec_b32 s0, s9
	s_cbranch_execnz .LBB31_917
	s_branch .LBB31_954
.LBB31_915:
	s_or_b32 exec_lo, exec_lo, s0
	s_and_saveexec_b32 s0, s24
	s_delay_alu instid0(SALU_CYCLE_1)
	s_xor_b32 s0, exec_lo, s0
	s_cbranch_execz .LBB31_914
.LBB31_916:
	s_cmp_lg_u64 s[2:3], 0
	s_cselect_b32 s1, -1, 0
	s_delay_alu instid0(SALU_CYCLE_1)
	v_cndmask_b32_e64 v2, 0, 1, s1
	global_store_b8 v[0:1], v2, off
	s_or_b32 exec_lo, exec_lo, s0
	s_and_saveexec_b32 s0, s9
	s_cbranch_execz .LBB31_954
.LBB31_917:
	v_cmp_lt_i16_e64 s0, s4, 5
	s_delay_alu instid0(VALU_DEP_1)
	s_and_b32 vcc_lo, exec_lo, s0
	s_mov_b32 s0, -1
	s_cbranch_vccnz .LBB31_938
; %bb.918:
	v_cmp_lt_i16_e64 s0, s4, 8
	s_delay_alu instid0(VALU_DEP_1)
	s_and_b32 vcc_lo, exec_lo, s0
	s_mov_b32 s0, -1
	s_cbranch_vccnz .LBB31_928
; %bb.919:
	;; [unrolled: 6-line block ×3, first 2 shown]
	v_cmp_gt_i16_e64 s0, s4, 9
	s_delay_alu instid0(VALU_DEP_1)
	s_and_b32 vcc_lo, exec_lo, s0
	s_mov_b32 s0, -1
	s_cbranch_vccz .LBB31_922
; %bb.921:
	v_cvt_f64_i32_e32 v[2:3], s3
	v_cvt_f64_u32_e32 v[4:5], s2
	s_mov_b32 s0, 0
	s_delay_alu instid0(VALU_DEP_2) | instskip(NEXT) | instid1(VALU_DEP_1)
	v_ldexp_f64 v[2:3], v[2:3], 32
	v_add_f64 v[2:3], v[2:3], v[4:5]
	v_mov_b32_e32 v4, 0
	s_delay_alu instid0(VALU_DEP_1)
	v_mov_b32_e32 v5, v4
	global_store_b128 v[0:1], v[2:5], off
.LBB31_922:
	s_and_not1_b32 vcc_lo, exec_lo, s0
	s_cbranch_vccnz .LBB31_924
; %bb.923:
	s_xor_b32 s0, s2, s3
	s_cls_i32 s1, s3
	s_ashr_i32 s0, s0, 31
	s_add_i32 s1, s1, -1
	s_add_i32 s0, s0, 32
	v_mov_b32_e32 v3, 0
	s_min_u32 s5, s1, s0
	s_delay_alu instid0(SALU_CYCLE_1) | instskip(NEXT) | instid1(SALU_CYCLE_1)
	s_lshl_b64 s[0:1], s[2:3], s5
	s_min_u32 s0, s0, 1
	s_delay_alu instid0(SALU_CYCLE_1) | instskip(NEXT) | instid1(SALU_CYCLE_1)
	s_or_b32 s0, s1, s0
	v_cvt_f32_i32_e32 v2, s0
	s_sub_i32 s0, 32, s5
	s_delay_alu instid0(VALU_DEP_1) | instid1(SALU_CYCLE_1)
	v_ldexp_f32 v2, v2, s0
	global_store_b64 v[0:1], v[2:3], off
.LBB31_924:
	s_mov_b32 s0, 0
.LBB31_925:
	s_delay_alu instid0(SALU_CYCLE_1)
	s_and_not1_b32 vcc_lo, exec_lo, s0
	s_cbranch_vccnz .LBB31_927
; %bb.926:
	s_xor_b32 s0, s2, s3
	s_cls_i32 s1, s3
	s_ashr_i32 s0, s0, 31
	s_add_i32 s1, s1, -1
	s_add_i32 s0, s0, 32
	s_delay_alu instid0(SALU_CYCLE_1) | instskip(NEXT) | instid1(SALU_CYCLE_1)
	s_min_u32 s5, s1, s0
	s_lshl_b64 s[0:1], s[2:3], s5
	s_delay_alu instid0(SALU_CYCLE_1) | instskip(NEXT) | instid1(SALU_CYCLE_1)
	s_min_u32 s0, s0, 1
	s_or_b32 s0, s1, s0
	s_delay_alu instid0(SALU_CYCLE_1)
	v_cvt_f32_i32_e32 v2, s0
	s_sub_i32 s0, 32, s5
	s_delay_alu instid0(VALU_DEP_1) | instid1(SALU_CYCLE_1)
	v_ldexp_f32 v2, v2, s0
	s_delay_alu instid0(VALU_DEP_1) | instskip(NEXT) | instid1(VALU_DEP_1)
	v_cvt_f16_f32_e32 v2, v2
	v_and_b32_e32 v2, 0xffff, v2
	global_store_b32 v[0:1], v2, off
.LBB31_927:
	s_mov_b32 s0, 0
.LBB31_928:
	s_delay_alu instid0(SALU_CYCLE_1)
	s_and_not1_b32 vcc_lo, exec_lo, s0
	s_cbranch_vccnz .LBB31_937
; %bb.929:
	v_cmp_lt_i16_e64 s0, s4, 6
	s_delay_alu instid0(VALU_DEP_1)
	s_and_b32 vcc_lo, exec_lo, s0
	s_mov_b32 s0, -1
	s_cbranch_vccnz .LBB31_935
; %bb.930:
	v_cmp_gt_i16_e64 s0, s4, 6
	s_delay_alu instid0(VALU_DEP_1)
	s_and_b32 vcc_lo, exec_lo, s0
	s_mov_b32 s0, -1
	s_cbranch_vccz .LBB31_932
; %bb.931:
	v_cvt_f64_i32_e32 v[2:3], s3
	v_cvt_f64_u32_e32 v[4:5], s2
	s_mov_b32 s0, 0
	s_delay_alu instid0(VALU_DEP_2) | instskip(NEXT) | instid1(VALU_DEP_1)
	v_ldexp_f64 v[2:3], v[2:3], 32
	v_add_f64 v[2:3], v[2:3], v[4:5]
	global_store_b64 v[0:1], v[2:3], off
.LBB31_932:
	s_and_not1_b32 vcc_lo, exec_lo, s0
	s_cbranch_vccnz .LBB31_934
; %bb.933:
	s_xor_b32 s0, s2, s3
	s_cls_i32 s1, s3
	s_ashr_i32 s0, s0, 31
	s_add_i32 s1, s1, -1
	s_add_i32 s0, s0, 32
	s_delay_alu instid0(SALU_CYCLE_1) | instskip(NEXT) | instid1(SALU_CYCLE_1)
	s_min_u32 s5, s1, s0
	s_lshl_b64 s[0:1], s[2:3], s5
	s_delay_alu instid0(SALU_CYCLE_1) | instskip(NEXT) | instid1(SALU_CYCLE_1)
	s_min_u32 s0, s0, 1
	s_or_b32 s0, s1, s0
	s_delay_alu instid0(SALU_CYCLE_1)
	v_cvt_f32_i32_e32 v2, s0
	s_sub_i32 s0, 32, s5
	s_delay_alu instid0(VALU_DEP_1) | instid1(SALU_CYCLE_1)
	v_ldexp_f32 v2, v2, s0
	global_store_b32 v[0:1], v2, off
.LBB31_934:
	s_mov_b32 s0, 0
.LBB31_935:
	s_delay_alu instid0(SALU_CYCLE_1)
	s_and_not1_b32 vcc_lo, exec_lo, s0
	s_cbranch_vccnz .LBB31_937
; %bb.936:
	s_xor_b32 s0, s2, s3
	s_cls_i32 s1, s3
	s_ashr_i32 s0, s0, 31
	s_add_i32 s1, s1, -1
	s_add_i32 s0, s0, 32
	s_delay_alu instid0(SALU_CYCLE_1) | instskip(NEXT) | instid1(SALU_CYCLE_1)
	s_min_u32 s5, s1, s0
	s_lshl_b64 s[0:1], s[2:3], s5
	s_delay_alu instid0(SALU_CYCLE_1) | instskip(NEXT) | instid1(SALU_CYCLE_1)
	s_min_u32 s0, s0, 1
	s_or_b32 s0, s1, s0
	s_delay_alu instid0(SALU_CYCLE_1)
	v_cvt_f32_i32_e32 v2, s0
	s_sub_i32 s0, 32, s5
	s_delay_alu instid0(VALU_DEP_1) | instid1(SALU_CYCLE_1)
	v_ldexp_f32 v2, v2, s0
	s_delay_alu instid0(VALU_DEP_1)
	v_cvt_f16_f32_e32 v2, v2
	global_store_b16 v[0:1], v2, off
.LBB31_937:
	s_mov_b32 s0, 0
.LBB31_938:
	s_delay_alu instid0(SALU_CYCLE_1)
	s_and_not1_b32 vcc_lo, exec_lo, s0
	s_cbranch_vccnz .LBB31_954
; %bb.939:
	v_cmp_lt_i16_e64 s0, s4, 2
	s_delay_alu instid0(VALU_DEP_1)
	s_and_b32 vcc_lo, exec_lo, s0
	s_mov_b32 s0, -1
	s_cbranch_vccnz .LBB31_949
; %bb.940:
	v_cmp_lt_i16_e64 s0, s4, 3
	s_delay_alu instid0(VALU_DEP_1)
	s_and_b32 vcc_lo, exec_lo, s0
	s_mov_b32 s0, -1
	s_cbranch_vccnz .LBB31_946
; %bb.941:
	v_cmp_gt_i16_e64 s0, s4, 3
	s_delay_alu instid0(VALU_DEP_1)
	s_and_b32 vcc_lo, exec_lo, s0
	s_mov_b32 s0, -1
	s_cbranch_vccz .LBB31_943
; %bb.942:
	v_dual_mov_b32 v2, s2 :: v_dual_mov_b32 v3, s3
	s_mov_b32 s0, 0
	global_store_b64 v[0:1], v[2:3], off
.LBB31_943:
	s_and_not1_b32 vcc_lo, exec_lo, s0
	s_cbranch_vccnz .LBB31_945
; %bb.944:
	v_mov_b32_e32 v2, s2
	global_store_b32 v[0:1], v2, off
.LBB31_945:
	s_mov_b32 s0, 0
.LBB31_946:
	s_delay_alu instid0(SALU_CYCLE_1)
	s_and_not1_b32 vcc_lo, exec_lo, s0
	s_cbranch_vccnz .LBB31_948
; %bb.947:
	v_mov_b32_e32 v2, s2
	global_store_b16 v[0:1], v2, off
.LBB31_948:
	s_mov_b32 s0, 0
.LBB31_949:
	s_delay_alu instid0(SALU_CYCLE_1)
	s_and_not1_b32 vcc_lo, exec_lo, s0
	s_cbranch_vccnz .LBB31_954
; %bb.950:
	v_cmp_gt_i16_e64 s0, s4, 0
	s_delay_alu instid0(VALU_DEP_1)
	s_and_b32 vcc_lo, exec_lo, s0
	s_mov_b32 s0, -1
	s_cbranch_vccz .LBB31_952
; %bb.951:
	v_mov_b32_e32 v2, s2
	s_mov_b32 s0, 0
	global_store_b8 v[0:1], v2, off
.LBB31_952:
	s_and_not1_b32 vcc_lo, exec_lo, s0
	s_cbranch_vccnz .LBB31_954
; %bb.953:
	v_mov_b32_e32 v2, s2
	global_store_b8 v[0:1], v2, off
	s_nop 0
	s_sendmsg sendmsg(MSG_DEALLOC_VGPRS)
	s_endpgm
.LBB31_954:
	s_nop 0
	s_sendmsg sendmsg(MSG_DEALLOC_VGPRS)
	s_endpgm
.LBB31_955:
	s_mov_b32 s0, 0
	s_branch .LBB31_970
.LBB31_956:
	s_mov_b32 s0, 0
	s_branch .LBB31_966
.LBB31_957:
	s_cbranch_execnz .LBB31_981
; %bb.958:
	s_or_b32 s5, s5, exec_lo
	s_cbranch_execz .LBB31_860
	s_branch .LBB31_861
.LBB31_959:
	s_mov_b32 s0, 0
.LBB31_960:
	s_and_b32 vcc_lo, exec_lo, s1
	s_cbranch_vccz .LBB31_965
; %bb.961:
	v_cmp_eq_u16_e64 s0, s4, 44
	s_delay_alu instid0(VALU_DEP_1)
	s_and_b32 vcc_lo, exec_lo, s0
	s_mov_b32 s0, -1
	s_cbranch_vccz .LBB31_965
; %bb.962:
	s_xor_b32 s0, s2, s3
	s_cls_i32 s1, s3
	s_ashr_i32 s0, s0, 31
	s_add_i32 s1, s1, -1
	s_add_i32 s0, s0, 32
	v_mov_b32_e32 v3, 0xff
	s_min_u32 s9, s1, s0
	s_delay_alu instid0(SALU_CYCLE_1) | instskip(NEXT) | instid1(SALU_CYCLE_1)
	s_lshl_b64 s[0:1], s[2:3], s9
	s_min_u32 s0, s0, 1
	s_delay_alu instid0(SALU_CYCLE_1) | instskip(NEXT) | instid1(SALU_CYCLE_1)
	s_or_b32 s0, s1, s0
	v_cvt_f32_i32_e32 v2, s0
	s_sub_i32 s0, 32, s9
	s_delay_alu instid0(VALU_DEP_1) | instid1(SALU_CYCLE_1)
	v_ldexp_f32 v2, v2, s0
	s_delay_alu instid0(VALU_DEP_1) | instskip(NEXT) | instid1(VALU_DEP_1)
	v_readfirstlane_b32 s0, v2
	s_bfe_u32 s1, s0, 0x80017
	s_delay_alu instid0(SALU_CYCLE_1)
	s_cmpk_eq_i32 s1, 0xff
	s_cbranch_scc1 .LBB31_964
; %bb.963:
	s_bitcmp1_b32 s0, 22
	v_lshrrev_b32_e32 v2, 23, v2
	s_cselect_b32 s9, -1, 0
	s_and_b32 s0, s0, 0x3fffff
	s_delay_alu instid0(SALU_CYCLE_1) | instskip(NEXT) | instid1(SALU_CYCLE_1)
	s_or_b32 s0, s1, s0
	s_cmp_lg_u32 s0, 0
	s_cselect_b32 s0, -1, 0
	s_delay_alu instid0(SALU_CYCLE_1) | instskip(NEXT) | instid1(SALU_CYCLE_1)
	s_and_b32 s0, s9, s0
	v_cndmask_b32_e64 v3, 0, 1, s0
	s_delay_alu instid0(VALU_DEP_1)
	v_add_nc_u32_e32 v3, v2, v3
.LBB31_964:
	s_mov_b32 s0, 0
	global_store_b8 v[0:1], v3, off
.LBB31_965:
	s_mov_b32 s1, 0
.LBB31_966:
	s_delay_alu instid0(SALU_CYCLE_1)
	s_and_b32 vcc_lo, exec_lo, s1
	s_cbranch_vccz .LBB31_969
; %bb.967:
	v_cmp_eq_u16_e64 s0, s4, 29
	s_delay_alu instid0(VALU_DEP_1)
	s_and_b32 vcc_lo, exec_lo, s0
	s_mov_b32 s0, -1
	s_cbranch_vccz .LBB31_969
; %bb.968:
	v_dual_mov_b32 v2, s2 :: v_dual_mov_b32 v3, s3
	s_mov_b32 s0, 0
	global_store_b64 v[0:1], v[2:3], off
.LBB31_969:
	s_mov_b32 s1, 0
.LBB31_970:
	s_delay_alu instid0(SALU_CYCLE_1)
	s_and_b32 vcc_lo, exec_lo, s1
	s_cbranch_vccz .LBB31_989
; %bb.971:
	v_cmp_lt_i16_e64 s1, s4, 27
	s_delay_alu instid0(VALU_DEP_1)
	s_and_b32 vcc_lo, exec_lo, s1
	s_mov_b32 s1, -1
	s_cbranch_vccnz .LBB31_977
; %bb.972:
	v_cmp_gt_i16_e64 s1, s4, 27
	s_delay_alu instid0(VALU_DEP_1)
	s_and_b32 vcc_lo, exec_lo, s1
	s_mov_b32 s1, -1
	s_cbranch_vccz .LBB31_974
; %bb.973:
	v_mov_b32_e32 v2, s2
	s_mov_b32 s1, 0
	global_store_b32 v[0:1], v2, off
.LBB31_974:
	s_and_not1_b32 vcc_lo, exec_lo, s1
	s_cbranch_vccnz .LBB31_976
; %bb.975:
	v_mov_b32_e32 v2, s2
	global_store_b16 v[0:1], v2, off
.LBB31_976:
	s_mov_b32 s1, 0
.LBB31_977:
	s_delay_alu instid0(SALU_CYCLE_1)
	s_and_not1_b32 vcc_lo, exec_lo, s1
	s_cbranch_vccnz .LBB31_989
; %bb.978:
	s_xor_b32 s1, s2, s3
	s_cls_i32 s9, s3
	s_ashr_i32 s1, s1, 31
	s_add_i32 s9, s9, -1
	s_add_i32 s1, s1, 32
	v_mov_b32_e32 v3, 0x80
	s_min_u32 s1, s9, s1
	s_delay_alu instid0(SALU_CYCLE_1) | instskip(SKIP_4) | instid1(SALU_CYCLE_1)
	s_lshl_b64 s[10:11], s[2:3], s1
	s_sub_i32 s1, 32, s1
	s_min_u32 s9, s10, 1
	s_mov_b32 s10, -1
	s_or_b32 s9, s11, s9
	v_cvt_f32_i32_e32 v2, s9
	s_delay_alu instid0(VALU_DEP_1) | instskip(NEXT) | instid1(VALU_DEP_1)
	v_ldexp_f32 v2, v2, s1
	v_readfirstlane_b32 s1, v2
	s_delay_alu instid0(VALU_DEP_1) | instskip(NEXT) | instid1(SALU_CYCLE_1)
	s_and_b32 s9, s1, 0x7fffffff
	s_cmp_gt_u32 s9, 0x437fffff
	s_cbranch_scc1 .LBB31_988
; %bb.979:
	s_cmp_gt_u32 s9, 0x3bffffff
	s_cbranch_scc0 .LBB31_983
; %bb.980:
	s_bfe_u32 s9, s1, 0x10014
	s_mov_b32 s10, 0
	s_add_i32 s9, s1, s9
	s_delay_alu instid0(SALU_CYCLE_1) | instskip(NEXT) | instid1(SALU_CYCLE_1)
	s_add_i32 s9, s9, 0x487ffff
	s_lshr_b32 s11, s9, 20
	s_mov_b32 s9, -1
	s_branch .LBB31_984
.LBB31_981:
	s_trap 2
	s_sendmsg_rtn_b32 s0, sendmsg(MSG_RTN_GET_DOORBELL)
	s_mov_b32 ttmp2, m0
	s_waitcnt lgkmcnt(0)
	s_and_b32 s0, s0, 0x3ff
	s_delay_alu instid0(SALU_CYCLE_1) | instskip(NEXT) | instid1(SALU_CYCLE_1)
	s_bitset1_b32 s0, 10
	s_mov_b32 m0, s0
	s_sendmsg sendmsg(MSG_INTERRUPT)
	s_mov_b32 m0, ttmp2
.LBB31_982:                             ; =>This Inner Loop Header: Depth=1
	s_sethalt 5
	s_branch .LBB31_982
.LBB31_983:
	s_mov_b32 s9, 0
                                        ; implicit-def: $sgpr11
.LBB31_984:
	v_mov_b32_e32 v2, s11
	s_and_not1_b32 vcc_lo, exec_lo, s10
                                        ; implicit-def: $sgpr10
	s_cbranch_vccnz .LBB31_986
; %bb.985:
	v_add_f32_e64 v2, 0x46000000, |s1|
	s_mov_b32 s10, 0
	s_delay_alu instid0(VALU_DEP_1) | instskip(NEXT) | instid1(VALU_DEP_1)
	v_and_b32_e32 v2, 0xff, v2
	v_cmp_ne_u32_e64 s9, 0, v2
.LBB31_986:
	v_mov_b32_e32 v3, s10
	s_delay_alu instid0(VALU_DEP_2)
	s_and_not1_b32 vcc_lo, exec_lo, s9
	s_cbranch_vccnz .LBB31_988
; %bb.987:
	s_lshr_b32 s1, s1, 24
	s_delay_alu instid0(SALU_CYCLE_1) | instskip(NEXT) | instid1(SALU_CYCLE_1)
	s_and_b32 s1, s1, 0x80
	v_or_b32_e32 v3, s1, v2
.LBB31_988:
	global_store_b8 v[0:1], v3, off
.LBB31_989:
	s_mov_b32 s1, 0
.LBB31_990:
	s_delay_alu instid0(SALU_CYCLE_1)
	s_and_b32 vcc_lo, exec_lo, s1
	s_cbranch_vccz .LBB31_1036
; %bb.991:
	v_cmp_gt_i16_e64 s1, s4, 22
	s_delay_alu instid0(VALU_DEP_1)
	s_and_b32 vcc_lo, exec_lo, s1
	s_mov_b32 s1, -1
	s_cbranch_vccz .LBB31_1029
; %bb.992:
	v_cmp_lt_i16_e64 s1, s4, 24
	s_delay_alu instid0(VALU_DEP_1)
	s_and_b32 vcc_lo, exec_lo, s1
	s_mov_b32 s1, -1
	s_cbranch_vccnz .LBB31_1016
; %bb.993:
	v_cmp_gt_i16_e64 s1, s4, 24
	s_delay_alu instid0(VALU_DEP_1)
	s_and_b32 vcc_lo, exec_lo, s1
	s_mov_b32 s1, -1
	s_cbranch_vccz .LBB31_1003
; %bb.994:
	s_xor_b32 s1, s2, s3
	s_cls_i32 s8, s3
	s_ashr_i32 s1, s1, 31
	s_add_i32 s8, s8, -1
	s_add_i32 s1, s1, 32
	v_mov_b32_e32 v3, 0x80
	s_min_u32 s1, s8, s1
	s_delay_alu instid0(SALU_CYCLE_1) | instskip(SKIP_2) | instid1(SALU_CYCLE_1)
	s_lshl_b64 s[8:9], s[2:3], s1
	s_sub_i32 s1, 32, s1
	s_min_u32 s8, s8, 1
	s_or_b32 s8, s9, s8
	s_mov_b32 s9, -1
	v_cvt_f32_i32_e32 v2, s8
	s_delay_alu instid0(VALU_DEP_1) | instskip(NEXT) | instid1(VALU_DEP_1)
	v_ldexp_f32 v2, v2, s1
	v_readfirstlane_b32 s1, v2
	s_delay_alu instid0(VALU_DEP_1) | instskip(NEXT) | instid1(SALU_CYCLE_1)
	s_and_b32 s8, s1, 0x7fffffff
	s_cmp_gt_u32 s8, 0x477fffff
	s_cbranch_scc1 .LBB31_1002
; %bb.995:
	s_cmp_gt_u32 s8, 0x37ffffff
	s_cbranch_scc0 .LBB31_997
; %bb.996:
	s_bfe_u32 s8, s1, 0x10015
	s_mov_b32 s9, 0
	s_add_i32 s8, s1, s8
	s_delay_alu instid0(SALU_CYCLE_1) | instskip(NEXT) | instid1(SALU_CYCLE_1)
	s_add_i32 s8, s8, 0x88fffff
	s_lshr_b32 s10, s8, 21
	s_mov_b32 s8, -1
	s_branch .LBB31_998
.LBB31_997:
	s_mov_b32 s8, 0
                                        ; implicit-def: $sgpr10
.LBB31_998:
	v_mov_b32_e32 v2, s10
	s_and_not1_b32 vcc_lo, exec_lo, s9
                                        ; implicit-def: $sgpr9
	s_cbranch_vccnz .LBB31_1000
; %bb.999:
	v_add_f32_e64 v2, 0x42800000, |s1|
	s_mov_b32 s9, 0
	s_delay_alu instid0(VALU_DEP_1) | instskip(NEXT) | instid1(VALU_DEP_1)
	v_and_b32_e32 v2, 0xff, v2
	v_cmp_ne_u32_e64 s8, 0, v2
.LBB31_1000:
	v_mov_b32_e32 v3, s9
	s_delay_alu instid0(VALU_DEP_2)
	s_and_not1_b32 vcc_lo, exec_lo, s8
	s_cbranch_vccnz .LBB31_1002
; %bb.1001:
	s_lshr_b32 s1, s1, 24
	s_delay_alu instid0(SALU_CYCLE_1) | instskip(NEXT) | instid1(SALU_CYCLE_1)
	s_and_b32 s1, s1, 0x80
	v_or_b32_e32 v3, s1, v2
.LBB31_1002:
	s_mov_b32 s1, 0
	global_store_b8 v[0:1], v3, off
.LBB31_1003:
	s_and_b32 vcc_lo, exec_lo, s1
	s_cbranch_vccz .LBB31_1015
; %bb.1004:
	s_xor_b32 s1, s2, s3
	s_cls_i32 s8, s3
	s_ashr_i32 s1, s1, 31
	s_add_i32 s8, s8, -1
	s_add_i32 s1, s1, 32
	s_delay_alu instid0(SALU_CYCLE_1) | instskip(NEXT) | instid1(SALU_CYCLE_1)
	s_min_u32 s1, s8, s1
	s_lshl_b64 s[8:9], s[2:3], s1
	s_sub_i32 s1, 32, s1
	s_min_u32 s8, s8, 1
	s_delay_alu instid0(SALU_CYCLE_1) | instskip(SKIP_2) | instid1(VALU_DEP_1)
	s_or_b32 s8, s9, s8
	s_mov_b32 s9, -1
	v_cvt_f32_i32_e32 v2, s8
	v_ldexp_f32 v2, v2, s1
	s_delay_alu instid0(VALU_DEP_1) | instskip(NEXT) | instid1(VALU_DEP_1)
	v_readfirstlane_b32 s1, v2
	s_and_b32 s8, s1, 0x7fffffff
	s_delay_alu instid0(SALU_CYCLE_1)
	s_cmp_lt_u32 s8, 0x43f00000
	s_cbranch_scc0 .LBB31_1007
; %bb.1005:
	s_cmp_gt_u32 s8, 0x3c7fffff
	s_cbranch_scc0 .LBB31_1008
; %bb.1006:
	s_bfe_u32 s9, s1, 0x10014
	s_delay_alu instid0(SALU_CYCLE_1) | instskip(NEXT) | instid1(SALU_CYCLE_1)
	s_add_i32 s9, s1, s9
	s_add_i32 s9, s9, 0x407ffff
	s_delay_alu instid0(SALU_CYCLE_1)
	s_and_b32 s10, s9, 0xff00000
	s_lshr_b32 s9, s9, 20
	s_cmp_lg_u32 s10, 0x7f00000
	s_cselect_b32 s10, s9, 0x7e
	s_mov_b32 s9, 0
	s_branch .LBB31_1009
.LBB31_1007:
                                        ; implicit-def: $vgpr3
	s_branch .LBB31_1012
.LBB31_1008:
                                        ; implicit-def: $sgpr10
.LBB31_1009:
	v_mov_b32_e32 v3, s10
	s_and_not1_b32 vcc_lo, exec_lo, s9
	s_cbranch_vccnz .LBB31_1011
; %bb.1010:
	v_add_f32_e64 v3, 0x46800000, |v2|
.LBB31_1011:
	s_mov_b32 s9, 0
.LBB31_1012:
	s_delay_alu instid0(SALU_CYCLE_1)
	s_and_not1_b32 vcc_lo, exec_lo, s9
	s_cbranch_vccnz .LBB31_1014
; %bb.1013:
	s_cmp_gt_u32 s8, 0x7f800000
	s_movk_i32 s8, 0x7f
	s_delay_alu instid0(SALU_CYCLE_1) | instskip(NEXT) | instid1(SALU_CYCLE_1)
	s_cselect_b32 s8, s8, 0x7e
	v_mov_b32_e32 v3, s8
.LBB31_1014:
	s_lshr_b32 s1, s1, 24
	s_delay_alu instid0(SALU_CYCLE_1)
	s_and_b32 s1, s1, 0x80
	s_delay_alu instid0(VALU_DEP_1) | instid1(SALU_CYCLE_1)
	v_or_b32_e32 v2, s1, v3
	global_store_b8 v[0:1], v2, off
.LBB31_1015:
	s_mov_b32 s1, 0
.LBB31_1016:
	s_delay_alu instid0(SALU_CYCLE_1)
	s_and_not1_b32 vcc_lo, exec_lo, s1
	s_cbranch_vccnz .LBB31_1028
; %bb.1017:
	s_xor_b32 s1, s2, s3
	s_cls_i32 s8, s3
	s_ashr_i32 s1, s1, 31
	s_add_i32 s8, s8, -1
	s_add_i32 s1, s1, 32
	s_delay_alu instid0(SALU_CYCLE_1) | instskip(NEXT) | instid1(SALU_CYCLE_1)
	s_min_u32 s1, s8, s1
	s_lshl_b64 s[8:9], s[2:3], s1
	s_sub_i32 s1, 32, s1
	s_min_u32 s8, s8, 1
	s_delay_alu instid0(SALU_CYCLE_1) | instskip(SKIP_2) | instid1(VALU_DEP_1)
	s_or_b32 s8, s9, s8
	s_mov_b32 s9, -1
	v_cvt_f32_i32_e32 v2, s8
	v_ldexp_f32 v2, v2, s1
	s_delay_alu instid0(VALU_DEP_1) | instskip(NEXT) | instid1(VALU_DEP_1)
	v_readfirstlane_b32 s1, v2
	s_and_b32 s8, s1, 0x7fffffff
	s_delay_alu instid0(SALU_CYCLE_1)
	s_cmp_lt_u32 s8, 0x47800000
	s_cbranch_scc0 .LBB31_1020
; %bb.1018:
	s_cmp_gt_u32 s8, 0x387fffff
	s_cbranch_scc0 .LBB31_1021
; %bb.1019:
	s_bfe_u32 s9, s1, 0x10015
	s_delay_alu instid0(SALU_CYCLE_1) | instskip(NEXT) | instid1(SALU_CYCLE_1)
	s_add_i32 s9, s1, s9
	s_add_i32 s9, s9, 0x80fffff
	s_delay_alu instid0(SALU_CYCLE_1)
	s_lshr_b32 s10, s9, 21
	s_mov_b32 s9, 0
	s_branch .LBB31_1022
.LBB31_1020:
                                        ; implicit-def: $vgpr3
	s_branch .LBB31_1025
.LBB31_1021:
                                        ; implicit-def: $sgpr10
.LBB31_1022:
	v_mov_b32_e32 v3, s10
	s_and_not1_b32 vcc_lo, exec_lo, s9
	s_cbranch_vccnz .LBB31_1024
; %bb.1023:
	v_add_f32_e64 v3, 0x43000000, |v2|
.LBB31_1024:
	s_mov_b32 s9, 0
.LBB31_1025:
	s_delay_alu instid0(SALU_CYCLE_1)
	s_and_not1_b32 vcc_lo, exec_lo, s9
	s_cbranch_vccnz .LBB31_1027
; %bb.1026:
	s_cmp_gt_u32 s8, 0x7f800000
	s_movk_i32 s8, 0x7f
	s_delay_alu instid0(SALU_CYCLE_1) | instskip(NEXT) | instid1(SALU_CYCLE_1)
	s_cselect_b32 s8, s8, 0x7c
	v_mov_b32_e32 v3, s8
.LBB31_1027:
	s_lshr_b32 s1, s1, 24
	s_delay_alu instid0(SALU_CYCLE_1)
	s_and_b32 s1, s1, 0x80
	s_delay_alu instid0(VALU_DEP_1) | instid1(SALU_CYCLE_1)
	v_or_b32_e32 v2, s1, v3
	global_store_b8 v[0:1], v2, off
.LBB31_1028:
	s_mov_b32 s1, 0
.LBB31_1029:
	s_delay_alu instid0(SALU_CYCLE_1)
	s_and_not1_b32 vcc_lo, exec_lo, s1
	s_mov_b32 s8, 0
	s_cbranch_vccnz .LBB31_1036
; %bb.1030:
	v_cmp_gt_i16_e64 s1, s4, 14
	s_delay_alu instid0(VALU_DEP_1)
	s_and_b32 vcc_lo, exec_lo, s1
	s_mov_b32 s1, -1
	s_cbranch_vccz .LBB31_1034
; %bb.1031:
	v_cmp_eq_u16_e64 s0, s4, 15
	s_delay_alu instid0(VALU_DEP_1)
	s_and_b32 vcc_lo, exec_lo, s0
	s_mov_b32 s0, -1
	s_cbranch_vccz .LBB31_1033
; %bb.1032:
	s_xor_b32 s0, s2, s3
	s_cls_i32 s1, s3
	s_ashr_i32 s0, s0, 31
	s_add_i32 s1, s1, -1
	s_add_i32 s0, s0, 32
	s_delay_alu instid0(SALU_CYCLE_1) | instskip(NEXT) | instid1(SALU_CYCLE_1)
	s_min_u32 s8, s1, s0
	s_lshl_b64 s[0:1], s[2:3], s8
	s_delay_alu instid0(SALU_CYCLE_1) | instskip(NEXT) | instid1(SALU_CYCLE_1)
	s_min_u32 s0, s0, 1
	s_or_b32 s0, s1, s0
	s_delay_alu instid0(SALU_CYCLE_1)
	v_cvt_f32_i32_e32 v2, s0
	s_sub_i32 s0, 32, s8
	s_delay_alu instid0(VALU_DEP_1) | instid1(SALU_CYCLE_1)
	v_ldexp_f32 v2, v2, s0
	s_mov_b32 s0, 0
	s_delay_alu instid0(VALU_DEP_1) | instskip(NEXT) | instid1(VALU_DEP_1)
	v_bfe_u32 v3, v2, 16, 1
	v_add_nc_u32_e32 v2, v2, v3
	s_delay_alu instid0(VALU_DEP_1)
	v_add_nc_u32_e32 v2, 0x7fff, v2
	global_store_d16_hi_b16 v[0:1], v2, off
.LBB31_1033:
	s_mov_b32 s1, 0
.LBB31_1034:
	s_delay_alu instid0(SALU_CYCLE_1)
	s_and_b32 vcc_lo, exec_lo, s1
	s_mov_b32 s8, 0
	s_cbranch_vccz .LBB31_1036
; %bb.1035:
	v_cmp_ne_u16_e64 s0, s4, 11
	s_mov_b32 s8, -1
.LBB31_1036:
	s_delay_alu instid0(VALU_DEP_1)
	s_and_b32 vcc_lo, exec_lo, s0
	s_cbranch_vccnz .LBB31_1038
.LBB31_1037:
	s_mov_b32 s0, 0
	s_branch .LBB31_911
.LBB31_1038:
	s_cbranch_execnz .LBB31_1040
; %bb.1039:
	s_mov_b32 s8, 0
	s_or_b32 s5, s5, exec_lo
	s_branch .LBB31_1037
.LBB31_1040:
	s_trap 2
	s_sendmsg_rtn_b32 s0, sendmsg(MSG_RTN_GET_DOORBELL)
	s_mov_b32 ttmp2, m0
	s_waitcnt lgkmcnt(0)
	s_and_b32 s0, s0, 0x3ff
	s_delay_alu instid0(SALU_CYCLE_1) | instskip(NEXT) | instid1(SALU_CYCLE_1)
	s_bitset1_b32 s0, 10
	s_mov_b32 m0, s0
	s_sendmsg sendmsg(MSG_INTERRUPT)
	s_mov_b32 m0, ttmp2
.LBB31_1041:                            ; =>This Inner Loop Header: Depth=1
	s_sethalt 5
	s_branch .LBB31_1041
	.section	.rodata,"a",@progbits
	.p2align	6, 0x0
	.amdhsa_kernel _ZN2at6native32elementwise_kernel_manual_unrollILi128ELi4EZNS0_15gpu_kernel_implINS0_11FillFunctorIlEEEEvRNS_18TensorIteratorBaseERKT_EUlibE0_EEviT1_
		.amdhsa_group_segment_fixed_size 0
		.amdhsa_private_segment_fixed_size 0
		.amdhsa_kernarg_size 296
		.amdhsa_user_sgpr_count 15
		.amdhsa_user_sgpr_dispatch_ptr 0
		.amdhsa_user_sgpr_queue_ptr 0
		.amdhsa_user_sgpr_kernarg_segment_ptr 1
		.amdhsa_user_sgpr_dispatch_id 0
		.amdhsa_user_sgpr_private_segment_size 0
		.amdhsa_wavefront_size32 1
		.amdhsa_uses_dynamic_stack 0
		.amdhsa_enable_private_segment 0
		.amdhsa_system_sgpr_workgroup_id_x 1
		.amdhsa_system_sgpr_workgroup_id_y 0
		.amdhsa_system_sgpr_workgroup_id_z 0
		.amdhsa_system_sgpr_workgroup_info 0
		.amdhsa_system_vgpr_workitem_id 0
		.amdhsa_next_free_vgpr 21
		.amdhsa_next_free_sgpr 76
		.amdhsa_reserve_vcc 1
		.amdhsa_float_round_mode_32 0
		.amdhsa_float_round_mode_16_64 0
		.amdhsa_float_denorm_mode_32 3
		.amdhsa_float_denorm_mode_16_64 3
		.amdhsa_dx10_clamp 1
		.amdhsa_ieee_mode 1
		.amdhsa_fp16_overflow 0
		.amdhsa_workgroup_processor_mode 1
		.amdhsa_memory_ordered 1
		.amdhsa_forward_progress 0
		.amdhsa_shared_vgpr_count 0
		.amdhsa_exception_fp_ieee_invalid_op 0
		.amdhsa_exception_fp_denorm_src 0
		.amdhsa_exception_fp_ieee_div_zero 0
		.amdhsa_exception_fp_ieee_overflow 0
		.amdhsa_exception_fp_ieee_underflow 0
		.amdhsa_exception_fp_ieee_inexact 0
		.amdhsa_exception_int_div_zero 0
	.end_amdhsa_kernel
	.section	.text._ZN2at6native32elementwise_kernel_manual_unrollILi128ELi4EZNS0_15gpu_kernel_implINS0_11FillFunctorIlEEEEvRNS_18TensorIteratorBaseERKT_EUlibE0_EEviT1_,"axG",@progbits,_ZN2at6native32elementwise_kernel_manual_unrollILi128ELi4EZNS0_15gpu_kernel_implINS0_11FillFunctorIlEEEEvRNS_18TensorIteratorBaseERKT_EUlibE0_EEviT1_,comdat
.Lfunc_end31:
	.size	_ZN2at6native32elementwise_kernel_manual_unrollILi128ELi4EZNS0_15gpu_kernel_implINS0_11FillFunctorIlEEEEvRNS_18TensorIteratorBaseERKT_EUlibE0_EEviT1_, .Lfunc_end31-_ZN2at6native32elementwise_kernel_manual_unrollILi128ELi4EZNS0_15gpu_kernel_implINS0_11FillFunctorIlEEEEvRNS_18TensorIteratorBaseERKT_EUlibE0_EEviT1_
                                        ; -- End function
	.section	.AMDGPU.csdata,"",@progbits
; Kernel info:
; codeLenInByte = 23388
; NumSgprs: 78
; NumVgprs: 21
; ScratchSize: 0
; MemoryBound: 0
; FloatMode: 240
; IeeeMode: 1
; LDSByteSize: 0 bytes/workgroup (compile time only)
; SGPRBlocks: 9
; VGPRBlocks: 2
; NumSGPRsForWavesPerEU: 78
; NumVGPRsForWavesPerEU: 21
; Occupancy: 16
; WaveLimiterHint : 1
; COMPUTE_PGM_RSRC2:SCRATCH_EN: 0
; COMPUTE_PGM_RSRC2:USER_SGPR: 15
; COMPUTE_PGM_RSRC2:TRAP_HANDLER: 0
; COMPUTE_PGM_RSRC2:TGID_X_EN: 1
; COMPUTE_PGM_RSRC2:TGID_Y_EN: 0
; COMPUTE_PGM_RSRC2:TGID_Z_EN: 0
; COMPUTE_PGM_RSRC2:TIDIG_COMP_CNT: 0
	.section	.text._ZN2at6native29vectorized_elementwise_kernelILi16ENS0_11FillFunctorIsEESt5arrayIPcLm1EEEEviT0_T1_,"axG",@progbits,_ZN2at6native29vectorized_elementwise_kernelILi16ENS0_11FillFunctorIsEESt5arrayIPcLm1EEEEviT0_T1_,comdat
	.protected	_ZN2at6native29vectorized_elementwise_kernelILi16ENS0_11FillFunctorIsEESt5arrayIPcLm1EEEEviT0_T1_ ; -- Begin function _ZN2at6native29vectorized_elementwise_kernelILi16ENS0_11FillFunctorIsEESt5arrayIPcLm1EEEEviT0_T1_
	.globl	_ZN2at6native29vectorized_elementwise_kernelILi16ENS0_11FillFunctorIsEESt5arrayIPcLm1EEEEviT0_T1_
	.p2align	8
	.type	_ZN2at6native29vectorized_elementwise_kernelILi16ENS0_11FillFunctorIsEESt5arrayIPcLm1EEEEviT0_T1_,@function
_ZN2at6native29vectorized_elementwise_kernelILi16ENS0_11FillFunctorIsEESt5arrayIPcLm1EEEEviT0_T1_: ; @_ZN2at6native29vectorized_elementwise_kernelILi16ENS0_11FillFunctorIsEESt5arrayIPcLm1EEEEviT0_T1_
; %bb.0:
	s_load_b128 s[0:3], s[0:1], 0x0
	s_lshl_b32 s4, s15, 11
	s_mov_b32 s5, -1
	s_waitcnt lgkmcnt(0)
	s_sub_i32 s6, s0, s4
	s_pack_ll_b32_b16 s0, s1, s1
	s_cmpk_gt_i32 s6, 0x7ff
	s_cbranch_scc0 .LBB32_2
; %bb.1:
	s_ashr_i32 s5, s4, 31
	v_dual_mov_b32 v1, s0 :: v_dual_mov_b32 v2, s0
	v_dual_mov_b32 v4, s0 :: v_dual_lshlrev_b32 v5, 4, v0
	s_lshl_b64 s[8:9], s[4:5], 1
	v_mov_b32_e32 v3, s0
	s_add_u32 s8, s2, s8
	s_addc_u32 s9, s3, s9
	s_mov_b32 s5, 0
	global_store_b128 v5, v[1:4], s[8:9]
.LBB32_2:
	s_and_not1_b32 vcc_lo, exec_lo, s5
	s_cbranch_vccnz .LBB32_12
; %bb.3:
	v_or_b32_e32 v5, 0x100, v0
	v_mov_b32_e32 v1, s0
	v_or_b32_e32 v2, 0x300, v0
	v_or_b32_e32 v6, 0x500, v0
	s_and_b32 s5, 0xffff, s1
	v_cmp_gt_i32_e64 s0, s6, v5
	v_or_b32_e32 v7, 0x700, v0
	s_delay_alu instid0(VALU_DEP_2) | instskip(SKIP_1) | instid1(VALU_DEP_1)
	v_cndmask_b32_e64 v4, s1, v1, s0
	v_cmp_gt_i32_e64 s0, s6, v2
	v_cndmask_b32_e64 v3, s5, v1, s0
	v_cmp_gt_i32_e64 s0, s6, v6
	s_delay_alu instid0(VALU_DEP_1) | instskip(SKIP_1) | instid1(VALU_DEP_1)
	v_cndmask_b32_e64 v2, s1, v1, s0
	v_cmp_gt_i32_e64 s0, s6, v7
	v_cndmask_b32_e64 v1, s5, v1, s0
	s_mov_b32 s0, exec_lo
	v_cmpx_gt_i32_e64 s6, v0
	s_cbranch_execnz .LBB32_13
; %bb.4:
	s_or_b32 exec_lo, exec_lo, s0
	s_delay_alu instid0(SALU_CYCLE_1)
	s_mov_b32 s0, exec_lo
	v_cmpx_gt_i32_e64 s6, v0
	s_cbranch_execnz .LBB32_14
.LBB32_5:
	s_or_b32 exec_lo, exec_lo, s0
	s_delay_alu instid0(SALU_CYCLE_1)
	s_mov_b32 s0, exec_lo
	v_cmpx_gt_i32_e64 s6, v0
	s_cbranch_execnz .LBB32_15
.LBB32_6:
	s_or_b32 exec_lo, exec_lo, s0
	s_delay_alu instid0(SALU_CYCLE_1)
	s_mov_b32 s0, exec_lo
	v_cmpx_gt_i32_e64 s6, v0
	s_cbranch_execnz .LBB32_16
.LBB32_7:
	s_or_b32 exec_lo, exec_lo, s0
	s_delay_alu instid0(SALU_CYCLE_1)
	s_mov_b32 s0, exec_lo
	v_cmpx_gt_i32_e64 s6, v0
	s_cbranch_execnz .LBB32_17
.LBB32_8:
	s_or_b32 exec_lo, exec_lo, s0
	s_delay_alu instid0(SALU_CYCLE_1)
	s_mov_b32 s0, exec_lo
	v_cmpx_gt_i32_e64 s6, v0
	s_cbranch_execnz .LBB32_18
.LBB32_9:
	s_or_b32 exec_lo, exec_lo, s0
	s_delay_alu instid0(SALU_CYCLE_1)
	s_mov_b32 s0, exec_lo
	v_cmpx_gt_i32_e64 s6, v0
	s_cbranch_execnz .LBB32_19
.LBB32_10:
	s_or_b32 exec_lo, exec_lo, s0
	s_delay_alu instid0(SALU_CYCLE_1)
	s_mov_b32 s0, exec_lo
	v_cmpx_gt_i32_e64 s6, v0
	s_cbranch_execz .LBB32_12
.LBB32_11:
	v_dual_mov_b32 v3, 0 :: v_dual_add_nc_u32 v2, s4, v0
	s_delay_alu instid0(VALU_DEP_1) | instskip(NEXT) | instid1(VALU_DEP_1)
	v_lshlrev_b64 v[2:3], 1, v[2:3]
	v_add_co_u32 v2, vcc_lo, s2, v2
	s_delay_alu instid0(VALU_DEP_2)
	v_add_co_ci_u32_e32 v3, vcc_lo, s3, v3, vcc_lo
	global_store_d16_hi_b16 v[2:3], v1, off
.LBB32_12:
	s_nop 0
	s_sendmsg sendmsg(MSG_DEALLOC_VGPRS)
	s_endpgm
.LBB32_13:
	v_or_b32_e32 v6, s4, v0
	v_dual_mov_b32 v7, 0 :: v_dual_mov_b32 v0, v5
	s_delay_alu instid0(VALU_DEP_1) | instskip(NEXT) | instid1(VALU_DEP_1)
	v_lshlrev_b64 v[6:7], 1, v[6:7]
	v_add_co_u32 v6, vcc_lo, s2, v6
	s_delay_alu instid0(VALU_DEP_2) | instskip(SKIP_2) | instid1(SALU_CYCLE_1)
	v_add_co_ci_u32_e32 v7, vcc_lo, s3, v7, vcc_lo
	global_store_b16 v[6:7], v4, off
	s_or_b32 exec_lo, exec_lo, s0
	s_mov_b32 s0, exec_lo
	v_cmpx_gt_i32_e64 s6, v0
	s_cbranch_execz .LBB32_5
.LBB32_14:
	v_dual_mov_b32 v6, 0 :: v_dual_add_nc_u32 v5, s4, v0
	v_add_nc_u32_e32 v0, 0x100, v0
	s_delay_alu instid0(VALU_DEP_2) | instskip(NEXT) | instid1(VALU_DEP_1)
	v_lshlrev_b64 v[5:6], 1, v[5:6]
	v_add_co_u32 v5, vcc_lo, s2, v5
	s_delay_alu instid0(VALU_DEP_2) | instskip(SKIP_2) | instid1(SALU_CYCLE_1)
	v_add_co_ci_u32_e32 v6, vcc_lo, s3, v6, vcc_lo
	global_store_d16_hi_b16 v[5:6], v4, off
	s_or_b32 exec_lo, exec_lo, s0
	s_mov_b32 s0, exec_lo
	v_cmpx_gt_i32_e64 s6, v0
	s_cbranch_execz .LBB32_6
.LBB32_15:
	v_dual_mov_b32 v5, 0 :: v_dual_add_nc_u32 v4, s4, v0
	v_add_nc_u32_e32 v0, 0x100, v0
	s_delay_alu instid0(VALU_DEP_2) | instskip(NEXT) | instid1(VALU_DEP_1)
	v_lshlrev_b64 v[4:5], 1, v[4:5]
	v_add_co_u32 v4, vcc_lo, s2, v4
	s_delay_alu instid0(VALU_DEP_2) | instskip(SKIP_2) | instid1(SALU_CYCLE_1)
	v_add_co_ci_u32_e32 v5, vcc_lo, s3, v5, vcc_lo
	global_store_b16 v[4:5], v3, off
	s_or_b32 exec_lo, exec_lo, s0
	s_mov_b32 s0, exec_lo
	v_cmpx_gt_i32_e64 s6, v0
	s_cbranch_execz .LBB32_7
.LBB32_16:
	v_dual_mov_b32 v5, 0 :: v_dual_add_nc_u32 v4, s4, v0
	v_add_nc_u32_e32 v0, 0x100, v0
	s_delay_alu instid0(VALU_DEP_2) | instskip(NEXT) | instid1(VALU_DEP_1)
	v_lshlrev_b64 v[4:5], 1, v[4:5]
	v_add_co_u32 v4, vcc_lo, s2, v4
	s_delay_alu instid0(VALU_DEP_2) | instskip(SKIP_2) | instid1(SALU_CYCLE_1)
	v_add_co_ci_u32_e32 v5, vcc_lo, s3, v5, vcc_lo
	global_store_d16_hi_b16 v[4:5], v3, off
	s_or_b32 exec_lo, exec_lo, s0
	s_mov_b32 s0, exec_lo
	v_cmpx_gt_i32_e64 s6, v0
	s_cbranch_execz .LBB32_8
.LBB32_17:
	v_dual_mov_b32 v4, 0 :: v_dual_add_nc_u32 v3, s4, v0
	v_add_nc_u32_e32 v0, 0x100, v0
	s_delay_alu instid0(VALU_DEP_2) | instskip(NEXT) | instid1(VALU_DEP_1)
	v_lshlrev_b64 v[3:4], 1, v[3:4]
	v_add_co_u32 v3, vcc_lo, s2, v3
	s_delay_alu instid0(VALU_DEP_2) | instskip(SKIP_2) | instid1(SALU_CYCLE_1)
	v_add_co_ci_u32_e32 v4, vcc_lo, s3, v4, vcc_lo
	global_store_b16 v[3:4], v2, off
	s_or_b32 exec_lo, exec_lo, s0
	s_mov_b32 s0, exec_lo
	v_cmpx_gt_i32_e64 s6, v0
	s_cbranch_execz .LBB32_9
.LBB32_18:
	v_dual_mov_b32 v4, 0 :: v_dual_add_nc_u32 v3, s4, v0
	v_add_nc_u32_e32 v0, 0x100, v0
	s_delay_alu instid0(VALU_DEP_2) | instskip(NEXT) | instid1(VALU_DEP_1)
	v_lshlrev_b64 v[3:4], 1, v[3:4]
	v_add_co_u32 v3, vcc_lo, s2, v3
	s_delay_alu instid0(VALU_DEP_2) | instskip(SKIP_2) | instid1(SALU_CYCLE_1)
	v_add_co_ci_u32_e32 v4, vcc_lo, s3, v4, vcc_lo
	global_store_d16_hi_b16 v[3:4], v2, off
	s_or_b32 exec_lo, exec_lo, s0
	s_mov_b32 s0, exec_lo
	v_cmpx_gt_i32_e64 s6, v0
	s_cbranch_execz .LBB32_10
.LBB32_19:
	v_dual_mov_b32 v3, 0 :: v_dual_add_nc_u32 v2, s4, v0
	v_add_nc_u32_e32 v0, 0x100, v0
	s_delay_alu instid0(VALU_DEP_2) | instskip(NEXT) | instid1(VALU_DEP_1)
	v_lshlrev_b64 v[2:3], 1, v[2:3]
	v_add_co_u32 v2, vcc_lo, s2, v2
	s_delay_alu instid0(VALU_DEP_2) | instskip(SKIP_2) | instid1(SALU_CYCLE_1)
	v_add_co_ci_u32_e32 v3, vcc_lo, s3, v3, vcc_lo
	global_store_b16 v[2:3], v1, off
	s_or_b32 exec_lo, exec_lo, s0
	s_mov_b32 s0, exec_lo
	v_cmpx_gt_i32_e64 s6, v0
	s_cbranch_execnz .LBB32_11
	s_branch .LBB32_12
	.section	.rodata,"a",@progbits
	.p2align	6, 0x0
	.amdhsa_kernel _ZN2at6native29vectorized_elementwise_kernelILi16ENS0_11FillFunctorIsEESt5arrayIPcLm1EEEEviT0_T1_
		.amdhsa_group_segment_fixed_size 0
		.amdhsa_private_segment_fixed_size 0
		.amdhsa_kernarg_size 16
		.amdhsa_user_sgpr_count 15
		.amdhsa_user_sgpr_dispatch_ptr 0
		.amdhsa_user_sgpr_queue_ptr 0
		.amdhsa_user_sgpr_kernarg_segment_ptr 1
		.amdhsa_user_sgpr_dispatch_id 0
		.amdhsa_user_sgpr_private_segment_size 0
		.amdhsa_wavefront_size32 1
		.amdhsa_uses_dynamic_stack 0
		.amdhsa_enable_private_segment 0
		.amdhsa_system_sgpr_workgroup_id_x 1
		.amdhsa_system_sgpr_workgroup_id_y 0
		.amdhsa_system_sgpr_workgroup_id_z 0
		.amdhsa_system_sgpr_workgroup_info 0
		.amdhsa_system_vgpr_workitem_id 0
		.amdhsa_next_free_vgpr 8
		.amdhsa_next_free_sgpr 16
		.amdhsa_reserve_vcc 1
		.amdhsa_float_round_mode_32 0
		.amdhsa_float_round_mode_16_64 0
		.amdhsa_float_denorm_mode_32 3
		.amdhsa_float_denorm_mode_16_64 3
		.amdhsa_dx10_clamp 1
		.amdhsa_ieee_mode 1
		.amdhsa_fp16_overflow 0
		.amdhsa_workgroup_processor_mode 1
		.amdhsa_memory_ordered 1
		.amdhsa_forward_progress 0
		.amdhsa_shared_vgpr_count 0
		.amdhsa_exception_fp_ieee_invalid_op 0
		.amdhsa_exception_fp_denorm_src 0
		.amdhsa_exception_fp_ieee_div_zero 0
		.amdhsa_exception_fp_ieee_overflow 0
		.amdhsa_exception_fp_ieee_underflow 0
		.amdhsa_exception_fp_ieee_inexact 0
		.amdhsa_exception_int_div_zero 0
	.end_amdhsa_kernel
	.section	.text._ZN2at6native29vectorized_elementwise_kernelILi16ENS0_11FillFunctorIsEESt5arrayIPcLm1EEEEviT0_T1_,"axG",@progbits,_ZN2at6native29vectorized_elementwise_kernelILi16ENS0_11FillFunctorIsEESt5arrayIPcLm1EEEEviT0_T1_,comdat
.Lfunc_end32:
	.size	_ZN2at6native29vectorized_elementwise_kernelILi16ENS0_11FillFunctorIsEESt5arrayIPcLm1EEEEviT0_T1_, .Lfunc_end32-_ZN2at6native29vectorized_elementwise_kernelILi16ENS0_11FillFunctorIsEESt5arrayIPcLm1EEEEviT0_T1_
                                        ; -- End function
	.section	.AMDGPU.csdata,"",@progbits
; Kernel info:
; codeLenInByte = 952
; NumSgprs: 18
; NumVgprs: 8
; ScratchSize: 0
; MemoryBound: 0
; FloatMode: 240
; IeeeMode: 1
; LDSByteSize: 0 bytes/workgroup (compile time only)
; SGPRBlocks: 2
; VGPRBlocks: 0
; NumSGPRsForWavesPerEU: 18
; NumVGPRsForWavesPerEU: 8
; Occupancy: 16
; WaveLimiterHint : 0
; COMPUTE_PGM_RSRC2:SCRATCH_EN: 0
; COMPUTE_PGM_RSRC2:USER_SGPR: 15
; COMPUTE_PGM_RSRC2:TRAP_HANDLER: 0
; COMPUTE_PGM_RSRC2:TGID_X_EN: 1
; COMPUTE_PGM_RSRC2:TGID_Y_EN: 0
; COMPUTE_PGM_RSRC2:TGID_Z_EN: 0
; COMPUTE_PGM_RSRC2:TIDIG_COMP_CNT: 0
	.section	.text._ZN2at6native29vectorized_elementwise_kernelILi8ENS0_11FillFunctorIsEESt5arrayIPcLm1EEEEviT0_T1_,"axG",@progbits,_ZN2at6native29vectorized_elementwise_kernelILi8ENS0_11FillFunctorIsEESt5arrayIPcLm1EEEEviT0_T1_,comdat
	.protected	_ZN2at6native29vectorized_elementwise_kernelILi8ENS0_11FillFunctorIsEESt5arrayIPcLm1EEEEviT0_T1_ ; -- Begin function _ZN2at6native29vectorized_elementwise_kernelILi8ENS0_11FillFunctorIsEESt5arrayIPcLm1EEEEviT0_T1_
	.globl	_ZN2at6native29vectorized_elementwise_kernelILi8ENS0_11FillFunctorIsEESt5arrayIPcLm1EEEEviT0_T1_
	.p2align	8
	.type	_ZN2at6native29vectorized_elementwise_kernelILi8ENS0_11FillFunctorIsEESt5arrayIPcLm1EEEEviT0_T1_,@function
_ZN2at6native29vectorized_elementwise_kernelILi8ENS0_11FillFunctorIsEESt5arrayIPcLm1EEEEviT0_T1_: ; @_ZN2at6native29vectorized_elementwise_kernelILi8ENS0_11FillFunctorIsEESt5arrayIPcLm1EEEEviT0_T1_
; %bb.0:
	s_load_b128 s[0:3], s[0:1], 0x0
	s_lshl_b32 s4, s15, 11
	s_mov_b32 s5, -1
	s_waitcnt lgkmcnt(0)
	s_sub_i32 s6, s0, s4
	s_pack_ll_b32_b16 s0, s1, s1
	s_cmpk_gt_i32 s6, 0x7ff
	s_cbranch_scc0 .LBB33_2
; %bb.1:
	s_ashr_i32 s5, s4, 31
	v_dual_mov_b32 v1, s0 :: v_dual_mov_b32 v2, s0
	v_dual_mov_b32 v4, s0 :: v_dual_lshlrev_b32 v5, 4, v0
	s_lshl_b64 s[8:9], s[4:5], 1
	v_mov_b32_e32 v3, s0
	s_add_u32 s8, s2, s8
	s_addc_u32 s9, s3, s9
	s_mov_b32 s5, 0
	global_store_b128 v5, v[1:4], s[8:9]
.LBB33_2:
	s_and_not1_b32 vcc_lo, exec_lo, s5
	s_cbranch_vccnz .LBB33_12
; %bb.3:
	v_or_b32_e32 v5, 0x100, v0
	v_mov_b32_e32 v1, s0
	v_or_b32_e32 v2, 0x300, v0
	v_or_b32_e32 v6, 0x500, v0
	s_and_b32 s5, 0xffff, s1
	v_cmp_gt_i32_e64 s0, s6, v5
	v_or_b32_e32 v7, 0x700, v0
	s_delay_alu instid0(VALU_DEP_2) | instskip(SKIP_1) | instid1(VALU_DEP_1)
	v_cndmask_b32_e64 v4, s1, v1, s0
	v_cmp_gt_i32_e64 s0, s6, v2
	v_cndmask_b32_e64 v3, s5, v1, s0
	v_cmp_gt_i32_e64 s0, s6, v6
	s_delay_alu instid0(VALU_DEP_1) | instskip(SKIP_1) | instid1(VALU_DEP_1)
	v_cndmask_b32_e64 v2, s1, v1, s0
	v_cmp_gt_i32_e64 s0, s6, v7
	v_cndmask_b32_e64 v1, s5, v1, s0
	s_mov_b32 s0, exec_lo
	v_cmpx_gt_i32_e64 s6, v0
	s_cbranch_execnz .LBB33_13
; %bb.4:
	s_or_b32 exec_lo, exec_lo, s0
	s_delay_alu instid0(SALU_CYCLE_1)
	s_mov_b32 s0, exec_lo
	v_cmpx_gt_i32_e64 s6, v0
	s_cbranch_execnz .LBB33_14
.LBB33_5:
	s_or_b32 exec_lo, exec_lo, s0
	s_delay_alu instid0(SALU_CYCLE_1)
	s_mov_b32 s0, exec_lo
	v_cmpx_gt_i32_e64 s6, v0
	s_cbranch_execnz .LBB33_15
.LBB33_6:
	s_or_b32 exec_lo, exec_lo, s0
	s_delay_alu instid0(SALU_CYCLE_1)
	s_mov_b32 s0, exec_lo
	v_cmpx_gt_i32_e64 s6, v0
	s_cbranch_execnz .LBB33_16
.LBB33_7:
	s_or_b32 exec_lo, exec_lo, s0
	s_delay_alu instid0(SALU_CYCLE_1)
	s_mov_b32 s0, exec_lo
	v_cmpx_gt_i32_e64 s6, v0
	s_cbranch_execnz .LBB33_17
.LBB33_8:
	s_or_b32 exec_lo, exec_lo, s0
	s_delay_alu instid0(SALU_CYCLE_1)
	s_mov_b32 s0, exec_lo
	v_cmpx_gt_i32_e64 s6, v0
	s_cbranch_execnz .LBB33_18
.LBB33_9:
	s_or_b32 exec_lo, exec_lo, s0
	s_delay_alu instid0(SALU_CYCLE_1)
	s_mov_b32 s0, exec_lo
	v_cmpx_gt_i32_e64 s6, v0
	s_cbranch_execnz .LBB33_19
.LBB33_10:
	s_or_b32 exec_lo, exec_lo, s0
	s_delay_alu instid0(SALU_CYCLE_1)
	s_mov_b32 s0, exec_lo
	v_cmpx_gt_i32_e64 s6, v0
	s_cbranch_execz .LBB33_12
.LBB33_11:
	v_dual_mov_b32 v3, 0 :: v_dual_add_nc_u32 v2, s4, v0
	s_delay_alu instid0(VALU_DEP_1) | instskip(NEXT) | instid1(VALU_DEP_1)
	v_lshlrev_b64 v[2:3], 1, v[2:3]
	v_add_co_u32 v2, vcc_lo, s2, v2
	s_delay_alu instid0(VALU_DEP_2)
	v_add_co_ci_u32_e32 v3, vcc_lo, s3, v3, vcc_lo
	global_store_d16_hi_b16 v[2:3], v1, off
.LBB33_12:
	s_nop 0
	s_sendmsg sendmsg(MSG_DEALLOC_VGPRS)
	s_endpgm
.LBB33_13:
	v_or_b32_e32 v6, s4, v0
	v_dual_mov_b32 v7, 0 :: v_dual_mov_b32 v0, v5
	s_delay_alu instid0(VALU_DEP_1) | instskip(NEXT) | instid1(VALU_DEP_1)
	v_lshlrev_b64 v[6:7], 1, v[6:7]
	v_add_co_u32 v6, vcc_lo, s2, v6
	s_delay_alu instid0(VALU_DEP_2) | instskip(SKIP_2) | instid1(SALU_CYCLE_1)
	v_add_co_ci_u32_e32 v7, vcc_lo, s3, v7, vcc_lo
	global_store_b16 v[6:7], v4, off
	s_or_b32 exec_lo, exec_lo, s0
	s_mov_b32 s0, exec_lo
	v_cmpx_gt_i32_e64 s6, v0
	s_cbranch_execz .LBB33_5
.LBB33_14:
	v_dual_mov_b32 v6, 0 :: v_dual_add_nc_u32 v5, s4, v0
	v_add_nc_u32_e32 v0, 0x100, v0
	s_delay_alu instid0(VALU_DEP_2) | instskip(NEXT) | instid1(VALU_DEP_1)
	v_lshlrev_b64 v[5:6], 1, v[5:6]
	v_add_co_u32 v5, vcc_lo, s2, v5
	s_delay_alu instid0(VALU_DEP_2) | instskip(SKIP_2) | instid1(SALU_CYCLE_1)
	v_add_co_ci_u32_e32 v6, vcc_lo, s3, v6, vcc_lo
	global_store_d16_hi_b16 v[5:6], v4, off
	s_or_b32 exec_lo, exec_lo, s0
	s_mov_b32 s0, exec_lo
	v_cmpx_gt_i32_e64 s6, v0
	s_cbranch_execz .LBB33_6
.LBB33_15:
	v_dual_mov_b32 v5, 0 :: v_dual_add_nc_u32 v4, s4, v0
	v_add_nc_u32_e32 v0, 0x100, v0
	s_delay_alu instid0(VALU_DEP_2) | instskip(NEXT) | instid1(VALU_DEP_1)
	v_lshlrev_b64 v[4:5], 1, v[4:5]
	v_add_co_u32 v4, vcc_lo, s2, v4
	s_delay_alu instid0(VALU_DEP_2) | instskip(SKIP_2) | instid1(SALU_CYCLE_1)
	v_add_co_ci_u32_e32 v5, vcc_lo, s3, v5, vcc_lo
	global_store_b16 v[4:5], v3, off
	s_or_b32 exec_lo, exec_lo, s0
	s_mov_b32 s0, exec_lo
	v_cmpx_gt_i32_e64 s6, v0
	s_cbranch_execz .LBB33_7
.LBB33_16:
	v_dual_mov_b32 v5, 0 :: v_dual_add_nc_u32 v4, s4, v0
	v_add_nc_u32_e32 v0, 0x100, v0
	s_delay_alu instid0(VALU_DEP_2) | instskip(NEXT) | instid1(VALU_DEP_1)
	v_lshlrev_b64 v[4:5], 1, v[4:5]
	v_add_co_u32 v4, vcc_lo, s2, v4
	s_delay_alu instid0(VALU_DEP_2) | instskip(SKIP_2) | instid1(SALU_CYCLE_1)
	v_add_co_ci_u32_e32 v5, vcc_lo, s3, v5, vcc_lo
	global_store_d16_hi_b16 v[4:5], v3, off
	s_or_b32 exec_lo, exec_lo, s0
	s_mov_b32 s0, exec_lo
	v_cmpx_gt_i32_e64 s6, v0
	s_cbranch_execz .LBB33_8
.LBB33_17:
	v_dual_mov_b32 v4, 0 :: v_dual_add_nc_u32 v3, s4, v0
	v_add_nc_u32_e32 v0, 0x100, v0
	s_delay_alu instid0(VALU_DEP_2) | instskip(NEXT) | instid1(VALU_DEP_1)
	v_lshlrev_b64 v[3:4], 1, v[3:4]
	v_add_co_u32 v3, vcc_lo, s2, v3
	s_delay_alu instid0(VALU_DEP_2) | instskip(SKIP_2) | instid1(SALU_CYCLE_1)
	v_add_co_ci_u32_e32 v4, vcc_lo, s3, v4, vcc_lo
	global_store_b16 v[3:4], v2, off
	s_or_b32 exec_lo, exec_lo, s0
	s_mov_b32 s0, exec_lo
	v_cmpx_gt_i32_e64 s6, v0
	s_cbranch_execz .LBB33_9
.LBB33_18:
	v_dual_mov_b32 v4, 0 :: v_dual_add_nc_u32 v3, s4, v0
	v_add_nc_u32_e32 v0, 0x100, v0
	s_delay_alu instid0(VALU_DEP_2) | instskip(NEXT) | instid1(VALU_DEP_1)
	v_lshlrev_b64 v[3:4], 1, v[3:4]
	v_add_co_u32 v3, vcc_lo, s2, v3
	s_delay_alu instid0(VALU_DEP_2) | instskip(SKIP_2) | instid1(SALU_CYCLE_1)
	v_add_co_ci_u32_e32 v4, vcc_lo, s3, v4, vcc_lo
	global_store_d16_hi_b16 v[3:4], v2, off
	s_or_b32 exec_lo, exec_lo, s0
	s_mov_b32 s0, exec_lo
	v_cmpx_gt_i32_e64 s6, v0
	s_cbranch_execz .LBB33_10
.LBB33_19:
	v_dual_mov_b32 v3, 0 :: v_dual_add_nc_u32 v2, s4, v0
	v_add_nc_u32_e32 v0, 0x100, v0
	s_delay_alu instid0(VALU_DEP_2) | instskip(NEXT) | instid1(VALU_DEP_1)
	v_lshlrev_b64 v[2:3], 1, v[2:3]
	v_add_co_u32 v2, vcc_lo, s2, v2
	s_delay_alu instid0(VALU_DEP_2) | instskip(SKIP_2) | instid1(SALU_CYCLE_1)
	v_add_co_ci_u32_e32 v3, vcc_lo, s3, v3, vcc_lo
	global_store_b16 v[2:3], v1, off
	s_or_b32 exec_lo, exec_lo, s0
	s_mov_b32 s0, exec_lo
	v_cmpx_gt_i32_e64 s6, v0
	s_cbranch_execnz .LBB33_11
	s_branch .LBB33_12
	.section	.rodata,"a",@progbits
	.p2align	6, 0x0
	.amdhsa_kernel _ZN2at6native29vectorized_elementwise_kernelILi8ENS0_11FillFunctorIsEESt5arrayIPcLm1EEEEviT0_T1_
		.amdhsa_group_segment_fixed_size 0
		.amdhsa_private_segment_fixed_size 0
		.amdhsa_kernarg_size 16
		.amdhsa_user_sgpr_count 15
		.amdhsa_user_sgpr_dispatch_ptr 0
		.amdhsa_user_sgpr_queue_ptr 0
		.amdhsa_user_sgpr_kernarg_segment_ptr 1
		.amdhsa_user_sgpr_dispatch_id 0
		.amdhsa_user_sgpr_private_segment_size 0
		.amdhsa_wavefront_size32 1
		.amdhsa_uses_dynamic_stack 0
		.amdhsa_enable_private_segment 0
		.amdhsa_system_sgpr_workgroup_id_x 1
		.amdhsa_system_sgpr_workgroup_id_y 0
		.amdhsa_system_sgpr_workgroup_id_z 0
		.amdhsa_system_sgpr_workgroup_info 0
		.amdhsa_system_vgpr_workitem_id 0
		.amdhsa_next_free_vgpr 8
		.amdhsa_next_free_sgpr 16
		.amdhsa_reserve_vcc 1
		.amdhsa_float_round_mode_32 0
		.amdhsa_float_round_mode_16_64 0
		.amdhsa_float_denorm_mode_32 3
		.amdhsa_float_denorm_mode_16_64 3
		.amdhsa_dx10_clamp 1
		.amdhsa_ieee_mode 1
		.amdhsa_fp16_overflow 0
		.amdhsa_workgroup_processor_mode 1
		.amdhsa_memory_ordered 1
		.amdhsa_forward_progress 0
		.amdhsa_shared_vgpr_count 0
		.amdhsa_exception_fp_ieee_invalid_op 0
		.amdhsa_exception_fp_denorm_src 0
		.amdhsa_exception_fp_ieee_div_zero 0
		.amdhsa_exception_fp_ieee_overflow 0
		.amdhsa_exception_fp_ieee_underflow 0
		.amdhsa_exception_fp_ieee_inexact 0
		.amdhsa_exception_int_div_zero 0
	.end_amdhsa_kernel
	.section	.text._ZN2at6native29vectorized_elementwise_kernelILi8ENS0_11FillFunctorIsEESt5arrayIPcLm1EEEEviT0_T1_,"axG",@progbits,_ZN2at6native29vectorized_elementwise_kernelILi8ENS0_11FillFunctorIsEESt5arrayIPcLm1EEEEviT0_T1_,comdat
.Lfunc_end33:
	.size	_ZN2at6native29vectorized_elementwise_kernelILi8ENS0_11FillFunctorIsEESt5arrayIPcLm1EEEEviT0_T1_, .Lfunc_end33-_ZN2at6native29vectorized_elementwise_kernelILi8ENS0_11FillFunctorIsEESt5arrayIPcLm1EEEEviT0_T1_
                                        ; -- End function
	.section	.AMDGPU.csdata,"",@progbits
; Kernel info:
; codeLenInByte = 952
; NumSgprs: 18
; NumVgprs: 8
; ScratchSize: 0
; MemoryBound: 0
; FloatMode: 240
; IeeeMode: 1
; LDSByteSize: 0 bytes/workgroup (compile time only)
; SGPRBlocks: 2
; VGPRBlocks: 0
; NumSGPRsForWavesPerEU: 18
; NumVGPRsForWavesPerEU: 8
; Occupancy: 16
; WaveLimiterHint : 0
; COMPUTE_PGM_RSRC2:SCRATCH_EN: 0
; COMPUTE_PGM_RSRC2:USER_SGPR: 15
; COMPUTE_PGM_RSRC2:TRAP_HANDLER: 0
; COMPUTE_PGM_RSRC2:TGID_X_EN: 1
; COMPUTE_PGM_RSRC2:TGID_Y_EN: 0
; COMPUTE_PGM_RSRC2:TGID_Z_EN: 0
; COMPUTE_PGM_RSRC2:TIDIG_COMP_CNT: 0
	.section	.text._ZN2at6native29vectorized_elementwise_kernelILi4ENS0_11FillFunctorIsEESt5arrayIPcLm1EEEEviT0_T1_,"axG",@progbits,_ZN2at6native29vectorized_elementwise_kernelILi4ENS0_11FillFunctorIsEESt5arrayIPcLm1EEEEviT0_T1_,comdat
	.protected	_ZN2at6native29vectorized_elementwise_kernelILi4ENS0_11FillFunctorIsEESt5arrayIPcLm1EEEEviT0_T1_ ; -- Begin function _ZN2at6native29vectorized_elementwise_kernelILi4ENS0_11FillFunctorIsEESt5arrayIPcLm1EEEEviT0_T1_
	.globl	_ZN2at6native29vectorized_elementwise_kernelILi4ENS0_11FillFunctorIsEESt5arrayIPcLm1EEEEviT0_T1_
	.p2align	8
	.type	_ZN2at6native29vectorized_elementwise_kernelILi4ENS0_11FillFunctorIsEESt5arrayIPcLm1EEEEviT0_T1_,@function
_ZN2at6native29vectorized_elementwise_kernelILi4ENS0_11FillFunctorIsEESt5arrayIPcLm1EEEEviT0_T1_: ; @_ZN2at6native29vectorized_elementwise_kernelILi4ENS0_11FillFunctorIsEESt5arrayIPcLm1EEEEviT0_T1_
; %bb.0:
	s_load_b128 s[0:3], s[0:1], 0x0
	s_lshl_b32 s4, s15, 11
	s_waitcnt lgkmcnt(0)
	s_sub_i32 s6, s0, s4
	s_mov_b32 s0, -1
	s_cmpk_gt_i32 s6, 0x7ff
	s_cbranch_scc0 .LBB34_2
; %bb.1:
	s_ashr_i32 s5, s4, 31
	s_delay_alu instid0(SALU_CYCLE_1) | instskip(NEXT) | instid1(SALU_CYCLE_1)
	s_lshl_b64 s[8:9], s[4:5], 1
	s_add_u32 s8, s2, s8
	s_addc_u32 s9, s3, s9
	s_and_b32 s0, 0xffff, s1
	s_delay_alu instid0(SALU_CYCLE_1)
	s_mul_i32 s10, s0, 0x10001
	s_mov_b32 s0, 0
	s_mov_b32 s11, s10
	v_mov_b32_e32 v1, s10
	v_dual_mov_b32 v2, s11 :: v_dual_lshlrev_b32 v3, 3, v0
	s_clause 0x1
	global_store_b64 v3, v[1:2], s[8:9]
	global_store_b64 v3, v[1:2], s[8:9] offset:2048
.LBB34_2:
	s_and_not1_b32 vcc_lo, exec_lo, s0
	s_cbranch_vccnz .LBB34_12
; %bb.3:
	v_or_b32_e32 v5, 0x100, v0
	s_pack_ll_b32_b16 s0, s1, s1
	v_or_b32_e32 v2, 0x300, v0
	v_mov_b32_e32 v1, s0
	v_or_b32_e32 v6, 0x500, v0
	v_cmp_gt_i32_e64 s0, s6, v5
	s_and_b32 s5, 0xffff, s1
	v_or_b32_e32 v7, 0x700, v0
	s_delay_alu instid0(VALU_DEP_2) | instskip(SKIP_1) | instid1(VALU_DEP_1)
	v_cndmask_b32_e64 v4, s1, v1, s0
	v_cmp_gt_i32_e64 s0, s6, v2
	v_cndmask_b32_e64 v3, s5, v1, s0
	v_cmp_gt_i32_e64 s0, s6, v6
	s_delay_alu instid0(VALU_DEP_1) | instskip(SKIP_1) | instid1(VALU_DEP_1)
	v_cndmask_b32_e64 v2, s1, v1, s0
	v_cmp_gt_i32_e64 s0, s6, v7
	v_cndmask_b32_e64 v1, s5, v1, s0
	s_mov_b32 s0, exec_lo
	v_cmpx_gt_i32_e64 s6, v0
	s_cbranch_execnz .LBB34_13
; %bb.4:
	s_or_b32 exec_lo, exec_lo, s0
	s_delay_alu instid0(SALU_CYCLE_1)
	s_mov_b32 s0, exec_lo
	v_cmpx_gt_i32_e64 s6, v0
	s_cbranch_execnz .LBB34_14
.LBB34_5:
	s_or_b32 exec_lo, exec_lo, s0
	s_delay_alu instid0(SALU_CYCLE_1)
	s_mov_b32 s0, exec_lo
	v_cmpx_gt_i32_e64 s6, v0
	s_cbranch_execnz .LBB34_15
.LBB34_6:
	s_or_b32 exec_lo, exec_lo, s0
	s_delay_alu instid0(SALU_CYCLE_1)
	s_mov_b32 s0, exec_lo
	v_cmpx_gt_i32_e64 s6, v0
	s_cbranch_execnz .LBB34_16
.LBB34_7:
	s_or_b32 exec_lo, exec_lo, s0
	s_delay_alu instid0(SALU_CYCLE_1)
	s_mov_b32 s0, exec_lo
	v_cmpx_gt_i32_e64 s6, v0
	s_cbranch_execnz .LBB34_17
.LBB34_8:
	s_or_b32 exec_lo, exec_lo, s0
	s_delay_alu instid0(SALU_CYCLE_1)
	s_mov_b32 s0, exec_lo
	v_cmpx_gt_i32_e64 s6, v0
	s_cbranch_execnz .LBB34_18
.LBB34_9:
	s_or_b32 exec_lo, exec_lo, s0
	s_delay_alu instid0(SALU_CYCLE_1)
	s_mov_b32 s0, exec_lo
	v_cmpx_gt_i32_e64 s6, v0
	s_cbranch_execnz .LBB34_19
.LBB34_10:
	s_or_b32 exec_lo, exec_lo, s0
	s_delay_alu instid0(SALU_CYCLE_1)
	s_mov_b32 s0, exec_lo
	v_cmpx_gt_i32_e64 s6, v0
	s_cbranch_execz .LBB34_12
.LBB34_11:
	v_dual_mov_b32 v3, 0 :: v_dual_add_nc_u32 v2, s4, v0
	s_delay_alu instid0(VALU_DEP_1) | instskip(NEXT) | instid1(VALU_DEP_1)
	v_lshlrev_b64 v[2:3], 1, v[2:3]
	v_add_co_u32 v2, vcc_lo, s2, v2
	s_delay_alu instid0(VALU_DEP_2)
	v_add_co_ci_u32_e32 v3, vcc_lo, s3, v3, vcc_lo
	global_store_d16_hi_b16 v[2:3], v1, off
.LBB34_12:
	s_nop 0
	s_sendmsg sendmsg(MSG_DEALLOC_VGPRS)
	s_endpgm
.LBB34_13:
	v_or_b32_e32 v6, s4, v0
	v_dual_mov_b32 v7, 0 :: v_dual_mov_b32 v0, v5
	s_delay_alu instid0(VALU_DEP_1) | instskip(NEXT) | instid1(VALU_DEP_1)
	v_lshlrev_b64 v[6:7], 1, v[6:7]
	v_add_co_u32 v6, vcc_lo, s2, v6
	s_delay_alu instid0(VALU_DEP_2) | instskip(SKIP_2) | instid1(SALU_CYCLE_1)
	v_add_co_ci_u32_e32 v7, vcc_lo, s3, v7, vcc_lo
	global_store_b16 v[6:7], v4, off
	s_or_b32 exec_lo, exec_lo, s0
	s_mov_b32 s0, exec_lo
	v_cmpx_gt_i32_e64 s6, v0
	s_cbranch_execz .LBB34_5
.LBB34_14:
	v_dual_mov_b32 v6, 0 :: v_dual_add_nc_u32 v5, s4, v0
	v_add_nc_u32_e32 v0, 0x100, v0
	s_delay_alu instid0(VALU_DEP_2) | instskip(NEXT) | instid1(VALU_DEP_1)
	v_lshlrev_b64 v[5:6], 1, v[5:6]
	v_add_co_u32 v5, vcc_lo, s2, v5
	s_delay_alu instid0(VALU_DEP_2) | instskip(SKIP_2) | instid1(SALU_CYCLE_1)
	v_add_co_ci_u32_e32 v6, vcc_lo, s3, v6, vcc_lo
	global_store_d16_hi_b16 v[5:6], v4, off
	s_or_b32 exec_lo, exec_lo, s0
	s_mov_b32 s0, exec_lo
	v_cmpx_gt_i32_e64 s6, v0
	s_cbranch_execz .LBB34_6
.LBB34_15:
	v_dual_mov_b32 v5, 0 :: v_dual_add_nc_u32 v4, s4, v0
	v_add_nc_u32_e32 v0, 0x100, v0
	s_delay_alu instid0(VALU_DEP_2) | instskip(NEXT) | instid1(VALU_DEP_1)
	v_lshlrev_b64 v[4:5], 1, v[4:5]
	v_add_co_u32 v4, vcc_lo, s2, v4
	s_delay_alu instid0(VALU_DEP_2) | instskip(SKIP_2) | instid1(SALU_CYCLE_1)
	v_add_co_ci_u32_e32 v5, vcc_lo, s3, v5, vcc_lo
	global_store_b16 v[4:5], v3, off
	s_or_b32 exec_lo, exec_lo, s0
	s_mov_b32 s0, exec_lo
	v_cmpx_gt_i32_e64 s6, v0
	s_cbranch_execz .LBB34_7
.LBB34_16:
	v_dual_mov_b32 v5, 0 :: v_dual_add_nc_u32 v4, s4, v0
	v_add_nc_u32_e32 v0, 0x100, v0
	s_delay_alu instid0(VALU_DEP_2) | instskip(NEXT) | instid1(VALU_DEP_1)
	v_lshlrev_b64 v[4:5], 1, v[4:5]
	v_add_co_u32 v4, vcc_lo, s2, v4
	s_delay_alu instid0(VALU_DEP_2) | instskip(SKIP_2) | instid1(SALU_CYCLE_1)
	v_add_co_ci_u32_e32 v5, vcc_lo, s3, v5, vcc_lo
	global_store_d16_hi_b16 v[4:5], v3, off
	s_or_b32 exec_lo, exec_lo, s0
	s_mov_b32 s0, exec_lo
	v_cmpx_gt_i32_e64 s6, v0
	s_cbranch_execz .LBB34_8
.LBB34_17:
	v_dual_mov_b32 v4, 0 :: v_dual_add_nc_u32 v3, s4, v0
	v_add_nc_u32_e32 v0, 0x100, v0
	s_delay_alu instid0(VALU_DEP_2) | instskip(NEXT) | instid1(VALU_DEP_1)
	v_lshlrev_b64 v[3:4], 1, v[3:4]
	v_add_co_u32 v3, vcc_lo, s2, v3
	s_delay_alu instid0(VALU_DEP_2) | instskip(SKIP_2) | instid1(SALU_CYCLE_1)
	v_add_co_ci_u32_e32 v4, vcc_lo, s3, v4, vcc_lo
	global_store_b16 v[3:4], v2, off
	s_or_b32 exec_lo, exec_lo, s0
	s_mov_b32 s0, exec_lo
	v_cmpx_gt_i32_e64 s6, v0
	s_cbranch_execz .LBB34_9
.LBB34_18:
	v_dual_mov_b32 v4, 0 :: v_dual_add_nc_u32 v3, s4, v0
	v_add_nc_u32_e32 v0, 0x100, v0
	s_delay_alu instid0(VALU_DEP_2) | instskip(NEXT) | instid1(VALU_DEP_1)
	v_lshlrev_b64 v[3:4], 1, v[3:4]
	v_add_co_u32 v3, vcc_lo, s2, v3
	s_delay_alu instid0(VALU_DEP_2) | instskip(SKIP_2) | instid1(SALU_CYCLE_1)
	v_add_co_ci_u32_e32 v4, vcc_lo, s3, v4, vcc_lo
	global_store_d16_hi_b16 v[3:4], v2, off
	s_or_b32 exec_lo, exec_lo, s0
	s_mov_b32 s0, exec_lo
	v_cmpx_gt_i32_e64 s6, v0
	s_cbranch_execz .LBB34_10
.LBB34_19:
	v_dual_mov_b32 v3, 0 :: v_dual_add_nc_u32 v2, s4, v0
	v_add_nc_u32_e32 v0, 0x100, v0
	s_delay_alu instid0(VALU_DEP_2) | instskip(NEXT) | instid1(VALU_DEP_1)
	v_lshlrev_b64 v[2:3], 1, v[2:3]
	v_add_co_u32 v2, vcc_lo, s2, v2
	s_delay_alu instid0(VALU_DEP_2) | instskip(SKIP_2) | instid1(SALU_CYCLE_1)
	v_add_co_ci_u32_e32 v3, vcc_lo, s3, v3, vcc_lo
	global_store_b16 v[2:3], v1, off
	s_or_b32 exec_lo, exec_lo, s0
	s_mov_b32 s0, exec_lo
	v_cmpx_gt_i32_e64 s6, v0
	s_cbranch_execnz .LBB34_11
	s_branch .LBB34_12
	.section	.rodata,"a",@progbits
	.p2align	6, 0x0
	.amdhsa_kernel _ZN2at6native29vectorized_elementwise_kernelILi4ENS0_11FillFunctorIsEESt5arrayIPcLm1EEEEviT0_T1_
		.amdhsa_group_segment_fixed_size 0
		.amdhsa_private_segment_fixed_size 0
		.amdhsa_kernarg_size 16
		.amdhsa_user_sgpr_count 15
		.amdhsa_user_sgpr_dispatch_ptr 0
		.amdhsa_user_sgpr_queue_ptr 0
		.amdhsa_user_sgpr_kernarg_segment_ptr 1
		.amdhsa_user_sgpr_dispatch_id 0
		.amdhsa_user_sgpr_private_segment_size 0
		.amdhsa_wavefront_size32 1
		.amdhsa_uses_dynamic_stack 0
		.amdhsa_enable_private_segment 0
		.amdhsa_system_sgpr_workgroup_id_x 1
		.amdhsa_system_sgpr_workgroup_id_y 0
		.amdhsa_system_sgpr_workgroup_id_z 0
		.amdhsa_system_sgpr_workgroup_info 0
		.amdhsa_system_vgpr_workitem_id 0
		.amdhsa_next_free_vgpr 8
		.amdhsa_next_free_sgpr 16
		.amdhsa_reserve_vcc 1
		.amdhsa_float_round_mode_32 0
		.amdhsa_float_round_mode_16_64 0
		.amdhsa_float_denorm_mode_32 3
		.amdhsa_float_denorm_mode_16_64 3
		.amdhsa_dx10_clamp 1
		.amdhsa_ieee_mode 1
		.amdhsa_fp16_overflow 0
		.amdhsa_workgroup_processor_mode 1
		.amdhsa_memory_ordered 1
		.amdhsa_forward_progress 0
		.amdhsa_shared_vgpr_count 0
		.amdhsa_exception_fp_ieee_invalid_op 0
		.amdhsa_exception_fp_denorm_src 0
		.amdhsa_exception_fp_ieee_div_zero 0
		.amdhsa_exception_fp_ieee_overflow 0
		.amdhsa_exception_fp_ieee_underflow 0
		.amdhsa_exception_fp_ieee_inexact 0
		.amdhsa_exception_int_div_zero 0
	.end_amdhsa_kernel
	.section	.text._ZN2at6native29vectorized_elementwise_kernelILi4ENS0_11FillFunctorIsEESt5arrayIPcLm1EEEEviT0_T1_,"axG",@progbits,_ZN2at6native29vectorized_elementwise_kernelILi4ENS0_11FillFunctorIsEESt5arrayIPcLm1EEEEviT0_T1_,comdat
.Lfunc_end34:
	.size	_ZN2at6native29vectorized_elementwise_kernelILi4ENS0_11FillFunctorIsEESt5arrayIPcLm1EEEEviT0_T1_, .Lfunc_end34-_ZN2at6native29vectorized_elementwise_kernelILi4ENS0_11FillFunctorIsEESt5arrayIPcLm1EEEEviT0_T1_
                                        ; -- End function
	.section	.AMDGPU.csdata,"",@progbits
; Kernel info:
; codeLenInByte = 984
; NumSgprs: 18
; NumVgprs: 8
; ScratchSize: 0
; MemoryBound: 0
; FloatMode: 240
; IeeeMode: 1
; LDSByteSize: 0 bytes/workgroup (compile time only)
; SGPRBlocks: 2
; VGPRBlocks: 0
; NumSGPRsForWavesPerEU: 18
; NumVGPRsForWavesPerEU: 8
; Occupancy: 16
; WaveLimiterHint : 1
; COMPUTE_PGM_RSRC2:SCRATCH_EN: 0
; COMPUTE_PGM_RSRC2:USER_SGPR: 15
; COMPUTE_PGM_RSRC2:TRAP_HANDLER: 0
; COMPUTE_PGM_RSRC2:TGID_X_EN: 1
; COMPUTE_PGM_RSRC2:TGID_Y_EN: 0
; COMPUTE_PGM_RSRC2:TGID_Z_EN: 0
; COMPUTE_PGM_RSRC2:TIDIG_COMP_CNT: 0
	.section	.text._ZN2at6native29vectorized_elementwise_kernelILi2ENS0_11FillFunctorIsEESt5arrayIPcLm1EEEEviT0_T1_,"axG",@progbits,_ZN2at6native29vectorized_elementwise_kernelILi2ENS0_11FillFunctorIsEESt5arrayIPcLm1EEEEviT0_T1_,comdat
	.protected	_ZN2at6native29vectorized_elementwise_kernelILi2ENS0_11FillFunctorIsEESt5arrayIPcLm1EEEEviT0_T1_ ; -- Begin function _ZN2at6native29vectorized_elementwise_kernelILi2ENS0_11FillFunctorIsEESt5arrayIPcLm1EEEEviT0_T1_
	.globl	_ZN2at6native29vectorized_elementwise_kernelILi2ENS0_11FillFunctorIsEESt5arrayIPcLm1EEEEviT0_T1_
	.p2align	8
	.type	_ZN2at6native29vectorized_elementwise_kernelILi2ENS0_11FillFunctorIsEESt5arrayIPcLm1EEEEviT0_T1_,@function
_ZN2at6native29vectorized_elementwise_kernelILi2ENS0_11FillFunctorIsEESt5arrayIPcLm1EEEEviT0_T1_: ; @_ZN2at6native29vectorized_elementwise_kernelILi2ENS0_11FillFunctorIsEESt5arrayIPcLm1EEEEviT0_T1_
; %bb.0:
	s_load_b128 s[0:3], s[0:1], 0x0
	s_lshl_b32 s4, s15, 11
	s_waitcnt lgkmcnt(0)
	s_sub_i32 s6, s0, s4
	s_mov_b32 s0, -1
	s_cmpk_gt_i32 s6, 0x7ff
	s_cbranch_scc0 .LBB35_2
; %bb.1:
	s_ashr_i32 s5, s4, 31
	s_delay_alu instid0(SALU_CYCLE_1) | instskip(NEXT) | instid1(SALU_CYCLE_1)
	s_lshl_b64 s[8:9], s[4:5], 1
	s_add_u32 s8, s2, s8
	s_addc_u32 s9, s3, s9
	s_and_b32 s0, 0xffff, s1
	s_delay_alu instid0(SALU_CYCLE_1) | instskip(NEXT) | instid1(SALU_CYCLE_1)
	s_mul_i32 s0, s0, 0x10001
	v_dual_mov_b32 v2, s0 :: v_dual_lshlrev_b32 v1, 2, v0
	s_mov_b32 s0, 0
	s_clause 0x3
	global_store_b32 v1, v2, s[8:9]
	global_store_b32 v1, v2, s[8:9] offset:1024
	global_store_b32 v1, v2, s[8:9] offset:2048
	;; [unrolled: 1-line block ×3, first 2 shown]
.LBB35_2:
	s_and_not1_b32 vcc_lo, exec_lo, s0
	s_cbranch_vccnz .LBB35_12
; %bb.3:
	v_or_b32_e32 v5, 0x100, v0
	s_pack_ll_b32_b16 s0, s1, s1
	v_or_b32_e32 v2, 0x300, v0
	v_mov_b32_e32 v1, s0
	v_or_b32_e32 v6, 0x500, v0
	v_cmp_gt_i32_e64 s0, s6, v5
	s_and_b32 s5, 0xffff, s1
	v_or_b32_e32 v7, 0x700, v0
	s_delay_alu instid0(VALU_DEP_2) | instskip(SKIP_1) | instid1(VALU_DEP_1)
	v_cndmask_b32_e64 v4, s1, v1, s0
	v_cmp_gt_i32_e64 s0, s6, v2
	v_cndmask_b32_e64 v3, s5, v1, s0
	v_cmp_gt_i32_e64 s0, s6, v6
	s_delay_alu instid0(VALU_DEP_1) | instskip(SKIP_1) | instid1(VALU_DEP_1)
	v_cndmask_b32_e64 v2, s1, v1, s0
	v_cmp_gt_i32_e64 s0, s6, v7
	v_cndmask_b32_e64 v1, s5, v1, s0
	s_mov_b32 s0, exec_lo
	v_cmpx_gt_i32_e64 s6, v0
	s_cbranch_execnz .LBB35_13
; %bb.4:
	s_or_b32 exec_lo, exec_lo, s0
	s_delay_alu instid0(SALU_CYCLE_1)
	s_mov_b32 s0, exec_lo
	v_cmpx_gt_i32_e64 s6, v0
	s_cbranch_execnz .LBB35_14
.LBB35_5:
	s_or_b32 exec_lo, exec_lo, s0
	s_delay_alu instid0(SALU_CYCLE_1)
	s_mov_b32 s0, exec_lo
	v_cmpx_gt_i32_e64 s6, v0
	s_cbranch_execnz .LBB35_15
.LBB35_6:
	s_or_b32 exec_lo, exec_lo, s0
	s_delay_alu instid0(SALU_CYCLE_1)
	s_mov_b32 s0, exec_lo
	v_cmpx_gt_i32_e64 s6, v0
	s_cbranch_execnz .LBB35_16
.LBB35_7:
	s_or_b32 exec_lo, exec_lo, s0
	s_delay_alu instid0(SALU_CYCLE_1)
	s_mov_b32 s0, exec_lo
	v_cmpx_gt_i32_e64 s6, v0
	s_cbranch_execnz .LBB35_17
.LBB35_8:
	s_or_b32 exec_lo, exec_lo, s0
	s_delay_alu instid0(SALU_CYCLE_1)
	s_mov_b32 s0, exec_lo
	v_cmpx_gt_i32_e64 s6, v0
	s_cbranch_execnz .LBB35_18
.LBB35_9:
	s_or_b32 exec_lo, exec_lo, s0
	s_delay_alu instid0(SALU_CYCLE_1)
	s_mov_b32 s0, exec_lo
	v_cmpx_gt_i32_e64 s6, v0
	s_cbranch_execnz .LBB35_19
.LBB35_10:
	s_or_b32 exec_lo, exec_lo, s0
	s_delay_alu instid0(SALU_CYCLE_1)
	s_mov_b32 s0, exec_lo
	v_cmpx_gt_i32_e64 s6, v0
	s_cbranch_execz .LBB35_12
.LBB35_11:
	v_dual_mov_b32 v3, 0 :: v_dual_add_nc_u32 v2, s4, v0
	s_delay_alu instid0(VALU_DEP_1) | instskip(NEXT) | instid1(VALU_DEP_1)
	v_lshlrev_b64 v[2:3], 1, v[2:3]
	v_add_co_u32 v2, vcc_lo, s2, v2
	s_delay_alu instid0(VALU_DEP_2)
	v_add_co_ci_u32_e32 v3, vcc_lo, s3, v3, vcc_lo
	global_store_d16_hi_b16 v[2:3], v1, off
.LBB35_12:
	s_nop 0
	s_sendmsg sendmsg(MSG_DEALLOC_VGPRS)
	s_endpgm
.LBB35_13:
	v_or_b32_e32 v6, s4, v0
	v_dual_mov_b32 v7, 0 :: v_dual_mov_b32 v0, v5
	s_delay_alu instid0(VALU_DEP_1) | instskip(NEXT) | instid1(VALU_DEP_1)
	v_lshlrev_b64 v[6:7], 1, v[6:7]
	v_add_co_u32 v6, vcc_lo, s2, v6
	s_delay_alu instid0(VALU_DEP_2) | instskip(SKIP_2) | instid1(SALU_CYCLE_1)
	v_add_co_ci_u32_e32 v7, vcc_lo, s3, v7, vcc_lo
	global_store_b16 v[6:7], v4, off
	s_or_b32 exec_lo, exec_lo, s0
	s_mov_b32 s0, exec_lo
	v_cmpx_gt_i32_e64 s6, v0
	s_cbranch_execz .LBB35_5
.LBB35_14:
	v_dual_mov_b32 v6, 0 :: v_dual_add_nc_u32 v5, s4, v0
	v_add_nc_u32_e32 v0, 0x100, v0
	s_delay_alu instid0(VALU_DEP_2) | instskip(NEXT) | instid1(VALU_DEP_1)
	v_lshlrev_b64 v[5:6], 1, v[5:6]
	v_add_co_u32 v5, vcc_lo, s2, v5
	s_delay_alu instid0(VALU_DEP_2) | instskip(SKIP_2) | instid1(SALU_CYCLE_1)
	v_add_co_ci_u32_e32 v6, vcc_lo, s3, v6, vcc_lo
	global_store_d16_hi_b16 v[5:6], v4, off
	s_or_b32 exec_lo, exec_lo, s0
	s_mov_b32 s0, exec_lo
	v_cmpx_gt_i32_e64 s6, v0
	s_cbranch_execz .LBB35_6
.LBB35_15:
	v_dual_mov_b32 v5, 0 :: v_dual_add_nc_u32 v4, s4, v0
	v_add_nc_u32_e32 v0, 0x100, v0
	s_delay_alu instid0(VALU_DEP_2) | instskip(NEXT) | instid1(VALU_DEP_1)
	v_lshlrev_b64 v[4:5], 1, v[4:5]
	v_add_co_u32 v4, vcc_lo, s2, v4
	s_delay_alu instid0(VALU_DEP_2) | instskip(SKIP_2) | instid1(SALU_CYCLE_1)
	v_add_co_ci_u32_e32 v5, vcc_lo, s3, v5, vcc_lo
	global_store_b16 v[4:5], v3, off
	s_or_b32 exec_lo, exec_lo, s0
	s_mov_b32 s0, exec_lo
	v_cmpx_gt_i32_e64 s6, v0
	s_cbranch_execz .LBB35_7
.LBB35_16:
	v_dual_mov_b32 v5, 0 :: v_dual_add_nc_u32 v4, s4, v0
	v_add_nc_u32_e32 v0, 0x100, v0
	s_delay_alu instid0(VALU_DEP_2) | instskip(NEXT) | instid1(VALU_DEP_1)
	v_lshlrev_b64 v[4:5], 1, v[4:5]
	v_add_co_u32 v4, vcc_lo, s2, v4
	s_delay_alu instid0(VALU_DEP_2) | instskip(SKIP_2) | instid1(SALU_CYCLE_1)
	v_add_co_ci_u32_e32 v5, vcc_lo, s3, v5, vcc_lo
	global_store_d16_hi_b16 v[4:5], v3, off
	s_or_b32 exec_lo, exec_lo, s0
	s_mov_b32 s0, exec_lo
	v_cmpx_gt_i32_e64 s6, v0
	s_cbranch_execz .LBB35_8
.LBB35_17:
	v_dual_mov_b32 v4, 0 :: v_dual_add_nc_u32 v3, s4, v0
	v_add_nc_u32_e32 v0, 0x100, v0
	s_delay_alu instid0(VALU_DEP_2) | instskip(NEXT) | instid1(VALU_DEP_1)
	v_lshlrev_b64 v[3:4], 1, v[3:4]
	v_add_co_u32 v3, vcc_lo, s2, v3
	s_delay_alu instid0(VALU_DEP_2) | instskip(SKIP_2) | instid1(SALU_CYCLE_1)
	v_add_co_ci_u32_e32 v4, vcc_lo, s3, v4, vcc_lo
	global_store_b16 v[3:4], v2, off
	s_or_b32 exec_lo, exec_lo, s0
	s_mov_b32 s0, exec_lo
	v_cmpx_gt_i32_e64 s6, v0
	s_cbranch_execz .LBB35_9
.LBB35_18:
	v_dual_mov_b32 v4, 0 :: v_dual_add_nc_u32 v3, s4, v0
	v_add_nc_u32_e32 v0, 0x100, v0
	s_delay_alu instid0(VALU_DEP_2) | instskip(NEXT) | instid1(VALU_DEP_1)
	v_lshlrev_b64 v[3:4], 1, v[3:4]
	v_add_co_u32 v3, vcc_lo, s2, v3
	s_delay_alu instid0(VALU_DEP_2) | instskip(SKIP_2) | instid1(SALU_CYCLE_1)
	v_add_co_ci_u32_e32 v4, vcc_lo, s3, v4, vcc_lo
	global_store_d16_hi_b16 v[3:4], v2, off
	s_or_b32 exec_lo, exec_lo, s0
	s_mov_b32 s0, exec_lo
	v_cmpx_gt_i32_e64 s6, v0
	s_cbranch_execz .LBB35_10
.LBB35_19:
	v_dual_mov_b32 v3, 0 :: v_dual_add_nc_u32 v2, s4, v0
	v_add_nc_u32_e32 v0, 0x100, v0
	s_delay_alu instid0(VALU_DEP_2) | instskip(NEXT) | instid1(VALU_DEP_1)
	v_lshlrev_b64 v[2:3], 1, v[2:3]
	v_add_co_u32 v2, vcc_lo, s2, v2
	s_delay_alu instid0(VALU_DEP_2) | instskip(SKIP_2) | instid1(SALU_CYCLE_1)
	v_add_co_ci_u32_e32 v3, vcc_lo, s3, v3, vcc_lo
	global_store_b16 v[2:3], v1, off
	s_or_b32 exec_lo, exec_lo, s0
	s_mov_b32 s0, exec_lo
	v_cmpx_gt_i32_e64 s6, v0
	s_cbranch_execnz .LBB35_11
	s_branch .LBB35_12
	.section	.rodata,"a",@progbits
	.p2align	6, 0x0
	.amdhsa_kernel _ZN2at6native29vectorized_elementwise_kernelILi2ENS0_11FillFunctorIsEESt5arrayIPcLm1EEEEviT0_T1_
		.amdhsa_group_segment_fixed_size 0
		.amdhsa_private_segment_fixed_size 0
		.amdhsa_kernarg_size 16
		.amdhsa_user_sgpr_count 15
		.amdhsa_user_sgpr_dispatch_ptr 0
		.amdhsa_user_sgpr_queue_ptr 0
		.amdhsa_user_sgpr_kernarg_segment_ptr 1
		.amdhsa_user_sgpr_dispatch_id 0
		.amdhsa_user_sgpr_private_segment_size 0
		.amdhsa_wavefront_size32 1
		.amdhsa_uses_dynamic_stack 0
		.amdhsa_enable_private_segment 0
		.amdhsa_system_sgpr_workgroup_id_x 1
		.amdhsa_system_sgpr_workgroup_id_y 0
		.amdhsa_system_sgpr_workgroup_id_z 0
		.amdhsa_system_sgpr_workgroup_info 0
		.amdhsa_system_vgpr_workitem_id 0
		.amdhsa_next_free_vgpr 8
		.amdhsa_next_free_sgpr 16
		.amdhsa_reserve_vcc 1
		.amdhsa_float_round_mode_32 0
		.amdhsa_float_round_mode_16_64 0
		.amdhsa_float_denorm_mode_32 3
		.amdhsa_float_denorm_mode_16_64 3
		.amdhsa_dx10_clamp 1
		.amdhsa_ieee_mode 1
		.amdhsa_fp16_overflow 0
		.amdhsa_workgroup_processor_mode 1
		.amdhsa_memory_ordered 1
		.amdhsa_forward_progress 0
		.amdhsa_shared_vgpr_count 0
		.amdhsa_exception_fp_ieee_invalid_op 0
		.amdhsa_exception_fp_denorm_src 0
		.amdhsa_exception_fp_ieee_div_zero 0
		.amdhsa_exception_fp_ieee_overflow 0
		.amdhsa_exception_fp_ieee_underflow 0
		.amdhsa_exception_fp_ieee_inexact 0
		.amdhsa_exception_int_div_zero 0
	.end_amdhsa_kernel
	.section	.text._ZN2at6native29vectorized_elementwise_kernelILi2ENS0_11FillFunctorIsEESt5arrayIPcLm1EEEEviT0_T1_,"axG",@progbits,_ZN2at6native29vectorized_elementwise_kernelILi2ENS0_11FillFunctorIsEESt5arrayIPcLm1EEEEviT0_T1_,comdat
.Lfunc_end35:
	.size	_ZN2at6native29vectorized_elementwise_kernelILi2ENS0_11FillFunctorIsEESt5arrayIPcLm1EEEEviT0_T1_, .Lfunc_end35-_ZN2at6native29vectorized_elementwise_kernelILi2ENS0_11FillFunctorIsEESt5arrayIPcLm1EEEEviT0_T1_
                                        ; -- End function
	.section	.AMDGPU.csdata,"",@progbits
; Kernel info:
; codeLenInByte = 992
; NumSgprs: 18
; NumVgprs: 8
; ScratchSize: 0
; MemoryBound: 0
; FloatMode: 240
; IeeeMode: 1
; LDSByteSize: 0 bytes/workgroup (compile time only)
; SGPRBlocks: 2
; VGPRBlocks: 0
; NumSGPRsForWavesPerEU: 18
; NumVGPRsForWavesPerEU: 8
; Occupancy: 16
; WaveLimiterHint : 1
; COMPUTE_PGM_RSRC2:SCRATCH_EN: 0
; COMPUTE_PGM_RSRC2:USER_SGPR: 15
; COMPUTE_PGM_RSRC2:TRAP_HANDLER: 0
; COMPUTE_PGM_RSRC2:TGID_X_EN: 1
; COMPUTE_PGM_RSRC2:TGID_Y_EN: 0
; COMPUTE_PGM_RSRC2:TGID_Z_EN: 0
; COMPUTE_PGM_RSRC2:TIDIG_COMP_CNT: 0
	.section	.text._ZN2at6native27unrolled_elementwise_kernelINS0_11FillFunctorIsEESt5arrayIPcLm1EELi4E23TrivialOffsetCalculatorILi0EjES7_ILi1EjENS0_6memory15LoadWithoutCastENSA_16StoreWithoutCastEEEviT_T0_T2_T3_T4_T5_,"axG",@progbits,_ZN2at6native27unrolled_elementwise_kernelINS0_11FillFunctorIsEESt5arrayIPcLm1EELi4E23TrivialOffsetCalculatorILi0EjES7_ILi1EjENS0_6memory15LoadWithoutCastENSA_16StoreWithoutCastEEEviT_T0_T2_T3_T4_T5_,comdat
	.protected	_ZN2at6native27unrolled_elementwise_kernelINS0_11FillFunctorIsEESt5arrayIPcLm1EELi4E23TrivialOffsetCalculatorILi0EjES7_ILi1EjENS0_6memory15LoadWithoutCastENSA_16StoreWithoutCastEEEviT_T0_T2_T3_T4_T5_ ; -- Begin function _ZN2at6native27unrolled_elementwise_kernelINS0_11FillFunctorIsEESt5arrayIPcLm1EELi4E23TrivialOffsetCalculatorILi0EjES7_ILi1EjENS0_6memory15LoadWithoutCastENSA_16StoreWithoutCastEEEviT_T0_T2_T3_T4_T5_
	.globl	_ZN2at6native27unrolled_elementwise_kernelINS0_11FillFunctorIsEESt5arrayIPcLm1EELi4E23TrivialOffsetCalculatorILi0EjES7_ILi1EjENS0_6memory15LoadWithoutCastENSA_16StoreWithoutCastEEEviT_T0_T2_T3_T4_T5_
	.p2align	8
	.type	_ZN2at6native27unrolled_elementwise_kernelINS0_11FillFunctorIsEESt5arrayIPcLm1EELi4E23TrivialOffsetCalculatorILi0EjES7_ILi1EjENS0_6memory15LoadWithoutCastENSA_16StoreWithoutCastEEEviT_T0_T2_T3_T4_T5_,@function
_ZN2at6native27unrolled_elementwise_kernelINS0_11FillFunctorIsEESt5arrayIPcLm1EELi4E23TrivialOffsetCalculatorILi0EjES7_ILi1EjENS0_6memory15LoadWithoutCastENSA_16StoreWithoutCastEEEviT_T0_T2_T3_T4_T5_: ; @_ZN2at6native27unrolled_elementwise_kernelINS0_11FillFunctorIsEESt5arrayIPcLm1EELi4E23TrivialOffsetCalculatorILi0EjES7_ILi1EjENS0_6memory15LoadWithoutCastENSA_16StoreWithoutCastEEEviT_T0_T2_T3_T4_T5_
; %bb.0:
	s_load_b128 s[0:3], s[0:1], 0x0
	v_or_b32_e32 v3, 0x100, v0
	s_lshl_b32 s4, s15, 10
	v_or_b32_e32 v1, 0x300, v0
	s_waitcnt lgkmcnt(0)
	s_pack_ll_b32_b16 s5, s1, s1
	s_and_b32 s6, 0xffff, s1
	v_mov_b32_e32 v4, s5
	s_sub_i32 s5, s0, s4
	s_delay_alu instid0(SALU_CYCLE_1) | instskip(NEXT) | instid1(VALU_DEP_1)
	v_cmp_gt_i32_e64 s0, s5, v3
	v_cndmask_b32_e64 v2, s1, v4, s0
	v_cmp_gt_i32_e64 s0, s5, v1
	s_delay_alu instid0(VALU_DEP_1)
	v_cndmask_b32_e64 v1, s6, v4, s0
	s_mov_b32 s0, exec_lo
	v_cmpx_gt_i32_e64 s5, v0
	s_cbranch_execnz .LBB36_5
; %bb.1:
	s_or_b32 exec_lo, exec_lo, s0
	s_delay_alu instid0(SALU_CYCLE_1)
	s_mov_b32 s0, exec_lo
	v_cmpx_gt_i32_e64 s5, v0
	s_cbranch_execnz .LBB36_6
.LBB36_2:
	s_or_b32 exec_lo, exec_lo, s0
	s_delay_alu instid0(SALU_CYCLE_1)
	s_mov_b32 s0, exec_lo
	v_cmpx_gt_i32_e64 s5, v0
	s_cbranch_execnz .LBB36_7
.LBB36_3:
	s_or_b32 exec_lo, exec_lo, s0
	s_delay_alu instid0(SALU_CYCLE_1)
	s_mov_b32 s0, exec_lo
	v_cmpx_gt_i32_e64 s5, v0
	s_cbranch_execnz .LBB36_8
.LBB36_4:
	s_nop 0
	s_sendmsg sendmsg(MSG_DEALLOC_VGPRS)
	s_endpgm
.LBB36_5:
	v_or_b32_e32 v4, s4, v0
	v_dual_mov_b32 v5, 0 :: v_dual_mov_b32 v0, v3
	s_delay_alu instid0(VALU_DEP_1) | instskip(NEXT) | instid1(VALU_DEP_1)
	v_lshlrev_b64 v[4:5], 1, v[4:5]
	v_add_co_u32 v4, vcc_lo, s2, v4
	s_delay_alu instid0(VALU_DEP_2) | instskip(SKIP_2) | instid1(SALU_CYCLE_1)
	v_add_co_ci_u32_e32 v5, vcc_lo, s3, v5, vcc_lo
	global_store_b16 v[4:5], v2, off
	s_or_b32 exec_lo, exec_lo, s0
	s_mov_b32 s0, exec_lo
	v_cmpx_gt_i32_e64 s5, v0
	s_cbranch_execz .LBB36_2
.LBB36_6:
	v_dual_mov_b32 v4, 0 :: v_dual_add_nc_u32 v3, s4, v0
	v_add_nc_u32_e32 v0, 0x100, v0
	s_delay_alu instid0(VALU_DEP_2) | instskip(NEXT) | instid1(VALU_DEP_1)
	v_lshlrev_b64 v[3:4], 1, v[3:4]
	v_add_co_u32 v3, vcc_lo, s2, v3
	s_delay_alu instid0(VALU_DEP_2) | instskip(SKIP_2) | instid1(SALU_CYCLE_1)
	v_add_co_ci_u32_e32 v4, vcc_lo, s3, v4, vcc_lo
	global_store_d16_hi_b16 v[3:4], v2, off
	s_or_b32 exec_lo, exec_lo, s0
	s_mov_b32 s0, exec_lo
	v_cmpx_gt_i32_e64 s5, v0
	s_cbranch_execz .LBB36_3
.LBB36_7:
	v_dual_mov_b32 v3, 0 :: v_dual_add_nc_u32 v2, s4, v0
	v_add_nc_u32_e32 v0, 0x100, v0
	s_delay_alu instid0(VALU_DEP_2) | instskip(NEXT) | instid1(VALU_DEP_1)
	v_lshlrev_b64 v[2:3], 1, v[2:3]
	v_add_co_u32 v2, vcc_lo, s2, v2
	s_delay_alu instid0(VALU_DEP_2) | instskip(SKIP_2) | instid1(SALU_CYCLE_1)
	v_add_co_ci_u32_e32 v3, vcc_lo, s3, v3, vcc_lo
	global_store_b16 v[2:3], v1, off
	s_or_b32 exec_lo, exec_lo, s0
	s_mov_b32 s0, exec_lo
	v_cmpx_gt_i32_e64 s5, v0
	s_cbranch_execz .LBB36_4
.LBB36_8:
	v_dual_mov_b32 v3, 0 :: v_dual_add_nc_u32 v2, s4, v0
	s_delay_alu instid0(VALU_DEP_1) | instskip(NEXT) | instid1(VALU_DEP_1)
	v_lshlrev_b64 v[2:3], 1, v[2:3]
	v_add_co_u32 v2, vcc_lo, s2, v2
	s_delay_alu instid0(VALU_DEP_2)
	v_add_co_ci_u32_e32 v3, vcc_lo, s3, v3, vcc_lo
	global_store_d16_hi_b16 v[2:3], v1, off
	s_nop 0
	s_sendmsg sendmsg(MSG_DEALLOC_VGPRS)
	s_endpgm
	.section	.rodata,"a",@progbits
	.p2align	6, 0x0
	.amdhsa_kernel _ZN2at6native27unrolled_elementwise_kernelINS0_11FillFunctorIsEESt5arrayIPcLm1EELi4E23TrivialOffsetCalculatorILi0EjES7_ILi1EjENS0_6memory15LoadWithoutCastENSA_16StoreWithoutCastEEEviT_T0_T2_T3_T4_T5_
		.amdhsa_group_segment_fixed_size 0
		.amdhsa_private_segment_fixed_size 0
		.amdhsa_kernarg_size 20
		.amdhsa_user_sgpr_count 15
		.amdhsa_user_sgpr_dispatch_ptr 0
		.amdhsa_user_sgpr_queue_ptr 0
		.amdhsa_user_sgpr_kernarg_segment_ptr 1
		.amdhsa_user_sgpr_dispatch_id 0
		.amdhsa_user_sgpr_private_segment_size 0
		.amdhsa_wavefront_size32 1
		.amdhsa_uses_dynamic_stack 0
		.amdhsa_enable_private_segment 0
		.amdhsa_system_sgpr_workgroup_id_x 1
		.amdhsa_system_sgpr_workgroup_id_y 0
		.amdhsa_system_sgpr_workgroup_id_z 0
		.amdhsa_system_sgpr_workgroup_info 0
		.amdhsa_system_vgpr_workitem_id 0
		.amdhsa_next_free_vgpr 6
		.amdhsa_next_free_sgpr 16
		.amdhsa_reserve_vcc 1
		.amdhsa_float_round_mode_32 0
		.amdhsa_float_round_mode_16_64 0
		.amdhsa_float_denorm_mode_32 3
		.amdhsa_float_denorm_mode_16_64 3
		.amdhsa_dx10_clamp 1
		.amdhsa_ieee_mode 1
		.amdhsa_fp16_overflow 0
		.amdhsa_workgroup_processor_mode 1
		.amdhsa_memory_ordered 1
		.amdhsa_forward_progress 0
		.amdhsa_shared_vgpr_count 0
		.amdhsa_exception_fp_ieee_invalid_op 0
		.amdhsa_exception_fp_denorm_src 0
		.amdhsa_exception_fp_ieee_div_zero 0
		.amdhsa_exception_fp_ieee_overflow 0
		.amdhsa_exception_fp_ieee_underflow 0
		.amdhsa_exception_fp_ieee_inexact 0
		.amdhsa_exception_int_div_zero 0
	.end_amdhsa_kernel
	.section	.text._ZN2at6native27unrolled_elementwise_kernelINS0_11FillFunctorIsEESt5arrayIPcLm1EELi4E23TrivialOffsetCalculatorILi0EjES7_ILi1EjENS0_6memory15LoadWithoutCastENSA_16StoreWithoutCastEEEviT_T0_T2_T3_T4_T5_,"axG",@progbits,_ZN2at6native27unrolled_elementwise_kernelINS0_11FillFunctorIsEESt5arrayIPcLm1EELi4E23TrivialOffsetCalculatorILi0EjES7_ILi1EjENS0_6memory15LoadWithoutCastENSA_16StoreWithoutCastEEEviT_T0_T2_T3_T4_T5_,comdat
.Lfunc_end36:
	.size	_ZN2at6native27unrolled_elementwise_kernelINS0_11FillFunctorIsEESt5arrayIPcLm1EELi4E23TrivialOffsetCalculatorILi0EjES7_ILi1EjENS0_6memory15LoadWithoutCastENSA_16StoreWithoutCastEEEviT_T0_T2_T3_T4_T5_, .Lfunc_end36-_ZN2at6native27unrolled_elementwise_kernelINS0_11FillFunctorIsEESt5arrayIPcLm1EELi4E23TrivialOffsetCalculatorILi0EjES7_ILi1EjENS0_6memory15LoadWithoutCastENSA_16StoreWithoutCastEEEviT_T0_T2_T3_T4_T5_
                                        ; -- End function
	.section	.AMDGPU.csdata,"",@progbits
; Kernel info:
; codeLenInByte = 460
; NumSgprs: 18
; NumVgprs: 6
; ScratchSize: 0
; MemoryBound: 0
; FloatMode: 240
; IeeeMode: 1
; LDSByteSize: 0 bytes/workgroup (compile time only)
; SGPRBlocks: 2
; VGPRBlocks: 0
; NumSGPRsForWavesPerEU: 18
; NumVGPRsForWavesPerEU: 6
; Occupancy: 16
; WaveLimiterHint : 0
; COMPUTE_PGM_RSRC2:SCRATCH_EN: 0
; COMPUTE_PGM_RSRC2:USER_SGPR: 15
; COMPUTE_PGM_RSRC2:TRAP_HANDLER: 0
; COMPUTE_PGM_RSRC2:TGID_X_EN: 1
; COMPUTE_PGM_RSRC2:TGID_Y_EN: 0
; COMPUTE_PGM_RSRC2:TGID_Z_EN: 0
; COMPUTE_PGM_RSRC2:TIDIG_COMP_CNT: 0
	.section	.text._ZN2at6native32elementwise_kernel_manual_unrollILi128ELi8EZNS0_22gpu_kernel_impl_nocastINS0_11FillFunctorIsEEEEvRNS_18TensorIteratorBaseERKT_EUlibE_EEviT1_,"axG",@progbits,_ZN2at6native32elementwise_kernel_manual_unrollILi128ELi8EZNS0_22gpu_kernel_impl_nocastINS0_11FillFunctorIsEEEEvRNS_18TensorIteratorBaseERKT_EUlibE_EEviT1_,comdat
	.protected	_ZN2at6native32elementwise_kernel_manual_unrollILi128ELi8EZNS0_22gpu_kernel_impl_nocastINS0_11FillFunctorIsEEEEvRNS_18TensorIteratorBaseERKT_EUlibE_EEviT1_ ; -- Begin function _ZN2at6native32elementwise_kernel_manual_unrollILi128ELi8EZNS0_22gpu_kernel_impl_nocastINS0_11FillFunctorIsEEEEvRNS_18TensorIteratorBaseERKT_EUlibE_EEviT1_
	.globl	_ZN2at6native32elementwise_kernel_manual_unrollILi128ELi8EZNS0_22gpu_kernel_impl_nocastINS0_11FillFunctorIsEEEEvRNS_18TensorIteratorBaseERKT_EUlibE_EEviT1_
	.p2align	8
	.type	_ZN2at6native32elementwise_kernel_manual_unrollILi128ELi8EZNS0_22gpu_kernel_impl_nocastINS0_11FillFunctorIsEEEEvRNS_18TensorIteratorBaseERKT_EUlibE_EEviT1_,@function
_ZN2at6native32elementwise_kernel_manual_unrollILi128ELi8EZNS0_22gpu_kernel_impl_nocastINS0_11FillFunctorIsEEEEvRNS_18TensorIteratorBaseERKT_EUlibE_EEviT1_: ; @_ZN2at6native32elementwise_kernel_manual_unrollILi128ELi8EZNS0_22gpu_kernel_impl_nocastINS0_11FillFunctorIsEEEEvRNS_18TensorIteratorBaseERKT_EUlibE_EEviT1_
; %bb.0:
	s_clause 0x1
	s_load_b32 s18, s[0:1], 0x8
	s_load_b32 s24, s[0:1], 0x0
	v_lshl_or_b32 v6, s15, 10, v0
	s_or_b32 s0, s0, 8
	s_mov_b32 s2, exec_lo
	s_delay_alu instid0(VALU_DEP_1) | instskip(SKIP_2) | instid1(SALU_CYCLE_1)
	v_or_b32_e32 v8, 0x380, v6
	s_waitcnt lgkmcnt(0)
	s_add_i32 s19, s18, -1
	s_cmp_gt_u32 s19, 1
	s_cselect_b32 s20, -1, 0
	v_cmpx_le_i32_e64 s24, v8
	s_xor_b32 s21, exec_lo, s2
	s_cbranch_execz .LBB37_7
; %bb.1:
	s_clause 0x4
	s_load_b128 s[4:7], s[0:1], 0x4
	s_load_b64 s[10:11], s[0:1], 0x14
	s_load_b64 s[8:9], s[0:1], 0xc4
	;; [unrolled: 1-line block ×3, first 2 shown]
	s_load_b32 s22, s[0:1], 0x110
	s_cmp_lg_u32 s18, 0
	s_mov_b32 s27, exec_lo
	s_cselect_b32 s26, -1, 0
	s_add_u32 s12, s0, 0xc4
	s_addc_u32 s13, s1, 0
	s_min_u32 s25, s19, 15
	s_cmp_gt_u32 s18, 1
	s_cselect_b32 s23, -1, 0
	v_cmpx_gt_i32_e64 s24, v6
	s_cbranch_execz .LBB37_14
; %bb.2:
	s_and_not1_b32 vcc_lo, exec_lo, s20
	s_cbranch_vccnz .LBB37_21
; %bb.3:
	v_mov_b32_e32 v0, 0
	s_and_not1_b32 vcc_lo, exec_lo, s26
	s_cbranch_vccnz .LBB37_125
; %bb.4:
	s_add_i32 s29, s25, 1
	s_cmp_eq_u32 s19, 2
	s_mov_b32 s28, 0
	s_cbranch_scc1 .LBB37_121
; %bb.5:
	v_dual_mov_b32 v0, 0 :: v_dual_mov_b32 v1, v6
	s_and_b32 s28, s29, 28
	s_mov_b32 s30, 0
	s_mov_b64 s[14:15], s[0:1]
	s_mov_b64 s[16:17], s[12:13]
.LBB37_6:                               ; =>This Inner Loop Header: Depth=1
	s_clause 0x1
	s_load_b256 s[36:43], s[14:15], 0x4
	s_load_b128 s[44:47], s[14:15], 0x24
	s_load_b128 s[48:51], s[16:17], 0x0
	s_add_u32 s14, s14, 48
	s_addc_u32 s15, s15, 0
	s_add_i32 s30, s30, 4
	s_add_u32 s16, s16, 16
	s_addc_u32 s17, s17, 0
	s_cmp_lg_u32 s28, s30
	s_waitcnt lgkmcnt(0)
	v_mul_hi_u32 v2, s37, v1
	s_delay_alu instid0(VALU_DEP_1) | instskip(NEXT) | instid1(VALU_DEP_1)
	v_add_nc_u32_e32 v2, v1, v2
	v_lshrrev_b32_e32 v2, s38, v2
	s_delay_alu instid0(VALU_DEP_1) | instskip(SKIP_1) | instid1(VALU_DEP_2)
	v_mul_hi_u32 v3, s40, v2
	v_mul_lo_u32 v7, v2, s36
	v_add_nc_u32_e32 v3, v2, v3
	s_delay_alu instid0(VALU_DEP_2) | instskip(NEXT) | instid1(VALU_DEP_2)
	v_sub_nc_u32_e32 v7, v1, v7
	v_lshrrev_b32_e32 v3, s41, v3
	s_delay_alu instid0(VALU_DEP_2) | instskip(NEXT) | instid1(VALU_DEP_2)
	v_mul_lo_u32 v7, v7, s48
	v_mul_hi_u32 v4, s43, v3
	v_mul_lo_u32 v8, v3, s39
	s_delay_alu instid0(VALU_DEP_2) | instskip(NEXT) | instid1(VALU_DEP_2)
	v_add_nc_u32_e32 v4, v3, v4
	v_sub_nc_u32_e32 v2, v2, v8
	s_delay_alu instid0(VALU_DEP_2) | instskip(NEXT) | instid1(VALU_DEP_2)
	v_lshrrev_b32_e32 v4, s44, v4
	v_mul_lo_u32 v2, v2, s49
	s_delay_alu instid0(VALU_DEP_2) | instskip(NEXT) | instid1(VALU_DEP_2)
	v_mul_hi_u32 v5, s46, v4
	v_add3_u32 v0, v7, v0, v2
	s_delay_alu instid0(VALU_DEP_2) | instskip(NEXT) | instid1(VALU_DEP_1)
	v_add_nc_u32_e32 v5, v4, v5
	v_lshrrev_b32_e32 v1, s47, v5
	v_mul_lo_u32 v5, v4, s42
	s_delay_alu instid0(VALU_DEP_2) | instskip(NEXT) | instid1(VALU_DEP_2)
	v_mul_lo_u32 v9, v1, s45
	v_sub_nc_u32_e32 v3, v3, v5
	s_delay_alu instid0(VALU_DEP_2) | instskip(NEXT) | instid1(VALU_DEP_2)
	v_sub_nc_u32_e32 v4, v4, v9
	v_mul_lo_u32 v3, v3, s50
	s_delay_alu instid0(VALU_DEP_2) | instskip(NEXT) | instid1(VALU_DEP_1)
	v_mul_lo_u32 v4, v4, s51
	v_add3_u32 v0, v3, v0, v4
	s_cbranch_scc1 .LBB37_6
	s_branch .LBB37_122
.LBB37_7:
	s_and_not1_saveexec_b32 s2, s21
	s_cbranch_execz .LBB37_206
.LBB37_8:
	v_cndmask_b32_e64 v7, 0, 1, s20
	s_and_not1_b32 vcc_lo, exec_lo, s20
	s_cbranch_vccnz .LBB37_20
; %bb.9:
	v_mov_b32_e32 v0, 0
	s_cmp_eq_u32 s18, 0
	s_mov_b32 s6, 0
	s_cbranch_scc1 .LBB37_26
; %bb.10:
	s_min_u32 s7, s19, 15
	v_mov_b32_e32 v0, 0
	s_add_i32 s7, s7, 1
	s_cmp_eq_u32 s19, 2
	s_mov_b32 s8, 0
	s_cbranch_scc1 .LBB37_23
; %bb.11:
	v_dual_mov_b32 v0, 0 :: v_dual_mov_b32 v1, v6
	s_add_u32 s2, s0, 0xc4
	s_addc_u32 s3, s1, 0
	s_and_b32 s8, s7, 28
	s_mov_b32 s9, 0
	s_mov_b64 s[4:5], s[0:1]
.LBB37_12:                              ; =>This Inner Loop Header: Depth=1
	s_clause 0x1
	s_load_b256 s[20:27], s[4:5], 0x4
	s_load_b128 s[12:15], s[4:5], 0x24
	s_load_b128 s[28:31], s[2:3], 0x0
	s_add_u32 s4, s4, 48
	s_addc_u32 s5, s5, 0
	s_add_i32 s9, s9, 4
	s_add_u32 s2, s2, 16
	s_addc_u32 s3, s3, 0
	s_cmp_lg_u32 s8, s9
	s_waitcnt lgkmcnt(0)
	v_mul_hi_u32 v2, s21, v1
	s_delay_alu instid0(VALU_DEP_1) | instskip(NEXT) | instid1(VALU_DEP_1)
	v_add_nc_u32_e32 v2, v1, v2
	v_lshrrev_b32_e32 v2, s22, v2
	s_delay_alu instid0(VALU_DEP_1) | instskip(SKIP_1) | instid1(VALU_DEP_2)
	v_mul_hi_u32 v3, s24, v2
	v_mul_lo_u32 v9, v2, s20
	v_add_nc_u32_e32 v3, v2, v3
	s_delay_alu instid0(VALU_DEP_2) | instskip(NEXT) | instid1(VALU_DEP_2)
	v_sub_nc_u32_e32 v9, v1, v9
	v_lshrrev_b32_e32 v3, s25, v3
	s_delay_alu instid0(VALU_DEP_2) | instskip(NEXT) | instid1(VALU_DEP_2)
	v_mul_lo_u32 v9, v9, s28
	v_mul_hi_u32 v4, s27, v3
	v_mul_lo_u32 v10, v3, s23
	s_delay_alu instid0(VALU_DEP_2) | instskip(NEXT) | instid1(VALU_DEP_2)
	v_add_nc_u32_e32 v4, v3, v4
	v_sub_nc_u32_e32 v2, v2, v10
	s_delay_alu instid0(VALU_DEP_2) | instskip(NEXT) | instid1(VALU_DEP_2)
	v_lshrrev_b32_e32 v4, s12, v4
	v_mul_lo_u32 v2, v2, s29
	s_delay_alu instid0(VALU_DEP_2) | instskip(NEXT) | instid1(VALU_DEP_2)
	v_mul_hi_u32 v5, s14, v4
	v_add3_u32 v0, v9, v0, v2
	s_delay_alu instid0(VALU_DEP_2) | instskip(NEXT) | instid1(VALU_DEP_1)
	v_add_nc_u32_e32 v5, v4, v5
	v_lshrrev_b32_e32 v1, s15, v5
	v_mul_lo_u32 v5, v4, s26
	s_delay_alu instid0(VALU_DEP_2) | instskip(NEXT) | instid1(VALU_DEP_2)
	v_mul_lo_u32 v11, v1, s13
	v_sub_nc_u32_e32 v3, v3, v5
	s_delay_alu instid0(VALU_DEP_2) | instskip(NEXT) | instid1(VALU_DEP_2)
	v_sub_nc_u32_e32 v4, v4, v11
	v_mul_lo_u32 v3, v3, s30
	s_delay_alu instid0(VALU_DEP_2) | instskip(NEXT) | instid1(VALU_DEP_1)
	v_mul_lo_u32 v4, v4, s31
	v_add3_u32 v0, v3, v0, v4
	s_cbranch_scc1 .LBB37_12
; %bb.13:
	s_and_b32 s7, s7, 3
	s_delay_alu instid0(SALU_CYCLE_1)
	s_cmp_eq_u32 s7, 0
	s_cbranch_scc0 .LBB37_24
	s_branch .LBB37_26
.LBB37_14:
	s_or_b32 exec_lo, exec_lo, s27
	s_delay_alu instid0(SALU_CYCLE_1)
	s_mov_b32 s27, exec_lo
	v_cmpx_gt_i32_e64 s24, v6
	s_cbranch_execz .LBB37_129
.LBB37_15:
	s_and_not1_b32 vcc_lo, exec_lo, s20
	s_cbranch_vccnz .LBB37_22
; %bb.16:
	v_mov_b32_e32 v0, 0
	s_and_not1_b32 vcc_lo, exec_lo, s26
	s_cbranch_vccnz .LBB37_140
; %bb.17:
	s_add_i32 s29, s25, 1
	s_cmp_eq_u32 s19, 2
	s_mov_b32 s28, 0
	s_cbranch_scc1 .LBB37_136
; %bb.18:
	v_dual_mov_b32 v0, 0 :: v_dual_mov_b32 v1, v6
	s_and_b32 s28, s29, 28
	s_mov_b32 s30, 0
	s_mov_b64 s[14:15], s[0:1]
	s_mov_b64 s[16:17], s[12:13]
.LBB37_19:                              ; =>This Inner Loop Header: Depth=1
	s_clause 0x1
	s_load_b256 s[36:43], s[14:15], 0x4
	s_load_b128 s[44:47], s[14:15], 0x24
	s_load_b128 s[48:51], s[16:17], 0x0
	s_add_u32 s14, s14, 48
	s_addc_u32 s15, s15, 0
	s_add_i32 s30, s30, 4
	s_add_u32 s16, s16, 16
	s_addc_u32 s17, s17, 0
	s_cmp_eq_u32 s28, s30
	s_waitcnt lgkmcnt(0)
	v_mul_hi_u32 v2, s37, v1
	s_delay_alu instid0(VALU_DEP_1) | instskip(NEXT) | instid1(VALU_DEP_1)
	v_add_nc_u32_e32 v2, v1, v2
	v_lshrrev_b32_e32 v2, s38, v2
	s_delay_alu instid0(VALU_DEP_1) | instskip(SKIP_1) | instid1(VALU_DEP_2)
	v_mul_hi_u32 v3, s40, v2
	v_mul_lo_u32 v7, v2, s36
	v_add_nc_u32_e32 v3, v2, v3
	s_delay_alu instid0(VALU_DEP_2) | instskip(NEXT) | instid1(VALU_DEP_2)
	v_sub_nc_u32_e32 v7, v1, v7
	v_lshrrev_b32_e32 v3, s41, v3
	s_delay_alu instid0(VALU_DEP_2) | instskip(NEXT) | instid1(VALU_DEP_2)
	v_mul_lo_u32 v7, v7, s48
	v_mul_hi_u32 v4, s43, v3
	v_mul_lo_u32 v8, v3, s39
	s_delay_alu instid0(VALU_DEP_2) | instskip(NEXT) | instid1(VALU_DEP_2)
	v_add_nc_u32_e32 v4, v3, v4
	v_sub_nc_u32_e32 v2, v2, v8
	s_delay_alu instid0(VALU_DEP_2) | instskip(NEXT) | instid1(VALU_DEP_2)
	v_lshrrev_b32_e32 v4, s44, v4
	v_mul_lo_u32 v2, v2, s49
	s_delay_alu instid0(VALU_DEP_2) | instskip(NEXT) | instid1(VALU_DEP_2)
	v_mul_hi_u32 v5, s46, v4
	v_add3_u32 v0, v7, v0, v2
	s_delay_alu instid0(VALU_DEP_2) | instskip(NEXT) | instid1(VALU_DEP_1)
	v_add_nc_u32_e32 v5, v4, v5
	v_lshrrev_b32_e32 v1, s47, v5
	v_mul_lo_u32 v5, v4, s42
	s_delay_alu instid0(VALU_DEP_2) | instskip(NEXT) | instid1(VALU_DEP_2)
	v_mul_lo_u32 v9, v1, s45
	v_sub_nc_u32_e32 v3, v3, v5
	s_delay_alu instid0(VALU_DEP_2) | instskip(NEXT) | instid1(VALU_DEP_2)
	v_sub_nc_u32_e32 v4, v4, v9
	v_mul_lo_u32 v3, v3, s50
	s_delay_alu instid0(VALU_DEP_2) | instskip(NEXT) | instid1(VALU_DEP_1)
	v_mul_lo_u32 v4, v4, s51
	v_add3_u32 v0, v3, v0, v4
	s_cbranch_scc0 .LBB37_19
	s_branch .LBB37_137
.LBB37_20:
	s_mov_b32 s6, -1
                                        ; implicit-def: $vgpr0
	s_branch .LBB37_26
.LBB37_21:
                                        ; implicit-def: $vgpr0
	s_branch .LBB37_126
.LBB37_22:
                                        ; implicit-def: $vgpr0
	s_branch .LBB37_141
.LBB37_23:
	v_mov_b32_e32 v1, v6
	s_and_b32 s7, s7, 3
	s_delay_alu instid0(SALU_CYCLE_1)
	s_cmp_eq_u32 s7, 0
	s_cbranch_scc1 .LBB37_26
.LBB37_24:
	s_lshl_b32 s2, s8, 2
	s_mul_i32 s4, s8, 12
	s_add_u32 s2, s2, s0
	s_addc_u32 s3, 0, s1
	s_add_u32 s2, s2, 0xc4
	s_addc_u32 s3, s3, 0
	;; [unrolled: 2-line block ×3, first 2 shown]
	.p2align	6
.LBB37_25:                              ; =>This Inner Loop Header: Depth=1
	s_clause 0x1
	s_load_b64 s[8:9], s[4:5], 0x4
	s_load_b32 s10, s[4:5], 0xc
	s_add_u32 s4, s4, 12
	s_addc_u32 s5, s5, 0
	s_waitcnt lgkmcnt(0)
	v_mul_hi_u32 v2, s9, v1
	s_load_b32 s9, s[2:3], 0x0
	s_add_u32 s2, s2, 4
	s_addc_u32 s3, s3, 0
	s_add_i32 s7, s7, -1
	s_delay_alu instid0(SALU_CYCLE_1) | instskip(NEXT) | instid1(VALU_DEP_1)
	s_cmp_lg_u32 s7, 0
	v_add_nc_u32_e32 v2, v1, v2
	s_delay_alu instid0(VALU_DEP_1) | instskip(NEXT) | instid1(VALU_DEP_1)
	v_lshrrev_b32_e32 v4, s10, v2
	v_mul_lo_u32 v2, v4, s8
	s_delay_alu instid0(VALU_DEP_1) | instskip(SKIP_1) | instid1(VALU_DEP_1)
	v_sub_nc_u32_e32 v1, v1, v2
	s_waitcnt lgkmcnt(0)
	v_mad_u64_u32 v[2:3], null, v1, s9, v[0:1]
	s_delay_alu instid0(VALU_DEP_1)
	v_dual_mov_b32 v1, v4 :: v_dual_mov_b32 v0, v2
	s_cbranch_scc1 .LBB37_25
.LBB37_26:
	s_and_not1_b32 vcc_lo, exec_lo, s6
	s_cbranch_vccnz .LBB37_29
; %bb.27:
	s_clause 0x1
	s_load_b128 s[4:7], s[0:1], 0x4
	s_load_b32 s2, s[0:1], 0xc4
	s_cmp_lt_u32 s18, 2
	s_waitcnt lgkmcnt(0)
	v_mul_hi_u32 v0, s5, v6
	s_delay_alu instid0(VALU_DEP_1) | instskip(NEXT) | instid1(VALU_DEP_1)
	v_add_nc_u32_e32 v0, v6, v0
	v_lshrrev_b32_e32 v1, s6, v0
	s_delay_alu instid0(VALU_DEP_1) | instskip(NEXT) | instid1(VALU_DEP_1)
	v_mul_lo_u32 v0, v1, s4
	v_sub_nc_u32_e32 v0, v6, v0
	s_delay_alu instid0(VALU_DEP_1)
	v_mul_lo_u32 v0, v0, s2
	s_cbranch_scc1 .LBB37_29
; %bb.28:
	s_clause 0x1
	s_load_b128 s[4:7], s[0:1], 0x10
	s_load_b32 s2, s[0:1], 0xc8
	s_waitcnt lgkmcnt(0)
	v_mul_hi_u32 v2, s5, v1
	s_delay_alu instid0(VALU_DEP_1) | instskip(NEXT) | instid1(VALU_DEP_1)
	v_add_nc_u32_e32 v2, v1, v2
	v_lshrrev_b32_e32 v2, s6, v2
	s_delay_alu instid0(VALU_DEP_1) | instskip(NEXT) | instid1(VALU_DEP_1)
	v_mul_lo_u32 v2, v2, s4
	v_sub_nc_u32_e32 v3, v1, v2
	s_delay_alu instid0(VALU_DEP_1) | instskip(NEXT) | instid1(VALU_DEP_1)
	v_mad_u64_u32 v[1:2], null, v3, s2, v[0:1]
	v_mov_b32_e32 v0, v1
.LBB37_29:
	v_cmp_ne_u32_e32 vcc_lo, 1, v7
	v_add_nc_u32_e32 v2, 0x80, v6
	s_cbranch_vccnz .LBB37_35
; %bb.30:
	v_mov_b32_e32 v1, 0
	s_cmp_eq_u32 s18, 0
	s_mov_b32 s6, 0
	s_cbranch_scc1 .LBB37_39
; %bb.31:
	s_min_u32 s7, s19, 15
	v_mov_b32_e32 v1, 0
	s_add_i32 s7, s7, 1
	s_cmp_eq_u32 s19, 2
	s_mov_b32 s8, 0
	s_cbranch_scc1 .LBB37_36
; %bb.32:
	v_mov_b32_e32 v1, 0
	v_mov_b32_e32 v3, v2
	s_add_u32 s2, s0, 0xc4
	s_addc_u32 s3, s1, 0
	s_and_b32 s8, s7, 28
	s_mov_b32 s9, 0
	s_mov_b64 s[4:5], s[0:1]
.LBB37_33:                              ; =>This Inner Loop Header: Depth=1
	s_clause 0x1
	s_load_b256 s[20:27], s[4:5], 0x4
	s_load_b128 s[12:15], s[4:5], 0x24
	s_load_b128 s[28:31], s[2:3], 0x0
	s_add_u32 s4, s4, 48
	s_addc_u32 s5, s5, 0
	s_add_i32 s9, s9, 4
	s_add_u32 s2, s2, 16
	s_addc_u32 s3, s3, 0
	s_cmp_lg_u32 s8, s9
	s_waitcnt lgkmcnt(0)
	v_mul_hi_u32 v4, s21, v3
	s_delay_alu instid0(VALU_DEP_1) | instskip(NEXT) | instid1(VALU_DEP_1)
	v_add_nc_u32_e32 v4, v3, v4
	v_lshrrev_b32_e32 v4, s22, v4
	s_delay_alu instid0(VALU_DEP_1) | instskip(SKIP_1) | instid1(VALU_DEP_2)
	v_mul_hi_u32 v5, s24, v4
	v_mul_lo_u32 v11, v4, s20
	v_add_nc_u32_e32 v5, v4, v5
	s_delay_alu instid0(VALU_DEP_2) | instskip(NEXT) | instid1(VALU_DEP_2)
	v_sub_nc_u32_e32 v11, v3, v11
	v_lshrrev_b32_e32 v5, s25, v5
	s_delay_alu instid0(VALU_DEP_2) | instskip(NEXT) | instid1(VALU_DEP_2)
	v_mul_lo_u32 v11, v11, s28
	v_mul_hi_u32 v9, s27, v5
	v_mul_lo_u32 v12, v5, s23
	s_delay_alu instid0(VALU_DEP_2) | instskip(NEXT) | instid1(VALU_DEP_2)
	v_add_nc_u32_e32 v9, v5, v9
	v_sub_nc_u32_e32 v4, v4, v12
	s_delay_alu instid0(VALU_DEP_2) | instskip(NEXT) | instid1(VALU_DEP_2)
	v_lshrrev_b32_e32 v9, s12, v9
	v_mul_lo_u32 v4, v4, s29
	s_delay_alu instid0(VALU_DEP_2) | instskip(NEXT) | instid1(VALU_DEP_2)
	v_mul_hi_u32 v10, s14, v9
	v_add3_u32 v1, v11, v1, v4
	s_delay_alu instid0(VALU_DEP_2) | instskip(NEXT) | instid1(VALU_DEP_1)
	v_add_nc_u32_e32 v10, v9, v10
	v_lshrrev_b32_e32 v3, s15, v10
	v_mul_lo_u32 v10, v9, s26
	s_delay_alu instid0(VALU_DEP_2) | instskip(NEXT) | instid1(VALU_DEP_2)
	v_mul_lo_u32 v13, v3, s13
	v_sub_nc_u32_e32 v5, v5, v10
	s_delay_alu instid0(VALU_DEP_2) | instskip(NEXT) | instid1(VALU_DEP_2)
	v_sub_nc_u32_e32 v9, v9, v13
	v_mul_lo_u32 v5, v5, s30
	s_delay_alu instid0(VALU_DEP_2) | instskip(NEXT) | instid1(VALU_DEP_1)
	v_mul_lo_u32 v9, v9, s31
	v_add3_u32 v1, v5, v1, v9
	s_cbranch_scc1 .LBB37_33
; %bb.34:
	s_and_b32 s7, s7, 3
	s_delay_alu instid0(SALU_CYCLE_1)
	s_cmp_eq_u32 s7, 0
	s_cbranch_scc0 .LBB37_37
	s_branch .LBB37_39
.LBB37_35:
	s_mov_b32 s6, -1
                                        ; implicit-def: $vgpr1
	s_branch .LBB37_39
.LBB37_36:
	v_mov_b32_e32 v3, v2
	s_and_b32 s7, s7, 3
	s_delay_alu instid0(SALU_CYCLE_1)
	s_cmp_eq_u32 s7, 0
	s_cbranch_scc1 .LBB37_39
.LBB37_37:
	s_lshl_b32 s2, s8, 2
	s_mul_i32 s4, s8, 12
	s_add_u32 s2, s2, s0
	s_addc_u32 s3, 0, s1
	s_add_u32 s2, s2, 0xc4
	s_addc_u32 s3, s3, 0
	;; [unrolled: 2-line block ×3, first 2 shown]
	.p2align	6
.LBB37_38:                              ; =>This Inner Loop Header: Depth=1
	s_clause 0x1
	s_load_b64 s[8:9], s[4:5], 0x4
	s_load_b32 s10, s[4:5], 0xc
	s_add_u32 s4, s4, 12
	s_addc_u32 s5, s5, 0
	s_waitcnt lgkmcnt(0)
	v_mul_hi_u32 v4, s9, v3
	s_load_b32 s9, s[2:3], 0x0
	s_add_u32 s2, s2, 4
	s_addc_u32 s3, s3, 0
	s_add_i32 s7, s7, -1
	s_delay_alu instid0(SALU_CYCLE_1) | instskip(NEXT) | instid1(VALU_DEP_1)
	s_cmp_lg_u32 s7, 0
	v_add_nc_u32_e32 v4, v3, v4
	s_delay_alu instid0(VALU_DEP_1) | instskip(NEXT) | instid1(VALU_DEP_1)
	v_lshrrev_b32_e32 v9, s10, v4
	v_mul_lo_u32 v4, v9, s8
	s_delay_alu instid0(VALU_DEP_1) | instskip(SKIP_1) | instid1(VALU_DEP_1)
	v_sub_nc_u32_e32 v3, v3, v4
	s_waitcnt lgkmcnt(0)
	v_mad_u64_u32 v[4:5], null, v3, s9, v[1:2]
	v_mov_b32_e32 v3, v9
	s_delay_alu instid0(VALU_DEP_2)
	v_mov_b32_e32 v1, v4
	s_cbranch_scc1 .LBB37_38
.LBB37_39:
	s_and_not1_b32 vcc_lo, exec_lo, s6
	s_cbranch_vccnz .LBB37_42
; %bb.40:
	s_clause 0x1
	s_load_b128 s[4:7], s[0:1], 0x4
	s_load_b32 s2, s[0:1], 0xc4
	s_cmp_lt_u32 s18, 2
	s_waitcnt lgkmcnt(0)
	v_mul_hi_u32 v1, s5, v2
	s_delay_alu instid0(VALU_DEP_1) | instskip(NEXT) | instid1(VALU_DEP_1)
	v_add_nc_u32_e32 v1, v2, v1
	v_lshrrev_b32_e32 v3, s6, v1
	s_delay_alu instid0(VALU_DEP_1) | instskip(NEXT) | instid1(VALU_DEP_1)
	v_mul_lo_u32 v1, v3, s4
	v_sub_nc_u32_e32 v1, v2, v1
	s_delay_alu instid0(VALU_DEP_1)
	v_mul_lo_u32 v1, v1, s2
	s_cbranch_scc1 .LBB37_42
; %bb.41:
	s_clause 0x1
	s_load_b128 s[4:7], s[0:1], 0x10
	s_load_b32 s2, s[0:1], 0xc8
	s_waitcnt lgkmcnt(0)
	v_mul_hi_u32 v2, s5, v3
	s_delay_alu instid0(VALU_DEP_1) | instskip(NEXT) | instid1(VALU_DEP_1)
	v_add_nc_u32_e32 v2, v3, v2
	v_lshrrev_b32_e32 v2, s6, v2
	s_delay_alu instid0(VALU_DEP_1) | instskip(NEXT) | instid1(VALU_DEP_1)
	v_mul_lo_u32 v2, v2, s4
	v_sub_nc_u32_e32 v4, v3, v2
	s_delay_alu instid0(VALU_DEP_1) | instskip(NEXT) | instid1(VALU_DEP_1)
	v_mad_u64_u32 v[2:3], null, v4, s2, v[1:2]
	v_mov_b32_e32 v1, v2
.LBB37_42:
	v_cmp_ne_u32_e32 vcc_lo, 1, v7
	v_add_nc_u32_e32 v3, 0x100, v6
	s_cbranch_vccnz .LBB37_48
; %bb.43:
	v_mov_b32_e32 v2, 0
	s_cmp_eq_u32 s18, 0
	s_mov_b32 s6, 0
	s_cbranch_scc1 .LBB37_52
; %bb.44:
	s_min_u32 s7, s19, 15
	v_mov_b32_e32 v2, 0
	s_add_i32 s7, s7, 1
	s_cmp_eq_u32 s19, 2
	s_mov_b32 s8, 0
	s_cbranch_scc1 .LBB37_49
; %bb.45:
	v_mov_b32_e32 v2, 0
	v_mov_b32_e32 v4, v3
	s_add_u32 s2, s0, 0xc4
	s_addc_u32 s3, s1, 0
	s_and_b32 s8, s7, 28
	s_mov_b32 s9, 0
	s_mov_b64 s[4:5], s[0:1]
.LBB37_46:                              ; =>This Inner Loop Header: Depth=1
	s_clause 0x1
	s_load_b256 s[20:27], s[4:5], 0x4
	s_load_b128 s[12:15], s[4:5], 0x24
	s_load_b128 s[28:31], s[2:3], 0x0
	s_add_u32 s4, s4, 48
	s_addc_u32 s5, s5, 0
	s_add_i32 s9, s9, 4
	s_add_u32 s2, s2, 16
	s_addc_u32 s3, s3, 0
	s_cmp_lg_u32 s8, s9
	s_waitcnt lgkmcnt(0)
	v_mul_hi_u32 v5, s21, v4
	s_delay_alu instid0(VALU_DEP_1) | instskip(NEXT) | instid1(VALU_DEP_1)
	v_add_nc_u32_e32 v5, v4, v5
	v_lshrrev_b32_e32 v5, s22, v5
	s_delay_alu instid0(VALU_DEP_1) | instskip(SKIP_1) | instid1(VALU_DEP_2)
	v_mul_hi_u32 v9, s24, v5
	v_mul_lo_u32 v12, v5, s20
	v_add_nc_u32_e32 v9, v5, v9
	s_delay_alu instid0(VALU_DEP_2) | instskip(NEXT) | instid1(VALU_DEP_2)
	v_sub_nc_u32_e32 v12, v4, v12
	v_lshrrev_b32_e32 v9, s25, v9
	s_delay_alu instid0(VALU_DEP_2) | instskip(NEXT) | instid1(VALU_DEP_2)
	v_mul_lo_u32 v12, v12, s28
	v_mul_hi_u32 v10, s27, v9
	v_mul_lo_u32 v13, v9, s23
	s_delay_alu instid0(VALU_DEP_2) | instskip(NEXT) | instid1(VALU_DEP_2)
	v_add_nc_u32_e32 v10, v9, v10
	v_sub_nc_u32_e32 v5, v5, v13
	s_delay_alu instid0(VALU_DEP_2) | instskip(NEXT) | instid1(VALU_DEP_2)
	v_lshrrev_b32_e32 v10, s12, v10
	v_mul_lo_u32 v5, v5, s29
	s_delay_alu instid0(VALU_DEP_2) | instskip(NEXT) | instid1(VALU_DEP_2)
	v_mul_hi_u32 v11, s14, v10
	v_add3_u32 v2, v12, v2, v5
	s_delay_alu instid0(VALU_DEP_2) | instskip(NEXT) | instid1(VALU_DEP_1)
	v_add_nc_u32_e32 v11, v10, v11
	v_lshrrev_b32_e32 v4, s15, v11
	v_mul_lo_u32 v11, v10, s26
	s_delay_alu instid0(VALU_DEP_2) | instskip(NEXT) | instid1(VALU_DEP_2)
	v_mul_lo_u32 v14, v4, s13
	v_sub_nc_u32_e32 v9, v9, v11
	s_delay_alu instid0(VALU_DEP_2) | instskip(NEXT) | instid1(VALU_DEP_2)
	v_sub_nc_u32_e32 v10, v10, v14
	v_mul_lo_u32 v9, v9, s30
	s_delay_alu instid0(VALU_DEP_2) | instskip(NEXT) | instid1(VALU_DEP_1)
	v_mul_lo_u32 v10, v10, s31
	v_add3_u32 v2, v9, v2, v10
	s_cbranch_scc1 .LBB37_46
; %bb.47:
	s_and_b32 s7, s7, 3
	s_delay_alu instid0(SALU_CYCLE_1)
	s_cmp_eq_u32 s7, 0
	s_cbranch_scc0 .LBB37_50
	s_branch .LBB37_52
.LBB37_48:
	s_mov_b32 s6, -1
                                        ; implicit-def: $vgpr2
	s_branch .LBB37_52
.LBB37_49:
	v_mov_b32_e32 v4, v3
	s_and_b32 s7, s7, 3
	s_delay_alu instid0(SALU_CYCLE_1)
	s_cmp_eq_u32 s7, 0
	s_cbranch_scc1 .LBB37_52
.LBB37_50:
	s_lshl_b32 s2, s8, 2
	s_mul_i32 s4, s8, 12
	s_add_u32 s2, s2, s0
	s_addc_u32 s3, 0, s1
	s_add_u32 s2, s2, 0xc4
	s_addc_u32 s3, s3, 0
	;; [unrolled: 2-line block ×3, first 2 shown]
	.p2align	6
.LBB37_51:                              ; =>This Inner Loop Header: Depth=1
	s_clause 0x1
	s_load_b64 s[8:9], s[4:5], 0x4
	s_load_b32 s10, s[4:5], 0xc
	s_add_u32 s4, s4, 12
	s_addc_u32 s5, s5, 0
	s_waitcnt lgkmcnt(0)
	v_mul_hi_u32 v5, s9, v4
	s_load_b32 s9, s[2:3], 0x0
	s_add_u32 s2, s2, 4
	s_addc_u32 s3, s3, 0
	s_add_i32 s7, s7, -1
	s_delay_alu instid0(SALU_CYCLE_1) | instskip(NEXT) | instid1(VALU_DEP_1)
	s_cmp_lg_u32 s7, 0
	v_add_nc_u32_e32 v5, v4, v5
	s_delay_alu instid0(VALU_DEP_1) | instskip(NEXT) | instid1(VALU_DEP_1)
	v_lshrrev_b32_e32 v5, s10, v5
	v_mul_lo_u32 v9, v5, s8
	s_delay_alu instid0(VALU_DEP_1) | instskip(SKIP_1) | instid1(VALU_DEP_1)
	v_sub_nc_u32_e32 v4, v4, v9
	s_waitcnt lgkmcnt(0)
	v_mad_u64_u32 v[9:10], null, v4, s9, v[2:3]
	v_mov_b32_e32 v4, v5
	s_delay_alu instid0(VALU_DEP_2)
	v_mov_b32_e32 v2, v9
	s_cbranch_scc1 .LBB37_51
.LBB37_52:
	s_and_not1_b32 vcc_lo, exec_lo, s6
	s_cbranch_vccnz .LBB37_55
; %bb.53:
	s_clause 0x1
	s_load_b128 s[4:7], s[0:1], 0x4
	s_load_b32 s2, s[0:1], 0xc4
	s_cmp_lt_u32 s18, 2
	s_waitcnt lgkmcnt(0)
	v_mul_hi_u32 v2, s5, v3
	s_delay_alu instid0(VALU_DEP_1) | instskip(NEXT) | instid1(VALU_DEP_1)
	v_add_nc_u32_e32 v2, v3, v2
	v_lshrrev_b32_e32 v4, s6, v2
	s_delay_alu instid0(VALU_DEP_1) | instskip(NEXT) | instid1(VALU_DEP_1)
	v_mul_lo_u32 v2, v4, s4
	v_sub_nc_u32_e32 v2, v3, v2
	s_delay_alu instid0(VALU_DEP_1)
	v_mul_lo_u32 v2, v2, s2
	s_cbranch_scc1 .LBB37_55
; %bb.54:
	s_clause 0x1
	s_load_b128 s[4:7], s[0:1], 0x10
	s_load_b32 s2, s[0:1], 0xc8
	s_waitcnt lgkmcnt(0)
	v_mul_hi_u32 v3, s5, v4
	s_delay_alu instid0(VALU_DEP_1) | instskip(NEXT) | instid1(VALU_DEP_1)
	v_add_nc_u32_e32 v3, v4, v3
	v_lshrrev_b32_e32 v3, s6, v3
	s_delay_alu instid0(VALU_DEP_1) | instskip(NEXT) | instid1(VALU_DEP_1)
	v_mul_lo_u32 v3, v3, s4
	v_sub_nc_u32_e32 v5, v4, v3
	s_delay_alu instid0(VALU_DEP_1) | instskip(NEXT) | instid1(VALU_DEP_1)
	v_mad_u64_u32 v[3:4], null, v5, s2, v[2:3]
	v_mov_b32_e32 v2, v3
.LBB37_55:
	v_cmp_ne_u32_e32 vcc_lo, 1, v7
	v_add_nc_u32_e32 v4, 0x180, v6
	s_cbranch_vccnz .LBB37_61
; %bb.56:
	v_mov_b32_e32 v3, 0
	s_cmp_eq_u32 s18, 0
	s_mov_b32 s6, 0
	s_cbranch_scc1 .LBB37_65
; %bb.57:
	s_min_u32 s7, s19, 15
	v_mov_b32_e32 v3, 0
	s_add_i32 s7, s7, 1
	s_cmp_eq_u32 s19, 2
	s_mov_b32 s8, 0
	s_cbranch_scc1 .LBB37_62
; %bb.58:
	v_mov_b32_e32 v3, 0
	v_mov_b32_e32 v5, v4
	s_add_u32 s2, s0, 0xc4
	s_addc_u32 s3, s1, 0
	s_and_b32 s8, s7, 28
	s_mov_b32 s9, 0
	s_mov_b64 s[4:5], s[0:1]
.LBB37_59:                              ; =>This Inner Loop Header: Depth=1
	s_clause 0x1
	s_load_b256 s[20:27], s[4:5], 0x4
	s_load_b128 s[12:15], s[4:5], 0x24
	s_load_b128 s[28:31], s[2:3], 0x0
	s_add_u32 s4, s4, 48
	s_addc_u32 s5, s5, 0
	s_add_i32 s9, s9, 4
	s_add_u32 s2, s2, 16
	s_addc_u32 s3, s3, 0
	s_cmp_lg_u32 s8, s9
	s_waitcnt lgkmcnt(0)
	v_mul_hi_u32 v9, s21, v5
	s_delay_alu instid0(VALU_DEP_1) | instskip(NEXT) | instid1(VALU_DEP_1)
	v_add_nc_u32_e32 v9, v5, v9
	v_lshrrev_b32_e32 v9, s22, v9
	s_delay_alu instid0(VALU_DEP_1) | instskip(SKIP_1) | instid1(VALU_DEP_2)
	v_mul_hi_u32 v10, s24, v9
	v_mul_lo_u32 v13, v9, s20
	v_add_nc_u32_e32 v10, v9, v10
	s_delay_alu instid0(VALU_DEP_2) | instskip(NEXT) | instid1(VALU_DEP_2)
	v_sub_nc_u32_e32 v13, v5, v13
	v_lshrrev_b32_e32 v10, s25, v10
	s_delay_alu instid0(VALU_DEP_2) | instskip(NEXT) | instid1(VALU_DEP_2)
	v_mul_lo_u32 v13, v13, s28
	v_mul_hi_u32 v11, s27, v10
	v_mul_lo_u32 v14, v10, s23
	s_delay_alu instid0(VALU_DEP_2) | instskip(NEXT) | instid1(VALU_DEP_2)
	v_add_nc_u32_e32 v11, v10, v11
	v_sub_nc_u32_e32 v9, v9, v14
	s_delay_alu instid0(VALU_DEP_2) | instskip(NEXT) | instid1(VALU_DEP_2)
	v_lshrrev_b32_e32 v11, s12, v11
	v_mul_lo_u32 v9, v9, s29
	s_delay_alu instid0(VALU_DEP_2) | instskip(NEXT) | instid1(VALU_DEP_2)
	v_mul_hi_u32 v12, s14, v11
	v_add3_u32 v3, v13, v3, v9
	s_delay_alu instid0(VALU_DEP_2) | instskip(NEXT) | instid1(VALU_DEP_1)
	v_add_nc_u32_e32 v12, v11, v12
	v_lshrrev_b32_e32 v5, s15, v12
	v_mul_lo_u32 v12, v11, s26
	s_delay_alu instid0(VALU_DEP_2) | instskip(NEXT) | instid1(VALU_DEP_2)
	v_mul_lo_u32 v15, v5, s13
	v_sub_nc_u32_e32 v10, v10, v12
	s_delay_alu instid0(VALU_DEP_2) | instskip(NEXT) | instid1(VALU_DEP_2)
	v_sub_nc_u32_e32 v11, v11, v15
	v_mul_lo_u32 v10, v10, s30
	s_delay_alu instid0(VALU_DEP_2) | instskip(NEXT) | instid1(VALU_DEP_1)
	v_mul_lo_u32 v11, v11, s31
	v_add3_u32 v3, v10, v3, v11
	s_cbranch_scc1 .LBB37_59
; %bb.60:
	s_and_b32 s7, s7, 3
	s_delay_alu instid0(SALU_CYCLE_1)
	s_cmp_eq_u32 s7, 0
	s_cbranch_scc0 .LBB37_63
	s_branch .LBB37_65
.LBB37_61:
	s_mov_b32 s6, -1
                                        ; implicit-def: $vgpr3
	s_branch .LBB37_65
.LBB37_62:
	v_mov_b32_e32 v5, v4
	s_and_b32 s7, s7, 3
	s_delay_alu instid0(SALU_CYCLE_1)
	s_cmp_eq_u32 s7, 0
	s_cbranch_scc1 .LBB37_65
.LBB37_63:
	s_lshl_b32 s2, s8, 2
	s_mul_i32 s4, s8, 12
	s_add_u32 s2, s2, s0
	s_addc_u32 s3, 0, s1
	s_add_u32 s2, s2, 0xc4
	s_addc_u32 s3, s3, 0
	;; [unrolled: 2-line block ×3, first 2 shown]
	.p2align	6
.LBB37_64:                              ; =>This Inner Loop Header: Depth=1
	s_clause 0x1
	s_load_b64 s[8:9], s[4:5], 0x4
	s_load_b32 s10, s[4:5], 0xc
	s_add_u32 s4, s4, 12
	s_addc_u32 s5, s5, 0
	s_waitcnt lgkmcnt(0)
	v_mul_hi_u32 v9, s9, v5
	s_load_b32 s9, s[2:3], 0x0
	s_add_u32 s2, s2, 4
	s_addc_u32 s3, s3, 0
	s_add_i32 s7, s7, -1
	s_delay_alu instid0(SALU_CYCLE_1) | instskip(NEXT) | instid1(VALU_DEP_1)
	s_cmp_lg_u32 s7, 0
	v_add_nc_u32_e32 v9, v5, v9
	s_delay_alu instid0(VALU_DEP_1) | instskip(NEXT) | instid1(VALU_DEP_1)
	v_lshrrev_b32_e32 v11, s10, v9
	v_mul_lo_u32 v9, v11, s8
	s_delay_alu instid0(VALU_DEP_1) | instskip(SKIP_1) | instid1(VALU_DEP_1)
	v_sub_nc_u32_e32 v5, v5, v9
	s_waitcnt lgkmcnt(0)
	v_mad_u64_u32 v[9:10], null, v5, s9, v[3:4]
	v_mov_b32_e32 v5, v11
	s_delay_alu instid0(VALU_DEP_2)
	v_mov_b32_e32 v3, v9
	s_cbranch_scc1 .LBB37_64
.LBB37_65:
	s_and_not1_b32 vcc_lo, exec_lo, s6
	s_cbranch_vccnz .LBB37_68
; %bb.66:
	s_clause 0x1
	s_load_b128 s[4:7], s[0:1], 0x4
	s_load_b32 s2, s[0:1], 0xc4
	s_cmp_lt_u32 s18, 2
	s_waitcnt lgkmcnt(0)
	v_mul_hi_u32 v3, s5, v4
	s_delay_alu instid0(VALU_DEP_1) | instskip(NEXT) | instid1(VALU_DEP_1)
	v_add_nc_u32_e32 v3, v4, v3
	v_lshrrev_b32_e32 v5, s6, v3
	s_delay_alu instid0(VALU_DEP_1) | instskip(NEXT) | instid1(VALU_DEP_1)
	v_mul_lo_u32 v3, v5, s4
	v_sub_nc_u32_e32 v3, v4, v3
	s_delay_alu instid0(VALU_DEP_1)
	v_mul_lo_u32 v3, v3, s2
	s_cbranch_scc1 .LBB37_68
; %bb.67:
	s_clause 0x1
	s_load_b128 s[4:7], s[0:1], 0x10
	s_load_b32 s2, s[0:1], 0xc8
	s_waitcnt lgkmcnt(0)
	v_mul_hi_u32 v4, s5, v5
	s_delay_alu instid0(VALU_DEP_1) | instskip(NEXT) | instid1(VALU_DEP_1)
	v_add_nc_u32_e32 v4, v5, v4
	v_lshrrev_b32_e32 v4, s6, v4
	s_delay_alu instid0(VALU_DEP_1) | instskip(NEXT) | instid1(VALU_DEP_1)
	v_mul_lo_u32 v4, v4, s4
	v_sub_nc_u32_e32 v9, v5, v4
	s_delay_alu instid0(VALU_DEP_1) | instskip(NEXT) | instid1(VALU_DEP_1)
	v_mad_u64_u32 v[4:5], null, v9, s2, v[3:4]
	v_mov_b32_e32 v3, v4
.LBB37_68:
	v_cmp_ne_u32_e32 vcc_lo, 1, v7
	v_add_nc_u32_e32 v5, 0x200, v6
	s_cbranch_vccnz .LBB37_74
; %bb.69:
	v_mov_b32_e32 v4, 0
	s_cmp_eq_u32 s18, 0
	s_mov_b32 s6, 0
	s_cbranch_scc1 .LBB37_78
; %bb.70:
	s_min_u32 s7, s19, 15
	v_mov_b32_e32 v4, 0
	s_add_i32 s7, s7, 1
	s_cmp_eq_u32 s19, 2
	s_mov_b32 s8, 0
	s_cbranch_scc1 .LBB37_75
; %bb.71:
	v_dual_mov_b32 v4, 0 :: v_dual_mov_b32 v9, v5
	s_add_u32 s2, s0, 0xc4
	s_addc_u32 s3, s1, 0
	s_and_b32 s8, s7, 28
	s_mov_b32 s9, 0
	s_mov_b64 s[4:5], s[0:1]
.LBB37_72:                              ; =>This Inner Loop Header: Depth=1
	s_clause 0x1
	s_load_b256 s[20:27], s[4:5], 0x4
	s_load_b128 s[12:15], s[4:5], 0x24
	s_load_b128 s[28:31], s[2:3], 0x0
	s_add_u32 s4, s4, 48
	s_addc_u32 s5, s5, 0
	s_add_i32 s9, s9, 4
	s_add_u32 s2, s2, 16
	s_addc_u32 s3, s3, 0
	s_cmp_lg_u32 s8, s9
	s_waitcnt lgkmcnt(0)
	v_mul_hi_u32 v10, s21, v9
	s_delay_alu instid0(VALU_DEP_1) | instskip(NEXT) | instid1(VALU_DEP_1)
	v_add_nc_u32_e32 v10, v9, v10
	v_lshrrev_b32_e32 v10, s22, v10
	s_delay_alu instid0(VALU_DEP_1) | instskip(SKIP_1) | instid1(VALU_DEP_2)
	v_mul_hi_u32 v11, s24, v10
	v_mul_lo_u32 v14, v10, s20
	v_add_nc_u32_e32 v11, v10, v11
	s_delay_alu instid0(VALU_DEP_2) | instskip(NEXT) | instid1(VALU_DEP_2)
	v_sub_nc_u32_e32 v14, v9, v14
	v_lshrrev_b32_e32 v11, s25, v11
	s_delay_alu instid0(VALU_DEP_2) | instskip(NEXT) | instid1(VALU_DEP_2)
	v_mul_lo_u32 v14, v14, s28
	v_mul_hi_u32 v12, s27, v11
	v_mul_lo_u32 v15, v11, s23
	s_delay_alu instid0(VALU_DEP_2) | instskip(NEXT) | instid1(VALU_DEP_2)
	v_add_nc_u32_e32 v12, v11, v12
	v_sub_nc_u32_e32 v10, v10, v15
	s_delay_alu instid0(VALU_DEP_2) | instskip(NEXT) | instid1(VALU_DEP_2)
	v_lshrrev_b32_e32 v12, s12, v12
	v_mul_lo_u32 v10, v10, s29
	s_delay_alu instid0(VALU_DEP_2) | instskip(NEXT) | instid1(VALU_DEP_2)
	v_mul_hi_u32 v13, s14, v12
	v_add3_u32 v4, v14, v4, v10
	s_delay_alu instid0(VALU_DEP_2) | instskip(NEXT) | instid1(VALU_DEP_1)
	v_add_nc_u32_e32 v13, v12, v13
	v_lshrrev_b32_e32 v9, s15, v13
	v_mul_lo_u32 v13, v12, s26
	s_delay_alu instid0(VALU_DEP_2) | instskip(NEXT) | instid1(VALU_DEP_2)
	v_mul_lo_u32 v16, v9, s13
	v_sub_nc_u32_e32 v11, v11, v13
	s_delay_alu instid0(VALU_DEP_2) | instskip(NEXT) | instid1(VALU_DEP_2)
	v_sub_nc_u32_e32 v12, v12, v16
	v_mul_lo_u32 v11, v11, s30
	s_delay_alu instid0(VALU_DEP_2) | instskip(NEXT) | instid1(VALU_DEP_1)
	v_mul_lo_u32 v12, v12, s31
	v_add3_u32 v4, v11, v4, v12
	s_cbranch_scc1 .LBB37_72
; %bb.73:
	s_and_b32 s7, s7, 3
	s_delay_alu instid0(SALU_CYCLE_1)
	s_cmp_eq_u32 s7, 0
	s_cbranch_scc0 .LBB37_76
	s_branch .LBB37_78
.LBB37_74:
	s_mov_b32 s6, -1
                                        ; implicit-def: $vgpr4
	s_branch .LBB37_78
.LBB37_75:
	v_mov_b32_e32 v9, v5
	s_and_b32 s7, s7, 3
	s_delay_alu instid0(SALU_CYCLE_1)
	s_cmp_eq_u32 s7, 0
	s_cbranch_scc1 .LBB37_78
.LBB37_76:
	s_lshl_b32 s2, s8, 2
	s_mul_i32 s4, s8, 12
	s_add_u32 s2, s2, s0
	s_addc_u32 s3, 0, s1
	s_add_u32 s2, s2, 0xc4
	s_addc_u32 s3, s3, 0
	;; [unrolled: 2-line block ×3, first 2 shown]
	.p2align	6
.LBB37_77:                              ; =>This Inner Loop Header: Depth=1
	s_clause 0x1
	s_load_b64 s[8:9], s[4:5], 0x4
	s_load_b32 s10, s[4:5], 0xc
	s_add_u32 s4, s4, 12
	s_addc_u32 s5, s5, 0
	s_waitcnt lgkmcnt(0)
	v_mul_hi_u32 v10, s9, v9
	s_load_b32 s9, s[2:3], 0x0
	s_add_u32 s2, s2, 4
	s_addc_u32 s3, s3, 0
	s_add_i32 s7, s7, -1
	s_delay_alu instid0(SALU_CYCLE_1) | instskip(NEXT) | instid1(VALU_DEP_1)
	s_cmp_lg_u32 s7, 0
	v_add_nc_u32_e32 v10, v9, v10
	s_delay_alu instid0(VALU_DEP_1) | instskip(NEXT) | instid1(VALU_DEP_1)
	v_lshrrev_b32_e32 v12, s10, v10
	v_mul_lo_u32 v10, v12, s8
	s_delay_alu instid0(VALU_DEP_1) | instskip(SKIP_1) | instid1(VALU_DEP_1)
	v_sub_nc_u32_e32 v9, v9, v10
	s_waitcnt lgkmcnt(0)
	v_mad_u64_u32 v[10:11], null, v9, s9, v[4:5]
	s_delay_alu instid0(VALU_DEP_1)
	v_dual_mov_b32 v9, v12 :: v_dual_mov_b32 v4, v10
	s_cbranch_scc1 .LBB37_77
.LBB37_78:
	s_and_not1_b32 vcc_lo, exec_lo, s6
	s_cbranch_vccnz .LBB37_81
; %bb.79:
	s_clause 0x1
	s_load_b128 s[4:7], s[0:1], 0x4
	s_load_b32 s2, s[0:1], 0xc4
	s_cmp_lt_u32 s18, 2
	s_waitcnt lgkmcnt(0)
	v_mul_hi_u32 v4, s5, v5
	s_delay_alu instid0(VALU_DEP_1) | instskip(NEXT) | instid1(VALU_DEP_1)
	v_add_nc_u32_e32 v4, v5, v4
	v_lshrrev_b32_e32 v9, s6, v4
	s_delay_alu instid0(VALU_DEP_1) | instskip(NEXT) | instid1(VALU_DEP_1)
	v_mul_lo_u32 v4, v9, s4
	v_sub_nc_u32_e32 v4, v5, v4
	s_delay_alu instid0(VALU_DEP_1)
	v_mul_lo_u32 v4, v4, s2
	s_cbranch_scc1 .LBB37_81
; %bb.80:
	s_clause 0x1
	s_load_b128 s[4:7], s[0:1], 0x10
	s_load_b32 s2, s[0:1], 0xc8
	s_waitcnt lgkmcnt(0)
	v_mul_hi_u32 v5, s5, v9
	s_delay_alu instid0(VALU_DEP_1) | instskip(NEXT) | instid1(VALU_DEP_1)
	v_add_nc_u32_e32 v5, v9, v5
	v_lshrrev_b32_e32 v5, s6, v5
	s_delay_alu instid0(VALU_DEP_1) | instskip(NEXT) | instid1(VALU_DEP_1)
	v_mul_lo_u32 v5, v5, s4
	v_sub_nc_u32_e32 v5, v9, v5
	s_delay_alu instid0(VALU_DEP_1) | instskip(NEXT) | instid1(VALU_DEP_1)
	v_mad_u64_u32 v[9:10], null, v5, s2, v[4:5]
	v_mov_b32_e32 v4, v9
.LBB37_81:
	v_cmp_ne_u32_e32 vcc_lo, 1, v7
	v_add_nc_u32_e32 v9, 0x280, v6
	s_cbranch_vccnz .LBB37_87
; %bb.82:
	v_mov_b32_e32 v5, 0
	s_cmp_eq_u32 s18, 0
	s_mov_b32 s6, 0
	s_cbranch_scc1 .LBB37_91
; %bb.83:
	s_min_u32 s7, s19, 15
	v_mov_b32_e32 v5, 0
	s_add_i32 s7, s7, 1
	s_cmp_eq_u32 s19, 2
	s_mov_b32 s8, 0
	s_cbranch_scc1 .LBB37_88
; %bb.84:
	v_dual_mov_b32 v5, 0 :: v_dual_mov_b32 v10, v9
	s_add_u32 s2, s0, 0xc4
	s_addc_u32 s3, s1, 0
	s_and_b32 s8, s7, 28
	s_mov_b32 s9, 0
	s_mov_b64 s[4:5], s[0:1]
.LBB37_85:                              ; =>This Inner Loop Header: Depth=1
	s_clause 0x1
	s_load_b256 s[20:27], s[4:5], 0x4
	s_load_b128 s[12:15], s[4:5], 0x24
	s_load_b128 s[28:31], s[2:3], 0x0
	s_add_u32 s4, s4, 48
	s_addc_u32 s5, s5, 0
	s_add_i32 s9, s9, 4
	s_add_u32 s2, s2, 16
	s_addc_u32 s3, s3, 0
	s_cmp_lg_u32 s8, s9
	s_waitcnt lgkmcnt(0)
	v_mul_hi_u32 v11, s21, v10
	s_delay_alu instid0(VALU_DEP_1) | instskip(NEXT) | instid1(VALU_DEP_1)
	v_add_nc_u32_e32 v11, v10, v11
	v_lshrrev_b32_e32 v11, s22, v11
	s_delay_alu instid0(VALU_DEP_1) | instskip(SKIP_1) | instid1(VALU_DEP_2)
	v_mul_hi_u32 v12, s24, v11
	v_mul_lo_u32 v15, v11, s20
	v_add_nc_u32_e32 v12, v11, v12
	s_delay_alu instid0(VALU_DEP_2) | instskip(NEXT) | instid1(VALU_DEP_2)
	v_sub_nc_u32_e32 v15, v10, v15
	v_lshrrev_b32_e32 v12, s25, v12
	s_delay_alu instid0(VALU_DEP_2) | instskip(NEXT) | instid1(VALU_DEP_2)
	v_mul_lo_u32 v15, v15, s28
	v_mul_hi_u32 v13, s27, v12
	v_mul_lo_u32 v16, v12, s23
	s_delay_alu instid0(VALU_DEP_2) | instskip(NEXT) | instid1(VALU_DEP_2)
	v_add_nc_u32_e32 v13, v12, v13
	v_sub_nc_u32_e32 v11, v11, v16
	s_delay_alu instid0(VALU_DEP_2) | instskip(NEXT) | instid1(VALU_DEP_2)
	v_lshrrev_b32_e32 v13, s12, v13
	v_mul_lo_u32 v11, v11, s29
	s_delay_alu instid0(VALU_DEP_2) | instskip(NEXT) | instid1(VALU_DEP_2)
	v_mul_hi_u32 v14, s14, v13
	v_add3_u32 v5, v15, v5, v11
	s_delay_alu instid0(VALU_DEP_2) | instskip(NEXT) | instid1(VALU_DEP_1)
	v_add_nc_u32_e32 v14, v13, v14
	v_lshrrev_b32_e32 v10, s15, v14
	v_mul_lo_u32 v14, v13, s26
	s_delay_alu instid0(VALU_DEP_2) | instskip(NEXT) | instid1(VALU_DEP_2)
	v_mul_lo_u32 v17, v10, s13
	v_sub_nc_u32_e32 v12, v12, v14
	s_delay_alu instid0(VALU_DEP_2) | instskip(NEXT) | instid1(VALU_DEP_2)
	v_sub_nc_u32_e32 v13, v13, v17
	v_mul_lo_u32 v12, v12, s30
	s_delay_alu instid0(VALU_DEP_2) | instskip(NEXT) | instid1(VALU_DEP_1)
	v_mul_lo_u32 v13, v13, s31
	v_add3_u32 v5, v12, v5, v13
	s_cbranch_scc1 .LBB37_85
; %bb.86:
	s_and_b32 s7, s7, 3
	s_delay_alu instid0(SALU_CYCLE_1)
	s_cmp_eq_u32 s7, 0
	s_cbranch_scc0 .LBB37_89
	s_branch .LBB37_91
.LBB37_87:
	s_mov_b32 s6, -1
                                        ; implicit-def: $vgpr5
	s_branch .LBB37_91
.LBB37_88:
	v_mov_b32_e32 v10, v9
	s_and_b32 s7, s7, 3
	s_delay_alu instid0(SALU_CYCLE_1)
	s_cmp_eq_u32 s7, 0
	s_cbranch_scc1 .LBB37_91
.LBB37_89:
	s_lshl_b32 s2, s8, 2
	s_mul_i32 s4, s8, 12
	s_add_u32 s2, s2, s0
	s_addc_u32 s3, 0, s1
	s_add_u32 s2, s2, 0xc4
	s_addc_u32 s3, s3, 0
	;; [unrolled: 2-line block ×3, first 2 shown]
	.p2align	6
.LBB37_90:                              ; =>This Inner Loop Header: Depth=1
	s_clause 0x1
	s_load_b64 s[8:9], s[4:5], 0x4
	s_load_b32 s10, s[4:5], 0xc
	s_add_u32 s4, s4, 12
	s_addc_u32 s5, s5, 0
	s_waitcnt lgkmcnt(0)
	v_mul_hi_u32 v11, s9, v10
	s_load_b32 s9, s[2:3], 0x0
	s_add_u32 s2, s2, 4
	s_addc_u32 s3, s3, 0
	s_add_i32 s7, s7, -1
	s_delay_alu instid0(SALU_CYCLE_1) | instskip(NEXT) | instid1(VALU_DEP_1)
	s_cmp_lg_u32 s7, 0
	v_add_nc_u32_e32 v11, v10, v11
	s_delay_alu instid0(VALU_DEP_1) | instskip(NEXT) | instid1(VALU_DEP_1)
	v_lshrrev_b32_e32 v13, s10, v11
	v_mul_lo_u32 v11, v13, s8
	s_delay_alu instid0(VALU_DEP_1) | instskip(SKIP_1) | instid1(VALU_DEP_1)
	v_sub_nc_u32_e32 v10, v10, v11
	s_waitcnt lgkmcnt(0)
	v_mad_u64_u32 v[11:12], null, v10, s9, v[5:6]
	s_delay_alu instid0(VALU_DEP_1)
	v_dual_mov_b32 v10, v13 :: v_dual_mov_b32 v5, v11
	s_cbranch_scc1 .LBB37_90
.LBB37_91:
	s_and_not1_b32 vcc_lo, exec_lo, s6
	s_cbranch_vccnz .LBB37_94
; %bb.92:
	s_clause 0x1
	s_load_b128 s[4:7], s[0:1], 0x4
	s_load_b32 s2, s[0:1], 0xc4
	s_cmp_lt_u32 s18, 2
	s_waitcnt lgkmcnt(0)
	v_mul_hi_u32 v5, s5, v9
	s_delay_alu instid0(VALU_DEP_1) | instskip(NEXT) | instid1(VALU_DEP_1)
	v_add_nc_u32_e32 v5, v9, v5
	v_lshrrev_b32_e32 v10, s6, v5
	s_delay_alu instid0(VALU_DEP_1) | instskip(NEXT) | instid1(VALU_DEP_1)
	v_mul_lo_u32 v5, v10, s4
	v_sub_nc_u32_e32 v5, v9, v5
	s_delay_alu instid0(VALU_DEP_1)
	v_mul_lo_u32 v5, v5, s2
	s_cbranch_scc1 .LBB37_94
; %bb.93:
	s_clause 0x1
	s_load_b128 s[4:7], s[0:1], 0x10
	s_load_b32 s2, s[0:1], 0xc8
	s_waitcnt lgkmcnt(0)
	v_mul_hi_u32 v9, s5, v10
	s_delay_alu instid0(VALU_DEP_1) | instskip(NEXT) | instid1(VALU_DEP_1)
	v_add_nc_u32_e32 v9, v10, v9
	v_lshrrev_b32_e32 v9, s6, v9
	s_delay_alu instid0(VALU_DEP_1) | instskip(NEXT) | instid1(VALU_DEP_1)
	v_mul_lo_u32 v9, v9, s4
	v_sub_nc_u32_e32 v11, v10, v9
	s_delay_alu instid0(VALU_DEP_1) | instskip(NEXT) | instid1(VALU_DEP_1)
	v_mad_u64_u32 v[9:10], null, v11, s2, v[5:6]
	v_mov_b32_e32 v5, v9
.LBB37_94:
	v_cmp_ne_u32_e32 vcc_lo, 1, v7
	v_add_nc_u32_e32 v9, 0x300, v6
	s_cbranch_vccnz .LBB37_100
; %bb.95:
	v_mov_b32_e32 v6, 0
	s_cmp_eq_u32 s18, 0
	s_mov_b32 s6, 0
	s_cbranch_scc1 .LBB37_104
; %bb.96:
	s_min_u32 s7, s19, 15
	v_mov_b32_e32 v6, 0
	s_add_i32 s7, s7, 1
	s_cmp_eq_u32 s19, 2
	s_mov_b32 s8, 0
	s_cbranch_scc1 .LBB37_101
; %bb.97:
	v_mov_b32_e32 v6, 0
	v_mov_b32_e32 v10, v9
	s_add_u32 s2, s0, 0xc4
	s_addc_u32 s3, s1, 0
	s_and_b32 s8, s7, 28
	s_mov_b32 s9, 0
	s_mov_b64 s[4:5], s[0:1]
.LBB37_98:                              ; =>This Inner Loop Header: Depth=1
	s_clause 0x1
	s_load_b256 s[20:27], s[4:5], 0x4
	s_load_b128 s[12:15], s[4:5], 0x24
	s_load_b128 s[28:31], s[2:3], 0x0
	s_add_u32 s4, s4, 48
	s_addc_u32 s5, s5, 0
	s_add_i32 s9, s9, 4
	s_add_u32 s2, s2, 16
	s_addc_u32 s3, s3, 0
	s_cmp_lg_u32 s8, s9
	s_waitcnt lgkmcnt(0)
	v_mul_hi_u32 v11, s21, v10
	s_delay_alu instid0(VALU_DEP_1) | instskip(NEXT) | instid1(VALU_DEP_1)
	v_add_nc_u32_e32 v11, v10, v11
	v_lshrrev_b32_e32 v11, s22, v11
	s_delay_alu instid0(VALU_DEP_1) | instskip(SKIP_1) | instid1(VALU_DEP_2)
	v_mul_hi_u32 v12, s24, v11
	v_mul_lo_u32 v15, v11, s20
	v_add_nc_u32_e32 v12, v11, v12
	s_delay_alu instid0(VALU_DEP_2) | instskip(NEXT) | instid1(VALU_DEP_2)
	v_sub_nc_u32_e32 v15, v10, v15
	v_lshrrev_b32_e32 v12, s25, v12
	s_delay_alu instid0(VALU_DEP_2) | instskip(NEXT) | instid1(VALU_DEP_2)
	v_mul_lo_u32 v15, v15, s28
	v_mul_hi_u32 v13, s27, v12
	v_mul_lo_u32 v16, v12, s23
	s_delay_alu instid0(VALU_DEP_2) | instskip(NEXT) | instid1(VALU_DEP_2)
	v_add_nc_u32_e32 v13, v12, v13
	v_sub_nc_u32_e32 v11, v11, v16
	s_delay_alu instid0(VALU_DEP_2) | instskip(NEXT) | instid1(VALU_DEP_2)
	v_lshrrev_b32_e32 v13, s12, v13
	v_mul_lo_u32 v11, v11, s29
	s_delay_alu instid0(VALU_DEP_2) | instskip(NEXT) | instid1(VALU_DEP_2)
	v_mul_hi_u32 v14, s14, v13
	v_add3_u32 v6, v15, v6, v11
	s_delay_alu instid0(VALU_DEP_2) | instskip(NEXT) | instid1(VALU_DEP_1)
	v_add_nc_u32_e32 v14, v13, v14
	v_lshrrev_b32_e32 v10, s15, v14
	v_mul_lo_u32 v14, v13, s26
	s_delay_alu instid0(VALU_DEP_2) | instskip(NEXT) | instid1(VALU_DEP_2)
	v_mul_lo_u32 v17, v10, s13
	v_sub_nc_u32_e32 v12, v12, v14
	s_delay_alu instid0(VALU_DEP_2) | instskip(NEXT) | instid1(VALU_DEP_2)
	v_sub_nc_u32_e32 v13, v13, v17
	v_mul_lo_u32 v12, v12, s30
	s_delay_alu instid0(VALU_DEP_2) | instskip(NEXT) | instid1(VALU_DEP_1)
	v_mul_lo_u32 v13, v13, s31
	v_add3_u32 v6, v12, v6, v13
	s_cbranch_scc1 .LBB37_98
; %bb.99:
	s_and_b32 s7, s7, 3
	s_delay_alu instid0(SALU_CYCLE_1)
	s_cmp_eq_u32 s7, 0
	s_cbranch_scc0 .LBB37_102
	s_branch .LBB37_104
.LBB37_100:
	s_mov_b32 s6, -1
                                        ; implicit-def: $vgpr6
	s_branch .LBB37_104
.LBB37_101:
	v_mov_b32_e32 v10, v9
	s_and_b32 s7, s7, 3
	s_delay_alu instid0(SALU_CYCLE_1)
	s_cmp_eq_u32 s7, 0
	s_cbranch_scc1 .LBB37_104
.LBB37_102:
	s_lshl_b32 s2, s8, 2
	s_mul_i32 s4, s8, 12
	s_add_u32 s2, s2, s0
	s_addc_u32 s3, 0, s1
	s_add_u32 s2, s2, 0xc4
	s_addc_u32 s3, s3, 0
	;; [unrolled: 2-line block ×3, first 2 shown]
	.p2align	6
.LBB37_103:                             ; =>This Inner Loop Header: Depth=1
	s_clause 0x1
	s_load_b64 s[8:9], s[4:5], 0x4
	s_load_b32 s10, s[4:5], 0xc
	s_add_u32 s4, s4, 12
	s_addc_u32 s5, s5, 0
	s_waitcnt lgkmcnt(0)
	v_mul_hi_u32 v11, s9, v10
	s_load_b32 s9, s[2:3], 0x0
	s_add_u32 s2, s2, 4
	s_addc_u32 s3, s3, 0
	s_add_i32 s7, s7, -1
	s_delay_alu instid0(SALU_CYCLE_1) | instskip(NEXT) | instid1(VALU_DEP_1)
	s_cmp_lg_u32 s7, 0
	v_add_nc_u32_e32 v11, v10, v11
	s_delay_alu instid0(VALU_DEP_1) | instskip(NEXT) | instid1(VALU_DEP_1)
	v_lshrrev_b32_e32 v13, s10, v11
	v_mul_lo_u32 v11, v13, s8
	s_delay_alu instid0(VALU_DEP_1) | instskip(SKIP_1) | instid1(VALU_DEP_1)
	v_sub_nc_u32_e32 v10, v10, v11
	s_waitcnt lgkmcnt(0)
	v_mad_u64_u32 v[11:12], null, v10, s9, v[6:7]
	v_mov_b32_e32 v10, v13
	s_delay_alu instid0(VALU_DEP_2)
	v_mov_b32_e32 v6, v11
	s_cbranch_scc1 .LBB37_103
.LBB37_104:
	s_and_not1_b32 vcc_lo, exec_lo, s6
	s_cbranch_vccnz .LBB37_107
; %bb.105:
	s_clause 0x1
	s_load_b128 s[4:7], s[0:1], 0x4
	s_load_b32 s2, s[0:1], 0xc4
	s_cmp_lt_u32 s18, 2
	s_waitcnt lgkmcnt(0)
	v_mul_hi_u32 v6, s5, v9
	s_delay_alu instid0(VALU_DEP_1) | instskip(NEXT) | instid1(VALU_DEP_1)
	v_add_nc_u32_e32 v6, v9, v6
	v_lshrrev_b32_e32 v10, s6, v6
	s_delay_alu instid0(VALU_DEP_1) | instskip(NEXT) | instid1(VALU_DEP_1)
	v_mul_lo_u32 v6, v10, s4
	v_sub_nc_u32_e32 v6, v9, v6
	s_delay_alu instid0(VALU_DEP_1)
	v_mul_lo_u32 v6, v6, s2
	s_cbranch_scc1 .LBB37_107
; %bb.106:
	s_clause 0x1
	s_load_b128 s[4:7], s[0:1], 0x10
	s_load_b32 s2, s[0:1], 0xc8
	s_waitcnt lgkmcnt(0)
	v_mul_hi_u32 v9, s5, v10
	s_delay_alu instid0(VALU_DEP_1) | instskip(NEXT) | instid1(VALU_DEP_1)
	v_add_nc_u32_e32 v9, v10, v9
	v_lshrrev_b32_e32 v9, s6, v9
	s_delay_alu instid0(VALU_DEP_1) | instskip(NEXT) | instid1(VALU_DEP_1)
	v_mul_lo_u32 v9, v9, s4
	v_sub_nc_u32_e32 v11, v10, v9
	s_delay_alu instid0(VALU_DEP_1) | instskip(NEXT) | instid1(VALU_DEP_1)
	v_mad_u64_u32 v[9:10], null, v11, s2, v[6:7]
	v_mov_b32_e32 v6, v9
.LBB37_107:
	v_cmp_ne_u32_e32 vcc_lo, 1, v7
	s_cbranch_vccnz .LBB37_113
; %bb.108:
	v_mov_b32_e32 v7, 0
	s_cmp_eq_u32 s18, 0
	s_mov_b32 s6, 0
	s_cbranch_scc1 .LBB37_117
; %bb.109:
	s_min_u32 s7, s19, 15
	v_mov_b32_e32 v7, 0
	s_add_i32 s7, s7, 1
	s_cmp_eq_u32 s19, 2
	s_mov_b32 s8, 0
	s_cbranch_scc1 .LBB37_114
; %bb.110:
	v_mov_b32_e32 v7, 0
	v_mov_b32_e32 v9, v8
	s_add_u32 s2, s0, 0xc4
	s_addc_u32 s3, s1, 0
	s_and_b32 s8, s7, 28
	s_mov_b32 s9, 0
	s_mov_b64 s[4:5], s[0:1]
.LBB37_111:                             ; =>This Inner Loop Header: Depth=1
	s_clause 0x1
	s_load_b256 s[20:27], s[4:5], 0x4
	s_load_b128 s[12:15], s[4:5], 0x24
	s_load_b128 s[28:31], s[2:3], 0x0
	s_add_u32 s4, s4, 48
	s_addc_u32 s5, s5, 0
	s_add_i32 s9, s9, 4
	s_add_u32 s2, s2, 16
	s_addc_u32 s3, s3, 0
	s_cmp_lg_u32 s8, s9
	s_waitcnt lgkmcnt(0)
	v_mul_hi_u32 v10, s21, v9
	s_delay_alu instid0(VALU_DEP_1) | instskip(NEXT) | instid1(VALU_DEP_1)
	v_add_nc_u32_e32 v10, v9, v10
	v_lshrrev_b32_e32 v10, s22, v10
	s_delay_alu instid0(VALU_DEP_1) | instskip(SKIP_1) | instid1(VALU_DEP_2)
	v_mul_hi_u32 v11, s24, v10
	v_mul_lo_u32 v14, v10, s20
	v_add_nc_u32_e32 v11, v10, v11
	s_delay_alu instid0(VALU_DEP_2) | instskip(NEXT) | instid1(VALU_DEP_2)
	v_sub_nc_u32_e32 v14, v9, v14
	v_lshrrev_b32_e32 v11, s25, v11
	s_delay_alu instid0(VALU_DEP_2) | instskip(NEXT) | instid1(VALU_DEP_2)
	v_mul_lo_u32 v14, v14, s28
	v_mul_hi_u32 v12, s27, v11
	v_mul_lo_u32 v15, v11, s23
	s_delay_alu instid0(VALU_DEP_2) | instskip(NEXT) | instid1(VALU_DEP_2)
	v_add_nc_u32_e32 v12, v11, v12
	v_sub_nc_u32_e32 v10, v10, v15
	s_delay_alu instid0(VALU_DEP_2) | instskip(NEXT) | instid1(VALU_DEP_2)
	v_lshrrev_b32_e32 v12, s12, v12
	v_mul_lo_u32 v10, v10, s29
	s_delay_alu instid0(VALU_DEP_2) | instskip(NEXT) | instid1(VALU_DEP_2)
	v_mul_hi_u32 v13, s14, v12
	v_add3_u32 v7, v14, v7, v10
	s_delay_alu instid0(VALU_DEP_2) | instskip(NEXT) | instid1(VALU_DEP_1)
	v_add_nc_u32_e32 v13, v12, v13
	v_lshrrev_b32_e32 v9, s15, v13
	v_mul_lo_u32 v13, v12, s26
	s_delay_alu instid0(VALU_DEP_2) | instskip(NEXT) | instid1(VALU_DEP_2)
	v_mul_lo_u32 v16, v9, s13
	v_sub_nc_u32_e32 v11, v11, v13
	s_delay_alu instid0(VALU_DEP_2) | instskip(NEXT) | instid1(VALU_DEP_2)
	v_sub_nc_u32_e32 v12, v12, v16
	v_mul_lo_u32 v11, v11, s30
	s_delay_alu instid0(VALU_DEP_2) | instskip(NEXT) | instid1(VALU_DEP_1)
	v_mul_lo_u32 v12, v12, s31
	v_add3_u32 v7, v11, v7, v12
	s_cbranch_scc1 .LBB37_111
; %bb.112:
	s_and_b32 s7, s7, 3
	s_delay_alu instid0(SALU_CYCLE_1)
	s_cmp_eq_u32 s7, 0
	s_cbranch_scc0 .LBB37_115
	s_branch .LBB37_117
.LBB37_113:
	s_mov_b32 s6, -1
                                        ; implicit-def: $vgpr7
	s_branch .LBB37_117
.LBB37_114:
	v_mov_b32_e32 v9, v8
	s_and_b32 s7, s7, 3
	s_delay_alu instid0(SALU_CYCLE_1)
	s_cmp_eq_u32 s7, 0
	s_cbranch_scc1 .LBB37_117
.LBB37_115:
	s_lshl_b32 s2, s8, 2
	s_mul_i32 s4, s8, 12
	s_add_u32 s2, s2, s0
	s_addc_u32 s3, 0, s1
	s_add_u32 s2, s2, 0xc4
	s_addc_u32 s3, s3, 0
	;; [unrolled: 2-line block ×3, first 2 shown]
	.p2align	6
.LBB37_116:                             ; =>This Inner Loop Header: Depth=1
	s_clause 0x1
	s_load_b64 s[8:9], s[4:5], 0x4
	s_load_b32 s10, s[4:5], 0xc
	s_add_u32 s4, s4, 12
	s_addc_u32 s5, s5, 0
	s_waitcnt lgkmcnt(0)
	v_mul_hi_u32 v10, s9, v9
	s_load_b32 s9, s[2:3], 0x0
	s_add_u32 s2, s2, 4
	s_addc_u32 s3, s3, 0
	s_add_i32 s7, s7, -1
	s_delay_alu instid0(SALU_CYCLE_1) | instskip(NEXT) | instid1(VALU_DEP_1)
	s_cmp_lg_u32 s7, 0
	v_add_nc_u32_e32 v10, v9, v10
	s_delay_alu instid0(VALU_DEP_1) | instskip(NEXT) | instid1(VALU_DEP_1)
	v_lshrrev_b32_e32 v12, s10, v10
	v_mul_lo_u32 v10, v12, s8
	s_delay_alu instid0(VALU_DEP_1) | instskip(SKIP_1) | instid1(VALU_DEP_1)
	v_sub_nc_u32_e32 v9, v9, v10
	s_waitcnt lgkmcnt(0)
	v_mad_u64_u32 v[10:11], null, v9, s9, v[7:8]
	v_mov_b32_e32 v9, v12
	s_delay_alu instid0(VALU_DEP_2)
	v_mov_b32_e32 v7, v10
	s_cbranch_scc1 .LBB37_116
.LBB37_117:
	s_and_not1_b32 vcc_lo, exec_lo, s6
	s_cbranch_vccnz .LBB37_120
; %bb.118:
	s_clause 0x1
	s_load_b128 s[4:7], s[0:1], 0x4
	s_load_b32 s2, s[0:1], 0xc4
	s_cmp_lt_u32 s18, 2
	s_waitcnt lgkmcnt(0)
	v_mul_hi_u32 v7, s5, v8
	s_delay_alu instid0(VALU_DEP_1) | instskip(NEXT) | instid1(VALU_DEP_1)
	v_add_nc_u32_e32 v7, v8, v7
	v_lshrrev_b32_e32 v9, s6, v7
	s_delay_alu instid0(VALU_DEP_1) | instskip(NEXT) | instid1(VALU_DEP_1)
	v_mul_lo_u32 v7, v9, s4
	v_sub_nc_u32_e32 v7, v8, v7
	s_delay_alu instid0(VALU_DEP_1)
	v_mul_lo_u32 v7, v7, s2
	s_cbranch_scc1 .LBB37_120
; %bb.119:
	s_clause 0x1
	s_load_b128 s[4:7], s[0:1], 0x10
	s_load_b32 s2, s[0:1], 0xc8
	s_waitcnt lgkmcnt(0)
	v_mul_hi_u32 v8, s5, v9
	s_delay_alu instid0(VALU_DEP_1) | instskip(NEXT) | instid1(VALU_DEP_1)
	v_add_nc_u32_e32 v8, v9, v8
	v_lshrrev_b32_e32 v8, s6, v8
	s_delay_alu instid0(VALU_DEP_1) | instskip(NEXT) | instid1(VALU_DEP_1)
	v_mul_lo_u32 v8, v8, s4
	v_sub_nc_u32_e32 v10, v9, v8
	s_delay_alu instid0(VALU_DEP_1) | instskip(NEXT) | instid1(VALU_DEP_1)
	v_mad_u64_u32 v[8:9], null, v10, s2, v[7:8]
	v_mov_b32_e32 v7, v8
.LBB37_120:
	s_clause 0x1
	s_load_b32 s2, s[0:1], 0x110
	s_load_b64 s[0:1], s[0:1], 0x108
	s_waitcnt lgkmcnt(0)
	v_mov_b32_e32 v8, s2
	s_clause 0x7
	global_store_b16 v0, v8, s[0:1]
	global_store_b16 v1, v8, s[0:1]
	;; [unrolled: 1-line block ×8, first 2 shown]
	s_nop 0
	s_sendmsg sendmsg(MSG_DEALLOC_VGPRS)
	s_endpgm
.LBB37_121:
	v_mov_b32_e32 v1, v6
.LBB37_122:
	s_and_b32 s29, s29, 3
	s_delay_alu instid0(SALU_CYCLE_1)
	s_cmp_eq_u32 s29, 0
	s_cbranch_scc1 .LBB37_125
; %bb.123:
	s_lshl_b32 s14, s28, 2
	s_mul_i32 s16, s28, 12
	s_add_u32 s14, s14, s0
	s_addc_u32 s15, s1, 0
	s_add_u32 s14, s14, 0xc4
	s_addc_u32 s15, s15, 0
	s_add_u32 s16, s0, s16
	s_addc_u32 s17, s1, 0
	.p2align	6
.LBB37_124:                             ; =>This Inner Loop Header: Depth=1
	s_clause 0x1
	s_load_b64 s[30:31], s[16:17], 0x4
	s_load_b32 s28, s[16:17], 0xc
	s_add_u32 s16, s16, 12
	s_addc_u32 s17, s17, 0
	s_waitcnt lgkmcnt(0)
	v_mul_hi_u32 v2, s31, v1
	s_load_b32 s31, s[14:15], 0x0
	s_add_u32 s14, s14, 4
	s_addc_u32 s15, s15, 0
	s_add_i32 s29, s29, -1
	s_delay_alu instid0(SALU_CYCLE_1) | instskip(NEXT) | instid1(VALU_DEP_1)
	s_cmp_lg_u32 s29, 0
	v_add_nc_u32_e32 v2, v1, v2
	s_delay_alu instid0(VALU_DEP_1) | instskip(NEXT) | instid1(VALU_DEP_1)
	v_lshrrev_b32_e32 v4, s28, v2
	v_mul_lo_u32 v2, v4, s30
	s_delay_alu instid0(VALU_DEP_1) | instskip(SKIP_1) | instid1(VALU_DEP_1)
	v_sub_nc_u32_e32 v1, v1, v2
	s_waitcnt lgkmcnt(0)
	v_mad_u64_u32 v[2:3], null, v1, s31, v[0:1]
	s_delay_alu instid0(VALU_DEP_1)
	v_dual_mov_b32 v1, v4 :: v_dual_mov_b32 v0, v2
	s_cbranch_scc1 .LBB37_124
.LBB37_125:
	s_cbranch_execnz .LBB37_128
.LBB37_126:
	s_waitcnt lgkmcnt(0)
	v_mul_hi_u32 v0, s5, v6
	s_and_not1_b32 vcc_lo, exec_lo, s23
	s_delay_alu instid0(VALU_DEP_1) | instskip(NEXT) | instid1(VALU_DEP_1)
	v_add_nc_u32_e32 v0, v6, v0
	v_lshrrev_b32_e32 v1, s6, v0
	s_delay_alu instid0(VALU_DEP_1) | instskip(NEXT) | instid1(VALU_DEP_1)
	v_mul_lo_u32 v0, v1, s4
	v_sub_nc_u32_e32 v0, v6, v0
	s_delay_alu instid0(VALU_DEP_1)
	v_mul_lo_u32 v0, v0, s8
	s_cbranch_vccnz .LBB37_128
; %bb.127:
	v_mul_hi_u32 v2, s10, v1
	s_delay_alu instid0(VALU_DEP_1) | instskip(NEXT) | instid1(VALU_DEP_1)
	v_add_nc_u32_e32 v2, v1, v2
	v_lshrrev_b32_e32 v2, s11, v2
	s_delay_alu instid0(VALU_DEP_1) | instskip(NEXT) | instid1(VALU_DEP_1)
	v_mul_lo_u32 v2, v2, s7
	v_sub_nc_u32_e32 v3, v1, v2
	s_delay_alu instid0(VALU_DEP_1) | instskip(NEXT) | instid1(VALU_DEP_1)
	v_mad_u64_u32 v[1:2], null, v3, s9, v[0:1]
	v_mov_b32_e32 v0, v1
.LBB37_128:
	s_waitcnt lgkmcnt(0)
	v_dual_mov_b32 v1, s22 :: v_dual_add_nc_u32 v6, 0x80, v6
	global_store_b16 v0, v1, s[2:3]
	s_or_b32 exec_lo, exec_lo, s27
	s_delay_alu instid0(SALU_CYCLE_1)
	s_mov_b32 s27, exec_lo
	v_cmpx_gt_i32_e64 s24, v6
	s_cbranch_execnz .LBB37_15
.LBB37_129:
	s_or_b32 exec_lo, exec_lo, s27
	s_delay_alu instid0(SALU_CYCLE_1)
	s_mov_b32 s27, exec_lo
	v_cmpx_gt_i32_e64 s24, v6
	s_cbranch_execz .LBB37_144
.LBB37_130:
	s_and_not1_b32 vcc_lo, exec_lo, s20
	s_cbranch_vccnz .LBB37_135
; %bb.131:
	v_mov_b32_e32 v0, 0
	s_and_not1_b32 vcc_lo, exec_lo, s26
	s_cbranch_vccnz .LBB37_155
; %bb.132:
	s_add_i32 s29, s25, 1
	s_cmp_eq_u32 s19, 2
	s_mov_b32 s28, 0
	s_cbranch_scc1 .LBB37_151
; %bb.133:
	v_dual_mov_b32 v0, 0 :: v_dual_mov_b32 v1, v6
	s_and_b32 s28, s29, 28
	s_mov_b32 s30, 0
	s_mov_b64 s[14:15], s[0:1]
	s_mov_b64 s[16:17], s[12:13]
.LBB37_134:                             ; =>This Inner Loop Header: Depth=1
	s_clause 0x1
	s_load_b256 s[36:43], s[14:15], 0x4
	s_load_b128 s[44:47], s[14:15], 0x24
	s_load_b128 s[48:51], s[16:17], 0x0
	s_add_u32 s14, s14, 48
	s_addc_u32 s15, s15, 0
	s_add_i32 s30, s30, 4
	s_add_u32 s16, s16, 16
	s_addc_u32 s17, s17, 0
	s_cmp_eq_u32 s28, s30
	s_waitcnt lgkmcnt(0)
	v_mul_hi_u32 v2, s37, v1
	s_delay_alu instid0(VALU_DEP_1) | instskip(NEXT) | instid1(VALU_DEP_1)
	v_add_nc_u32_e32 v2, v1, v2
	v_lshrrev_b32_e32 v2, s38, v2
	s_delay_alu instid0(VALU_DEP_1) | instskip(SKIP_1) | instid1(VALU_DEP_2)
	v_mul_hi_u32 v3, s40, v2
	v_mul_lo_u32 v7, v2, s36
	v_add_nc_u32_e32 v3, v2, v3
	s_delay_alu instid0(VALU_DEP_2) | instskip(NEXT) | instid1(VALU_DEP_2)
	v_sub_nc_u32_e32 v7, v1, v7
	v_lshrrev_b32_e32 v3, s41, v3
	s_delay_alu instid0(VALU_DEP_2) | instskip(NEXT) | instid1(VALU_DEP_2)
	v_mul_lo_u32 v7, v7, s48
	v_mul_hi_u32 v4, s43, v3
	v_mul_lo_u32 v8, v3, s39
	s_delay_alu instid0(VALU_DEP_2) | instskip(NEXT) | instid1(VALU_DEP_2)
	v_add_nc_u32_e32 v4, v3, v4
	v_sub_nc_u32_e32 v2, v2, v8
	s_delay_alu instid0(VALU_DEP_2) | instskip(NEXT) | instid1(VALU_DEP_2)
	v_lshrrev_b32_e32 v4, s44, v4
	v_mul_lo_u32 v2, v2, s49
	s_delay_alu instid0(VALU_DEP_2) | instskip(NEXT) | instid1(VALU_DEP_2)
	v_mul_hi_u32 v5, s46, v4
	v_add3_u32 v0, v7, v0, v2
	s_delay_alu instid0(VALU_DEP_2) | instskip(NEXT) | instid1(VALU_DEP_1)
	v_add_nc_u32_e32 v5, v4, v5
	v_lshrrev_b32_e32 v1, s47, v5
	v_mul_lo_u32 v5, v4, s42
	s_delay_alu instid0(VALU_DEP_2) | instskip(NEXT) | instid1(VALU_DEP_2)
	v_mul_lo_u32 v9, v1, s45
	v_sub_nc_u32_e32 v3, v3, v5
	s_delay_alu instid0(VALU_DEP_2) | instskip(NEXT) | instid1(VALU_DEP_2)
	v_sub_nc_u32_e32 v4, v4, v9
	v_mul_lo_u32 v3, v3, s50
	s_delay_alu instid0(VALU_DEP_2) | instskip(NEXT) | instid1(VALU_DEP_1)
	v_mul_lo_u32 v4, v4, s51
	v_add3_u32 v0, v3, v0, v4
	s_cbranch_scc0 .LBB37_134
	s_branch .LBB37_152
.LBB37_135:
                                        ; implicit-def: $vgpr0
	s_branch .LBB37_156
.LBB37_136:
	v_mov_b32_e32 v1, v6
.LBB37_137:
	s_and_b32 s29, s29, 3
	s_delay_alu instid0(SALU_CYCLE_1)
	s_cmp_eq_u32 s29, 0
	s_cbranch_scc1 .LBB37_140
; %bb.138:
	s_lshl_b32 s14, s28, 2
	s_mul_i32 s16, s28, 12
	s_add_u32 s14, s14, s0
	s_addc_u32 s15, s1, 0
	s_add_u32 s14, s14, 0xc4
	s_addc_u32 s15, s15, 0
	;; [unrolled: 2-line block ×3, first 2 shown]
	.p2align	6
.LBB37_139:                             ; =>This Inner Loop Header: Depth=1
	s_clause 0x1
	s_load_b64 s[30:31], s[16:17], 0x4
	s_load_b32 s28, s[16:17], 0xc
	s_add_u32 s16, s16, 12
	s_addc_u32 s17, s17, 0
	s_waitcnt lgkmcnt(0)
	v_mul_hi_u32 v2, s31, v1
	s_load_b32 s31, s[14:15], 0x0
	s_add_u32 s14, s14, 4
	s_addc_u32 s15, s15, 0
	s_add_i32 s29, s29, -1
	s_delay_alu instid0(SALU_CYCLE_1) | instskip(NEXT) | instid1(VALU_DEP_1)
	s_cmp_lg_u32 s29, 0
	v_add_nc_u32_e32 v2, v1, v2
	s_delay_alu instid0(VALU_DEP_1) | instskip(NEXT) | instid1(VALU_DEP_1)
	v_lshrrev_b32_e32 v4, s28, v2
	v_mul_lo_u32 v2, v4, s30
	s_delay_alu instid0(VALU_DEP_1) | instskip(SKIP_1) | instid1(VALU_DEP_1)
	v_sub_nc_u32_e32 v1, v1, v2
	s_waitcnt lgkmcnt(0)
	v_mad_u64_u32 v[2:3], null, v1, s31, v[0:1]
	s_delay_alu instid0(VALU_DEP_1)
	v_dual_mov_b32 v1, v4 :: v_dual_mov_b32 v0, v2
	s_cbranch_scc1 .LBB37_139
.LBB37_140:
	s_cbranch_execnz .LBB37_143
.LBB37_141:
	s_waitcnt lgkmcnt(0)
	v_mul_hi_u32 v0, s5, v6
	s_and_not1_b32 vcc_lo, exec_lo, s23
	s_delay_alu instid0(VALU_DEP_1) | instskip(NEXT) | instid1(VALU_DEP_1)
	v_add_nc_u32_e32 v0, v6, v0
	v_lshrrev_b32_e32 v1, s6, v0
	s_delay_alu instid0(VALU_DEP_1) | instskip(NEXT) | instid1(VALU_DEP_1)
	v_mul_lo_u32 v0, v1, s4
	v_sub_nc_u32_e32 v0, v6, v0
	s_delay_alu instid0(VALU_DEP_1)
	v_mul_lo_u32 v0, v0, s8
	s_cbranch_vccnz .LBB37_143
; %bb.142:
	v_mul_hi_u32 v2, s10, v1
	s_delay_alu instid0(VALU_DEP_1) | instskip(NEXT) | instid1(VALU_DEP_1)
	v_add_nc_u32_e32 v2, v1, v2
	v_lshrrev_b32_e32 v2, s11, v2
	s_delay_alu instid0(VALU_DEP_1) | instskip(NEXT) | instid1(VALU_DEP_1)
	v_mul_lo_u32 v2, v2, s7
	v_sub_nc_u32_e32 v3, v1, v2
	s_delay_alu instid0(VALU_DEP_1) | instskip(NEXT) | instid1(VALU_DEP_1)
	v_mad_u64_u32 v[1:2], null, v3, s9, v[0:1]
	v_mov_b32_e32 v0, v1
.LBB37_143:
	s_waitcnt lgkmcnt(0)
	v_dual_mov_b32 v1, s22 :: v_dual_add_nc_u32 v6, 0x80, v6
	global_store_b16 v0, v1, s[2:3]
	s_or_b32 exec_lo, exec_lo, s27
	s_delay_alu instid0(SALU_CYCLE_1)
	s_mov_b32 s27, exec_lo
	v_cmpx_gt_i32_e64 s24, v6
	s_cbranch_execnz .LBB37_130
.LBB37_144:
	s_or_b32 exec_lo, exec_lo, s27
	s_delay_alu instid0(SALU_CYCLE_1)
	s_mov_b32 s27, exec_lo
	v_cmpx_gt_i32_e64 s24, v6
	s_cbranch_execz .LBB37_159
.LBB37_145:
	s_and_not1_b32 vcc_lo, exec_lo, s20
	s_cbranch_vccnz .LBB37_150
; %bb.146:
	v_mov_b32_e32 v0, 0
	s_and_not1_b32 vcc_lo, exec_lo, s26
	s_cbranch_vccnz .LBB37_170
; %bb.147:
	s_add_i32 s29, s25, 1
	s_cmp_eq_u32 s19, 2
	s_mov_b32 s28, 0
	s_cbranch_scc1 .LBB37_166
; %bb.148:
	v_dual_mov_b32 v0, 0 :: v_dual_mov_b32 v1, v6
	s_and_b32 s28, s29, 28
	s_mov_b32 s30, 0
	s_mov_b64 s[14:15], s[0:1]
	s_mov_b64 s[16:17], s[12:13]
.LBB37_149:                             ; =>This Inner Loop Header: Depth=1
	s_clause 0x1
	s_load_b256 s[36:43], s[14:15], 0x4
	s_load_b128 s[44:47], s[14:15], 0x24
	s_load_b128 s[48:51], s[16:17], 0x0
	s_add_u32 s14, s14, 48
	s_addc_u32 s15, s15, 0
	s_add_i32 s30, s30, 4
	s_add_u32 s16, s16, 16
	s_addc_u32 s17, s17, 0
	s_cmp_eq_u32 s28, s30
	s_waitcnt lgkmcnt(0)
	v_mul_hi_u32 v2, s37, v1
	s_delay_alu instid0(VALU_DEP_1) | instskip(NEXT) | instid1(VALU_DEP_1)
	v_add_nc_u32_e32 v2, v1, v2
	v_lshrrev_b32_e32 v2, s38, v2
	s_delay_alu instid0(VALU_DEP_1) | instskip(SKIP_1) | instid1(VALU_DEP_2)
	v_mul_hi_u32 v3, s40, v2
	v_mul_lo_u32 v7, v2, s36
	v_add_nc_u32_e32 v3, v2, v3
	s_delay_alu instid0(VALU_DEP_2) | instskip(NEXT) | instid1(VALU_DEP_2)
	v_sub_nc_u32_e32 v7, v1, v7
	v_lshrrev_b32_e32 v3, s41, v3
	s_delay_alu instid0(VALU_DEP_2) | instskip(NEXT) | instid1(VALU_DEP_2)
	v_mul_lo_u32 v7, v7, s48
	v_mul_hi_u32 v4, s43, v3
	v_mul_lo_u32 v8, v3, s39
	s_delay_alu instid0(VALU_DEP_2) | instskip(NEXT) | instid1(VALU_DEP_2)
	v_add_nc_u32_e32 v4, v3, v4
	v_sub_nc_u32_e32 v2, v2, v8
	s_delay_alu instid0(VALU_DEP_2) | instskip(NEXT) | instid1(VALU_DEP_2)
	v_lshrrev_b32_e32 v4, s44, v4
	v_mul_lo_u32 v2, v2, s49
	s_delay_alu instid0(VALU_DEP_2) | instskip(NEXT) | instid1(VALU_DEP_2)
	v_mul_hi_u32 v5, s46, v4
	v_add3_u32 v0, v7, v0, v2
	s_delay_alu instid0(VALU_DEP_2) | instskip(NEXT) | instid1(VALU_DEP_1)
	v_add_nc_u32_e32 v5, v4, v5
	v_lshrrev_b32_e32 v1, s47, v5
	v_mul_lo_u32 v5, v4, s42
	s_delay_alu instid0(VALU_DEP_2) | instskip(NEXT) | instid1(VALU_DEP_2)
	v_mul_lo_u32 v9, v1, s45
	v_sub_nc_u32_e32 v3, v3, v5
	s_delay_alu instid0(VALU_DEP_2) | instskip(NEXT) | instid1(VALU_DEP_2)
	v_sub_nc_u32_e32 v4, v4, v9
	v_mul_lo_u32 v3, v3, s50
	s_delay_alu instid0(VALU_DEP_2) | instskip(NEXT) | instid1(VALU_DEP_1)
	v_mul_lo_u32 v4, v4, s51
	v_add3_u32 v0, v3, v0, v4
	s_cbranch_scc0 .LBB37_149
	s_branch .LBB37_167
.LBB37_150:
                                        ; implicit-def: $vgpr0
	s_branch .LBB37_171
.LBB37_151:
	v_mov_b32_e32 v1, v6
.LBB37_152:
	s_and_b32 s29, s29, 3
	s_delay_alu instid0(SALU_CYCLE_1)
	s_cmp_eq_u32 s29, 0
	s_cbranch_scc1 .LBB37_155
; %bb.153:
	s_lshl_b32 s14, s28, 2
	s_mul_i32 s16, s28, 12
	s_add_u32 s14, s14, s0
	s_addc_u32 s15, s1, 0
	s_add_u32 s14, s14, 0xc4
	s_addc_u32 s15, s15, 0
	;; [unrolled: 2-line block ×3, first 2 shown]
	.p2align	6
.LBB37_154:                             ; =>This Inner Loop Header: Depth=1
	s_clause 0x1
	s_load_b64 s[30:31], s[16:17], 0x4
	s_load_b32 s28, s[16:17], 0xc
	s_add_u32 s16, s16, 12
	s_addc_u32 s17, s17, 0
	s_waitcnt lgkmcnt(0)
	v_mul_hi_u32 v2, s31, v1
	s_load_b32 s31, s[14:15], 0x0
	s_add_u32 s14, s14, 4
	s_addc_u32 s15, s15, 0
	s_add_i32 s29, s29, -1
	s_delay_alu instid0(SALU_CYCLE_1) | instskip(NEXT) | instid1(VALU_DEP_1)
	s_cmp_lg_u32 s29, 0
	v_add_nc_u32_e32 v2, v1, v2
	s_delay_alu instid0(VALU_DEP_1) | instskip(NEXT) | instid1(VALU_DEP_1)
	v_lshrrev_b32_e32 v4, s28, v2
	v_mul_lo_u32 v2, v4, s30
	s_delay_alu instid0(VALU_DEP_1) | instskip(SKIP_1) | instid1(VALU_DEP_1)
	v_sub_nc_u32_e32 v1, v1, v2
	s_waitcnt lgkmcnt(0)
	v_mad_u64_u32 v[2:3], null, v1, s31, v[0:1]
	s_delay_alu instid0(VALU_DEP_1)
	v_dual_mov_b32 v1, v4 :: v_dual_mov_b32 v0, v2
	s_cbranch_scc1 .LBB37_154
.LBB37_155:
	s_cbranch_execnz .LBB37_158
.LBB37_156:
	s_waitcnt lgkmcnt(0)
	v_mul_hi_u32 v0, s5, v6
	s_and_not1_b32 vcc_lo, exec_lo, s23
	s_delay_alu instid0(VALU_DEP_1) | instskip(NEXT) | instid1(VALU_DEP_1)
	v_add_nc_u32_e32 v0, v6, v0
	v_lshrrev_b32_e32 v1, s6, v0
	s_delay_alu instid0(VALU_DEP_1) | instskip(NEXT) | instid1(VALU_DEP_1)
	v_mul_lo_u32 v0, v1, s4
	v_sub_nc_u32_e32 v0, v6, v0
	s_delay_alu instid0(VALU_DEP_1)
	v_mul_lo_u32 v0, v0, s8
	s_cbranch_vccnz .LBB37_158
; %bb.157:
	v_mul_hi_u32 v2, s10, v1
	s_delay_alu instid0(VALU_DEP_1) | instskip(NEXT) | instid1(VALU_DEP_1)
	v_add_nc_u32_e32 v2, v1, v2
	v_lshrrev_b32_e32 v2, s11, v2
	s_delay_alu instid0(VALU_DEP_1) | instskip(NEXT) | instid1(VALU_DEP_1)
	v_mul_lo_u32 v2, v2, s7
	v_sub_nc_u32_e32 v3, v1, v2
	s_delay_alu instid0(VALU_DEP_1) | instskip(NEXT) | instid1(VALU_DEP_1)
	v_mad_u64_u32 v[1:2], null, v3, s9, v[0:1]
	v_mov_b32_e32 v0, v1
.LBB37_158:
	s_waitcnt lgkmcnt(0)
	v_dual_mov_b32 v1, s22 :: v_dual_add_nc_u32 v6, 0x80, v6
	global_store_b16 v0, v1, s[2:3]
	s_or_b32 exec_lo, exec_lo, s27
	s_delay_alu instid0(SALU_CYCLE_1)
	s_mov_b32 s27, exec_lo
	v_cmpx_gt_i32_e64 s24, v6
	s_cbranch_execnz .LBB37_145
.LBB37_159:
	s_or_b32 exec_lo, exec_lo, s27
	s_delay_alu instid0(SALU_CYCLE_1)
	s_mov_b32 s27, exec_lo
	v_cmpx_gt_i32_e64 s24, v6
	s_cbranch_execz .LBB37_174
.LBB37_160:
	s_and_not1_b32 vcc_lo, exec_lo, s20
	s_cbranch_vccnz .LBB37_165
; %bb.161:
	v_mov_b32_e32 v0, 0
	s_and_not1_b32 vcc_lo, exec_lo, s26
	s_cbranch_vccnz .LBB37_185
; %bb.162:
	s_add_i32 s29, s25, 1
	s_cmp_eq_u32 s19, 2
	s_mov_b32 s28, 0
	s_cbranch_scc1 .LBB37_181
; %bb.163:
	v_dual_mov_b32 v0, 0 :: v_dual_mov_b32 v1, v6
	s_and_b32 s28, s29, 28
	s_mov_b32 s30, 0
	s_mov_b64 s[14:15], s[0:1]
	s_mov_b64 s[16:17], s[12:13]
.LBB37_164:                             ; =>This Inner Loop Header: Depth=1
	s_clause 0x1
	s_load_b256 s[36:43], s[14:15], 0x4
	s_load_b128 s[44:47], s[14:15], 0x24
	s_load_b128 s[48:51], s[16:17], 0x0
	s_add_u32 s14, s14, 48
	s_addc_u32 s15, s15, 0
	s_add_i32 s30, s30, 4
	s_add_u32 s16, s16, 16
	s_addc_u32 s17, s17, 0
	s_cmp_eq_u32 s28, s30
	s_waitcnt lgkmcnt(0)
	v_mul_hi_u32 v2, s37, v1
	s_delay_alu instid0(VALU_DEP_1) | instskip(NEXT) | instid1(VALU_DEP_1)
	v_add_nc_u32_e32 v2, v1, v2
	v_lshrrev_b32_e32 v2, s38, v2
	s_delay_alu instid0(VALU_DEP_1) | instskip(SKIP_1) | instid1(VALU_DEP_2)
	v_mul_hi_u32 v3, s40, v2
	v_mul_lo_u32 v7, v2, s36
	v_add_nc_u32_e32 v3, v2, v3
	s_delay_alu instid0(VALU_DEP_2) | instskip(NEXT) | instid1(VALU_DEP_2)
	v_sub_nc_u32_e32 v7, v1, v7
	v_lshrrev_b32_e32 v3, s41, v3
	s_delay_alu instid0(VALU_DEP_2) | instskip(NEXT) | instid1(VALU_DEP_2)
	v_mul_lo_u32 v7, v7, s48
	v_mul_hi_u32 v4, s43, v3
	v_mul_lo_u32 v8, v3, s39
	s_delay_alu instid0(VALU_DEP_2) | instskip(NEXT) | instid1(VALU_DEP_2)
	v_add_nc_u32_e32 v4, v3, v4
	v_sub_nc_u32_e32 v2, v2, v8
	s_delay_alu instid0(VALU_DEP_2) | instskip(NEXT) | instid1(VALU_DEP_2)
	v_lshrrev_b32_e32 v4, s44, v4
	v_mul_lo_u32 v2, v2, s49
	s_delay_alu instid0(VALU_DEP_2) | instskip(NEXT) | instid1(VALU_DEP_2)
	v_mul_hi_u32 v5, s46, v4
	v_add3_u32 v0, v7, v0, v2
	s_delay_alu instid0(VALU_DEP_2) | instskip(NEXT) | instid1(VALU_DEP_1)
	v_add_nc_u32_e32 v5, v4, v5
	v_lshrrev_b32_e32 v1, s47, v5
	v_mul_lo_u32 v5, v4, s42
	s_delay_alu instid0(VALU_DEP_2) | instskip(NEXT) | instid1(VALU_DEP_2)
	v_mul_lo_u32 v9, v1, s45
	v_sub_nc_u32_e32 v3, v3, v5
	s_delay_alu instid0(VALU_DEP_2) | instskip(NEXT) | instid1(VALU_DEP_2)
	v_sub_nc_u32_e32 v4, v4, v9
	v_mul_lo_u32 v3, v3, s50
	s_delay_alu instid0(VALU_DEP_2) | instskip(NEXT) | instid1(VALU_DEP_1)
	v_mul_lo_u32 v4, v4, s51
	v_add3_u32 v0, v3, v0, v4
	s_cbranch_scc0 .LBB37_164
	s_branch .LBB37_182
.LBB37_165:
                                        ; implicit-def: $vgpr0
	s_branch .LBB37_186
.LBB37_166:
	v_mov_b32_e32 v1, v6
.LBB37_167:
	s_and_b32 s29, s29, 3
	s_delay_alu instid0(SALU_CYCLE_1)
	s_cmp_eq_u32 s29, 0
	s_cbranch_scc1 .LBB37_170
; %bb.168:
	s_lshl_b32 s14, s28, 2
	s_mul_i32 s16, s28, 12
	s_add_u32 s14, s14, s0
	s_addc_u32 s15, s1, 0
	s_add_u32 s14, s14, 0xc4
	s_addc_u32 s15, s15, 0
	;; [unrolled: 2-line block ×3, first 2 shown]
	.p2align	6
.LBB37_169:                             ; =>This Inner Loop Header: Depth=1
	s_clause 0x1
	s_load_b64 s[30:31], s[16:17], 0x4
	s_load_b32 s28, s[16:17], 0xc
	s_add_u32 s16, s16, 12
	s_addc_u32 s17, s17, 0
	s_waitcnt lgkmcnt(0)
	v_mul_hi_u32 v2, s31, v1
	s_load_b32 s31, s[14:15], 0x0
	s_add_u32 s14, s14, 4
	s_addc_u32 s15, s15, 0
	s_add_i32 s29, s29, -1
	s_delay_alu instid0(SALU_CYCLE_1) | instskip(NEXT) | instid1(VALU_DEP_1)
	s_cmp_lg_u32 s29, 0
	v_add_nc_u32_e32 v2, v1, v2
	s_delay_alu instid0(VALU_DEP_1) | instskip(NEXT) | instid1(VALU_DEP_1)
	v_lshrrev_b32_e32 v4, s28, v2
	v_mul_lo_u32 v2, v4, s30
	s_delay_alu instid0(VALU_DEP_1) | instskip(SKIP_1) | instid1(VALU_DEP_1)
	v_sub_nc_u32_e32 v1, v1, v2
	s_waitcnt lgkmcnt(0)
	v_mad_u64_u32 v[2:3], null, v1, s31, v[0:1]
	s_delay_alu instid0(VALU_DEP_1)
	v_dual_mov_b32 v1, v4 :: v_dual_mov_b32 v0, v2
	s_cbranch_scc1 .LBB37_169
.LBB37_170:
	s_cbranch_execnz .LBB37_173
.LBB37_171:
	s_waitcnt lgkmcnt(0)
	v_mul_hi_u32 v0, s5, v6
	s_and_not1_b32 vcc_lo, exec_lo, s23
	s_delay_alu instid0(VALU_DEP_1) | instskip(NEXT) | instid1(VALU_DEP_1)
	v_add_nc_u32_e32 v0, v6, v0
	v_lshrrev_b32_e32 v1, s6, v0
	s_delay_alu instid0(VALU_DEP_1) | instskip(NEXT) | instid1(VALU_DEP_1)
	v_mul_lo_u32 v0, v1, s4
	v_sub_nc_u32_e32 v0, v6, v0
	s_delay_alu instid0(VALU_DEP_1)
	v_mul_lo_u32 v0, v0, s8
	s_cbranch_vccnz .LBB37_173
; %bb.172:
	v_mul_hi_u32 v2, s10, v1
	s_delay_alu instid0(VALU_DEP_1) | instskip(NEXT) | instid1(VALU_DEP_1)
	v_add_nc_u32_e32 v2, v1, v2
	v_lshrrev_b32_e32 v2, s11, v2
	s_delay_alu instid0(VALU_DEP_1) | instskip(NEXT) | instid1(VALU_DEP_1)
	v_mul_lo_u32 v2, v2, s7
	v_sub_nc_u32_e32 v3, v1, v2
	s_delay_alu instid0(VALU_DEP_1) | instskip(NEXT) | instid1(VALU_DEP_1)
	v_mad_u64_u32 v[1:2], null, v3, s9, v[0:1]
	v_mov_b32_e32 v0, v1
.LBB37_173:
	s_waitcnt lgkmcnt(0)
	v_dual_mov_b32 v1, s22 :: v_dual_add_nc_u32 v6, 0x80, v6
	global_store_b16 v0, v1, s[2:3]
	s_or_b32 exec_lo, exec_lo, s27
	s_delay_alu instid0(SALU_CYCLE_1)
	s_mov_b32 s27, exec_lo
	v_cmpx_gt_i32_e64 s24, v6
	s_cbranch_execnz .LBB37_160
.LBB37_174:
	s_or_b32 exec_lo, exec_lo, s27
	s_delay_alu instid0(SALU_CYCLE_1)
	s_mov_b32 s27, exec_lo
	v_cmpx_gt_i32_e64 s24, v6
	s_cbranch_execz .LBB37_189
.LBB37_175:
	s_and_not1_b32 vcc_lo, exec_lo, s20
	s_cbranch_vccnz .LBB37_180
; %bb.176:
	v_mov_b32_e32 v0, 0
	s_and_not1_b32 vcc_lo, exec_lo, s26
	s_cbranch_vccnz .LBB37_200
; %bb.177:
	s_add_i32 s29, s25, 1
	s_cmp_eq_u32 s19, 2
	s_mov_b32 s28, 0
	s_cbranch_scc1 .LBB37_196
; %bb.178:
	v_dual_mov_b32 v0, 0 :: v_dual_mov_b32 v1, v6
	s_and_b32 s28, s29, 28
	s_mov_b32 s30, 0
	s_mov_b64 s[14:15], s[0:1]
	s_mov_b64 s[16:17], s[12:13]
.LBB37_179:                             ; =>This Inner Loop Header: Depth=1
	s_clause 0x1
	s_load_b256 s[36:43], s[14:15], 0x4
	s_load_b128 s[44:47], s[14:15], 0x24
	s_load_b128 s[48:51], s[16:17], 0x0
	s_add_u32 s14, s14, 48
	s_addc_u32 s15, s15, 0
	s_add_i32 s30, s30, 4
	s_add_u32 s16, s16, 16
	s_addc_u32 s17, s17, 0
	s_cmp_eq_u32 s28, s30
	s_waitcnt lgkmcnt(0)
	v_mul_hi_u32 v2, s37, v1
	s_delay_alu instid0(VALU_DEP_1) | instskip(NEXT) | instid1(VALU_DEP_1)
	v_add_nc_u32_e32 v2, v1, v2
	v_lshrrev_b32_e32 v2, s38, v2
	s_delay_alu instid0(VALU_DEP_1) | instskip(SKIP_1) | instid1(VALU_DEP_2)
	v_mul_hi_u32 v3, s40, v2
	v_mul_lo_u32 v7, v2, s36
	v_add_nc_u32_e32 v3, v2, v3
	s_delay_alu instid0(VALU_DEP_2) | instskip(NEXT) | instid1(VALU_DEP_2)
	v_sub_nc_u32_e32 v7, v1, v7
	v_lshrrev_b32_e32 v3, s41, v3
	s_delay_alu instid0(VALU_DEP_2) | instskip(NEXT) | instid1(VALU_DEP_2)
	v_mul_lo_u32 v7, v7, s48
	v_mul_hi_u32 v4, s43, v3
	v_mul_lo_u32 v8, v3, s39
	s_delay_alu instid0(VALU_DEP_2) | instskip(NEXT) | instid1(VALU_DEP_2)
	v_add_nc_u32_e32 v4, v3, v4
	v_sub_nc_u32_e32 v2, v2, v8
	s_delay_alu instid0(VALU_DEP_2) | instskip(NEXT) | instid1(VALU_DEP_2)
	v_lshrrev_b32_e32 v4, s44, v4
	v_mul_lo_u32 v2, v2, s49
	s_delay_alu instid0(VALU_DEP_2) | instskip(NEXT) | instid1(VALU_DEP_2)
	v_mul_hi_u32 v5, s46, v4
	v_add3_u32 v0, v7, v0, v2
	s_delay_alu instid0(VALU_DEP_2) | instskip(NEXT) | instid1(VALU_DEP_1)
	v_add_nc_u32_e32 v5, v4, v5
	v_lshrrev_b32_e32 v1, s47, v5
	v_mul_lo_u32 v5, v4, s42
	s_delay_alu instid0(VALU_DEP_2) | instskip(NEXT) | instid1(VALU_DEP_2)
	v_mul_lo_u32 v9, v1, s45
	v_sub_nc_u32_e32 v3, v3, v5
	s_delay_alu instid0(VALU_DEP_2) | instskip(NEXT) | instid1(VALU_DEP_2)
	v_sub_nc_u32_e32 v4, v4, v9
	v_mul_lo_u32 v3, v3, s50
	s_delay_alu instid0(VALU_DEP_2) | instskip(NEXT) | instid1(VALU_DEP_1)
	v_mul_lo_u32 v4, v4, s51
	v_add3_u32 v0, v3, v0, v4
	s_cbranch_scc0 .LBB37_179
	s_branch .LBB37_197
.LBB37_180:
                                        ; implicit-def: $vgpr0
	s_branch .LBB37_201
.LBB37_181:
	v_mov_b32_e32 v1, v6
.LBB37_182:
	s_and_b32 s29, s29, 3
	s_delay_alu instid0(SALU_CYCLE_1)
	s_cmp_eq_u32 s29, 0
	s_cbranch_scc1 .LBB37_185
; %bb.183:
	s_lshl_b32 s14, s28, 2
	s_mul_i32 s16, s28, 12
	s_add_u32 s14, s14, s0
	s_addc_u32 s15, s1, 0
	s_add_u32 s14, s14, 0xc4
	s_addc_u32 s15, s15, 0
	;; [unrolled: 2-line block ×3, first 2 shown]
	.p2align	6
.LBB37_184:                             ; =>This Inner Loop Header: Depth=1
	s_clause 0x1
	s_load_b64 s[30:31], s[16:17], 0x4
	s_load_b32 s28, s[16:17], 0xc
	s_add_u32 s16, s16, 12
	s_addc_u32 s17, s17, 0
	s_waitcnt lgkmcnt(0)
	v_mul_hi_u32 v2, s31, v1
	s_load_b32 s31, s[14:15], 0x0
	s_add_u32 s14, s14, 4
	s_addc_u32 s15, s15, 0
	s_add_i32 s29, s29, -1
	s_delay_alu instid0(SALU_CYCLE_1) | instskip(NEXT) | instid1(VALU_DEP_1)
	s_cmp_lg_u32 s29, 0
	v_add_nc_u32_e32 v2, v1, v2
	s_delay_alu instid0(VALU_DEP_1) | instskip(NEXT) | instid1(VALU_DEP_1)
	v_lshrrev_b32_e32 v4, s28, v2
	v_mul_lo_u32 v2, v4, s30
	s_delay_alu instid0(VALU_DEP_1) | instskip(SKIP_1) | instid1(VALU_DEP_1)
	v_sub_nc_u32_e32 v1, v1, v2
	s_waitcnt lgkmcnt(0)
	v_mad_u64_u32 v[2:3], null, v1, s31, v[0:1]
	s_delay_alu instid0(VALU_DEP_1)
	v_dual_mov_b32 v1, v4 :: v_dual_mov_b32 v0, v2
	s_cbranch_scc1 .LBB37_184
.LBB37_185:
	s_cbranch_execnz .LBB37_188
.LBB37_186:
	s_waitcnt lgkmcnt(0)
	v_mul_hi_u32 v0, s5, v6
	s_and_not1_b32 vcc_lo, exec_lo, s23
	s_delay_alu instid0(VALU_DEP_1) | instskip(NEXT) | instid1(VALU_DEP_1)
	v_add_nc_u32_e32 v0, v6, v0
	v_lshrrev_b32_e32 v1, s6, v0
	s_delay_alu instid0(VALU_DEP_1) | instskip(NEXT) | instid1(VALU_DEP_1)
	v_mul_lo_u32 v0, v1, s4
	v_sub_nc_u32_e32 v0, v6, v0
	s_delay_alu instid0(VALU_DEP_1)
	v_mul_lo_u32 v0, v0, s8
	s_cbranch_vccnz .LBB37_188
; %bb.187:
	v_mul_hi_u32 v2, s10, v1
	s_delay_alu instid0(VALU_DEP_1) | instskip(NEXT) | instid1(VALU_DEP_1)
	v_add_nc_u32_e32 v2, v1, v2
	v_lshrrev_b32_e32 v2, s11, v2
	s_delay_alu instid0(VALU_DEP_1) | instskip(NEXT) | instid1(VALU_DEP_1)
	v_mul_lo_u32 v2, v2, s7
	v_sub_nc_u32_e32 v3, v1, v2
	s_delay_alu instid0(VALU_DEP_1) | instskip(NEXT) | instid1(VALU_DEP_1)
	v_mad_u64_u32 v[1:2], null, v3, s9, v[0:1]
	v_mov_b32_e32 v0, v1
.LBB37_188:
	s_waitcnt lgkmcnt(0)
	v_dual_mov_b32 v1, s22 :: v_dual_add_nc_u32 v6, 0x80, v6
	global_store_b16 v0, v1, s[2:3]
	s_or_b32 exec_lo, exec_lo, s27
	s_delay_alu instid0(SALU_CYCLE_1)
	s_mov_b32 s27, exec_lo
	v_cmpx_gt_i32_e64 s24, v6
	s_cbranch_execnz .LBB37_175
.LBB37_189:
	s_or_b32 exec_lo, exec_lo, s27
	s_delay_alu instid0(SALU_CYCLE_1)
	s_mov_b32 s27, exec_lo
	v_cmpx_gt_i32_e64 s24, v6
	s_cbranch_execz .LBB37_204
.LBB37_190:
	s_and_not1_b32 vcc_lo, exec_lo, s20
	s_cbranch_vccnz .LBB37_195
; %bb.191:
	v_mov_b32_e32 v0, 0
	s_and_not1_b32 vcc_lo, exec_lo, s26
	s_cbranch_vccnz .LBB37_211
; %bb.192:
	s_add_i32 s29, s25, 1
	s_cmp_eq_u32 s19, 2
	s_mov_b32 s28, 0
	s_cbranch_scc1 .LBB37_207
; %bb.193:
	v_dual_mov_b32 v0, 0 :: v_dual_mov_b32 v1, v6
	s_and_b32 s28, s29, 28
	s_mov_b32 s30, 0
	s_mov_b64 s[14:15], s[0:1]
	s_mov_b64 s[16:17], s[12:13]
.LBB37_194:                             ; =>This Inner Loop Header: Depth=1
	s_clause 0x1
	s_load_b256 s[36:43], s[14:15], 0x4
	s_load_b128 s[44:47], s[14:15], 0x24
	s_load_b128 s[48:51], s[16:17], 0x0
	s_add_u32 s14, s14, 48
	s_addc_u32 s15, s15, 0
	s_add_i32 s30, s30, 4
	s_add_u32 s16, s16, 16
	s_addc_u32 s17, s17, 0
	s_cmp_eq_u32 s28, s30
	s_waitcnt lgkmcnt(0)
	v_mul_hi_u32 v2, s37, v1
	s_delay_alu instid0(VALU_DEP_1) | instskip(NEXT) | instid1(VALU_DEP_1)
	v_add_nc_u32_e32 v2, v1, v2
	v_lshrrev_b32_e32 v2, s38, v2
	s_delay_alu instid0(VALU_DEP_1) | instskip(SKIP_1) | instid1(VALU_DEP_2)
	v_mul_hi_u32 v3, s40, v2
	v_mul_lo_u32 v7, v2, s36
	v_add_nc_u32_e32 v3, v2, v3
	s_delay_alu instid0(VALU_DEP_2) | instskip(NEXT) | instid1(VALU_DEP_2)
	v_sub_nc_u32_e32 v7, v1, v7
	v_lshrrev_b32_e32 v3, s41, v3
	s_delay_alu instid0(VALU_DEP_2) | instskip(NEXT) | instid1(VALU_DEP_2)
	v_mul_lo_u32 v7, v7, s48
	v_mul_hi_u32 v4, s43, v3
	v_mul_lo_u32 v8, v3, s39
	s_delay_alu instid0(VALU_DEP_2) | instskip(NEXT) | instid1(VALU_DEP_2)
	v_add_nc_u32_e32 v4, v3, v4
	v_sub_nc_u32_e32 v2, v2, v8
	s_delay_alu instid0(VALU_DEP_2) | instskip(NEXT) | instid1(VALU_DEP_2)
	v_lshrrev_b32_e32 v4, s44, v4
	v_mul_lo_u32 v2, v2, s49
	s_delay_alu instid0(VALU_DEP_2) | instskip(NEXT) | instid1(VALU_DEP_2)
	v_mul_hi_u32 v5, s46, v4
	v_add3_u32 v0, v7, v0, v2
	s_delay_alu instid0(VALU_DEP_2) | instskip(NEXT) | instid1(VALU_DEP_1)
	v_add_nc_u32_e32 v5, v4, v5
	v_lshrrev_b32_e32 v1, s47, v5
	v_mul_lo_u32 v5, v4, s42
	s_delay_alu instid0(VALU_DEP_2) | instskip(NEXT) | instid1(VALU_DEP_2)
	v_mul_lo_u32 v9, v1, s45
	v_sub_nc_u32_e32 v3, v3, v5
	s_delay_alu instid0(VALU_DEP_2) | instskip(NEXT) | instid1(VALU_DEP_2)
	v_sub_nc_u32_e32 v4, v4, v9
	v_mul_lo_u32 v3, v3, s50
	s_delay_alu instid0(VALU_DEP_2) | instskip(NEXT) | instid1(VALU_DEP_1)
	v_mul_lo_u32 v4, v4, s51
	v_add3_u32 v0, v3, v0, v4
	s_cbranch_scc0 .LBB37_194
	s_branch .LBB37_208
.LBB37_195:
                                        ; implicit-def: $vgpr0
	s_branch .LBB37_212
.LBB37_196:
	v_mov_b32_e32 v1, v6
.LBB37_197:
	s_and_b32 s29, s29, 3
	s_delay_alu instid0(SALU_CYCLE_1)
	s_cmp_eq_u32 s29, 0
	s_cbranch_scc1 .LBB37_200
; %bb.198:
	s_lshl_b32 s14, s28, 2
	s_mul_i32 s16, s28, 12
	s_add_u32 s14, s14, s0
	s_addc_u32 s15, s1, 0
	s_add_u32 s14, s14, 0xc4
	s_addc_u32 s15, s15, 0
	;; [unrolled: 2-line block ×3, first 2 shown]
	.p2align	6
.LBB37_199:                             ; =>This Inner Loop Header: Depth=1
	s_clause 0x1
	s_load_b64 s[30:31], s[16:17], 0x4
	s_load_b32 s28, s[16:17], 0xc
	s_add_u32 s16, s16, 12
	s_addc_u32 s17, s17, 0
	s_waitcnt lgkmcnt(0)
	v_mul_hi_u32 v2, s31, v1
	s_load_b32 s31, s[14:15], 0x0
	s_add_u32 s14, s14, 4
	s_addc_u32 s15, s15, 0
	s_add_i32 s29, s29, -1
	s_delay_alu instid0(SALU_CYCLE_1) | instskip(NEXT) | instid1(VALU_DEP_1)
	s_cmp_lg_u32 s29, 0
	v_add_nc_u32_e32 v2, v1, v2
	s_delay_alu instid0(VALU_DEP_1) | instskip(NEXT) | instid1(VALU_DEP_1)
	v_lshrrev_b32_e32 v4, s28, v2
	v_mul_lo_u32 v2, v4, s30
	s_delay_alu instid0(VALU_DEP_1) | instskip(SKIP_1) | instid1(VALU_DEP_1)
	v_sub_nc_u32_e32 v1, v1, v2
	s_waitcnt lgkmcnt(0)
	v_mad_u64_u32 v[2:3], null, v1, s31, v[0:1]
	s_delay_alu instid0(VALU_DEP_1)
	v_dual_mov_b32 v1, v4 :: v_dual_mov_b32 v0, v2
	s_cbranch_scc1 .LBB37_199
.LBB37_200:
	s_cbranch_execnz .LBB37_203
.LBB37_201:
	s_waitcnt lgkmcnt(0)
	v_mul_hi_u32 v0, s5, v6
	s_and_not1_b32 vcc_lo, exec_lo, s23
	s_delay_alu instid0(VALU_DEP_1) | instskip(NEXT) | instid1(VALU_DEP_1)
	v_add_nc_u32_e32 v0, v6, v0
	v_lshrrev_b32_e32 v1, s6, v0
	s_delay_alu instid0(VALU_DEP_1) | instskip(NEXT) | instid1(VALU_DEP_1)
	v_mul_lo_u32 v0, v1, s4
	v_sub_nc_u32_e32 v0, v6, v0
	s_delay_alu instid0(VALU_DEP_1)
	v_mul_lo_u32 v0, v0, s8
	s_cbranch_vccnz .LBB37_203
; %bb.202:
	v_mul_hi_u32 v2, s10, v1
	s_delay_alu instid0(VALU_DEP_1) | instskip(NEXT) | instid1(VALU_DEP_1)
	v_add_nc_u32_e32 v2, v1, v2
	v_lshrrev_b32_e32 v2, s11, v2
	s_delay_alu instid0(VALU_DEP_1) | instskip(NEXT) | instid1(VALU_DEP_1)
	v_mul_lo_u32 v2, v2, s7
	v_sub_nc_u32_e32 v3, v1, v2
	s_delay_alu instid0(VALU_DEP_1) | instskip(NEXT) | instid1(VALU_DEP_1)
	v_mad_u64_u32 v[1:2], null, v3, s9, v[0:1]
	v_mov_b32_e32 v0, v1
.LBB37_203:
	s_waitcnt lgkmcnt(0)
	v_dual_mov_b32 v1, s22 :: v_dual_add_nc_u32 v6, 0x80, v6
	global_store_b16 v0, v1, s[2:3]
	s_or_b32 exec_lo, exec_lo, s27
	s_delay_alu instid0(SALU_CYCLE_1)
	s_mov_b32 s27, exec_lo
	v_cmpx_gt_i32_e64 s24, v6
	s_cbranch_execnz .LBB37_190
.LBB37_204:
	s_or_b32 exec_lo, exec_lo, s27
	s_delay_alu instid0(SALU_CYCLE_1)
	s_mov_b32 s16, exec_lo
	v_cmpx_gt_i32_e64 s24, v6
	s_cbranch_execnz .LBB37_215
.LBB37_205:
	s_or_b32 exec_lo, exec_lo, s16
                                        ; implicit-def: $vgpr8
                                        ; implicit-def: $vgpr6
	s_waitcnt lgkmcnt(0)
	s_and_not1_saveexec_b32 s2, s21
	s_cbranch_execnz .LBB37_8
.LBB37_206:
	s_nop 0
	s_sendmsg sendmsg(MSG_DEALLOC_VGPRS)
	s_endpgm
.LBB37_207:
	v_mov_b32_e32 v1, v6
.LBB37_208:
	s_and_b32 s29, s29, 3
	s_delay_alu instid0(SALU_CYCLE_1)
	s_cmp_eq_u32 s29, 0
	s_cbranch_scc1 .LBB37_211
; %bb.209:
	s_lshl_b32 s14, s28, 2
	s_mul_i32 s16, s28, 12
	s_add_u32 s14, s14, s0
	s_addc_u32 s15, s1, 0
	s_add_u32 s14, s14, 0xc4
	s_addc_u32 s15, s15, 0
	;; [unrolled: 2-line block ×3, first 2 shown]
	.p2align	6
.LBB37_210:                             ; =>This Inner Loop Header: Depth=1
	s_clause 0x1
	s_load_b64 s[30:31], s[16:17], 0x4
	s_load_b32 s28, s[16:17], 0xc
	s_add_u32 s16, s16, 12
	s_addc_u32 s17, s17, 0
	s_waitcnt lgkmcnt(0)
	v_mul_hi_u32 v2, s31, v1
	s_load_b32 s31, s[14:15], 0x0
	s_add_u32 s14, s14, 4
	s_addc_u32 s15, s15, 0
	s_add_i32 s29, s29, -1
	s_delay_alu instid0(SALU_CYCLE_1) | instskip(NEXT) | instid1(VALU_DEP_1)
	s_cmp_lg_u32 s29, 0
	v_add_nc_u32_e32 v2, v1, v2
	s_delay_alu instid0(VALU_DEP_1) | instskip(NEXT) | instid1(VALU_DEP_1)
	v_lshrrev_b32_e32 v4, s28, v2
	v_mul_lo_u32 v2, v4, s30
	s_delay_alu instid0(VALU_DEP_1) | instskip(SKIP_1) | instid1(VALU_DEP_1)
	v_sub_nc_u32_e32 v1, v1, v2
	s_waitcnt lgkmcnt(0)
	v_mad_u64_u32 v[2:3], null, v1, s31, v[0:1]
	s_delay_alu instid0(VALU_DEP_1)
	v_dual_mov_b32 v1, v4 :: v_dual_mov_b32 v0, v2
	s_cbranch_scc1 .LBB37_210
.LBB37_211:
	s_cbranch_execnz .LBB37_214
.LBB37_212:
	s_waitcnt lgkmcnt(0)
	v_mul_hi_u32 v0, s5, v6
	s_and_not1_b32 vcc_lo, exec_lo, s23
	s_delay_alu instid0(VALU_DEP_1) | instskip(NEXT) | instid1(VALU_DEP_1)
	v_add_nc_u32_e32 v0, v6, v0
	v_lshrrev_b32_e32 v1, s6, v0
	s_delay_alu instid0(VALU_DEP_1) | instskip(NEXT) | instid1(VALU_DEP_1)
	v_mul_lo_u32 v0, v1, s4
	v_sub_nc_u32_e32 v0, v6, v0
	s_delay_alu instid0(VALU_DEP_1)
	v_mul_lo_u32 v0, v0, s8
	s_cbranch_vccnz .LBB37_214
; %bb.213:
	v_mul_hi_u32 v2, s10, v1
	s_delay_alu instid0(VALU_DEP_1) | instskip(NEXT) | instid1(VALU_DEP_1)
	v_add_nc_u32_e32 v2, v1, v2
	v_lshrrev_b32_e32 v2, s11, v2
	s_delay_alu instid0(VALU_DEP_1) | instskip(NEXT) | instid1(VALU_DEP_1)
	v_mul_lo_u32 v2, v2, s7
	v_sub_nc_u32_e32 v3, v1, v2
	s_delay_alu instid0(VALU_DEP_1) | instskip(NEXT) | instid1(VALU_DEP_1)
	v_mad_u64_u32 v[1:2], null, v3, s9, v[0:1]
	v_mov_b32_e32 v0, v1
.LBB37_214:
	s_waitcnt lgkmcnt(0)
	v_dual_mov_b32 v1, s22 :: v_dual_add_nc_u32 v6, 0x80, v6
	global_store_b16 v0, v1, s[2:3]
	s_or_b32 exec_lo, exec_lo, s27
	s_delay_alu instid0(SALU_CYCLE_1)
	s_mov_b32 s16, exec_lo
	v_cmpx_gt_i32_e64 s24, v6
	s_cbranch_execz .LBB37_205
.LBB37_215:
	s_and_not1_b32 vcc_lo, exec_lo, s20
	s_cbranch_vccnz .LBB37_220
; %bb.216:
	v_mov_b32_e32 v0, 0
	s_and_not1_b32 vcc_lo, exec_lo, s26
	s_cbranch_vccnz .LBB37_225
; %bb.217:
	s_add_i32 s25, s25, 1
	s_cmp_eq_u32 s19, 2
	s_mov_b32 s17, 0
	s_cbranch_scc1 .LBB37_221
; %bb.218:
	v_dual_mov_b32 v0, 0 :: v_dual_mov_b32 v1, v6
	s_and_b32 s17, s25, 28
	s_mov_b32 s24, 0
	s_mov_b64 s[14:15], s[0:1]
.LBB37_219:                             ; =>This Inner Loop Header: Depth=1
	s_clause 0x1
	s_load_b256 s[36:43], s[14:15], 0x4
	s_load_b128 s[28:31], s[14:15], 0x24
	s_load_b128 s[44:47], s[12:13], 0x0
	s_add_u32 s14, s14, 48
	s_addc_u32 s15, s15, 0
	s_add_i32 s24, s24, 4
	s_add_u32 s12, s12, 16
	s_addc_u32 s13, s13, 0
	s_cmp_eq_u32 s17, s24
	s_waitcnt lgkmcnt(0)
	v_mul_hi_u32 v2, s37, v1
	s_delay_alu instid0(VALU_DEP_1) | instskip(NEXT) | instid1(VALU_DEP_1)
	v_add_nc_u32_e32 v2, v1, v2
	v_lshrrev_b32_e32 v2, s38, v2
	s_delay_alu instid0(VALU_DEP_1) | instskip(SKIP_1) | instid1(VALU_DEP_2)
	v_mul_hi_u32 v3, s40, v2
	v_mul_lo_u32 v7, v2, s36
	v_add_nc_u32_e32 v3, v2, v3
	s_delay_alu instid0(VALU_DEP_2) | instskip(NEXT) | instid1(VALU_DEP_2)
	v_sub_nc_u32_e32 v7, v1, v7
	v_lshrrev_b32_e32 v3, s41, v3
	s_delay_alu instid0(VALU_DEP_2) | instskip(NEXT) | instid1(VALU_DEP_2)
	v_mul_lo_u32 v7, v7, s44
	v_mul_hi_u32 v4, s43, v3
	v_mul_lo_u32 v8, v3, s39
	s_delay_alu instid0(VALU_DEP_2) | instskip(NEXT) | instid1(VALU_DEP_2)
	v_add_nc_u32_e32 v4, v3, v4
	v_sub_nc_u32_e32 v2, v2, v8
	s_delay_alu instid0(VALU_DEP_2) | instskip(NEXT) | instid1(VALU_DEP_2)
	v_lshrrev_b32_e32 v4, s28, v4
	v_mul_lo_u32 v2, v2, s45
	s_delay_alu instid0(VALU_DEP_2) | instskip(NEXT) | instid1(VALU_DEP_2)
	v_mul_hi_u32 v5, s30, v4
	v_add3_u32 v0, v7, v0, v2
	s_delay_alu instid0(VALU_DEP_2) | instskip(NEXT) | instid1(VALU_DEP_1)
	v_add_nc_u32_e32 v5, v4, v5
	v_lshrrev_b32_e32 v1, s31, v5
	v_mul_lo_u32 v5, v4, s42
	s_delay_alu instid0(VALU_DEP_2) | instskip(NEXT) | instid1(VALU_DEP_2)
	v_mul_lo_u32 v9, v1, s29
	v_sub_nc_u32_e32 v3, v3, v5
	s_delay_alu instid0(VALU_DEP_2) | instskip(NEXT) | instid1(VALU_DEP_2)
	v_sub_nc_u32_e32 v4, v4, v9
	v_mul_lo_u32 v3, v3, s46
	s_delay_alu instid0(VALU_DEP_2) | instskip(NEXT) | instid1(VALU_DEP_1)
	v_mul_lo_u32 v4, v4, s47
	v_add3_u32 v0, v3, v0, v4
	s_cbranch_scc0 .LBB37_219
	s_branch .LBB37_222
.LBB37_220:
                                        ; implicit-def: $vgpr0
	s_branch .LBB37_226
.LBB37_221:
	v_mov_b32_e32 v1, v6
.LBB37_222:
	s_and_b32 s24, s25, 3
	s_delay_alu instid0(SALU_CYCLE_1)
	s_cmp_eq_u32 s24, 0
	s_cbranch_scc1 .LBB37_225
; %bb.223:
	s_lshl_b32 s12, s17, 2
	s_mul_i32 s14, s17, 12
	s_add_u32 s12, s12, s0
	s_addc_u32 s13, s1, 0
	s_add_u32 s12, s12, 0xc4
	s_addc_u32 s13, s13, 0
	;; [unrolled: 2-line block ×3, first 2 shown]
	.p2align	6
.LBB37_224:                             ; =>This Inner Loop Header: Depth=1
	s_clause 0x1
	s_load_b64 s[26:27], s[14:15], 0x4
	s_load_b32 s17, s[14:15], 0xc
	s_load_b32 s25, s[12:13], 0x0
	s_add_u32 s14, s14, 12
	s_addc_u32 s15, s15, 0
	s_add_u32 s12, s12, 4
	s_addc_u32 s13, s13, 0
	s_add_i32 s24, s24, -1
	s_delay_alu instid0(SALU_CYCLE_1) | instskip(SKIP_2) | instid1(VALU_DEP_1)
	s_cmp_lg_u32 s24, 0
	s_waitcnt lgkmcnt(0)
	v_mul_hi_u32 v2, s27, v1
	v_add_nc_u32_e32 v2, v1, v2
	s_delay_alu instid0(VALU_DEP_1) | instskip(NEXT) | instid1(VALU_DEP_1)
	v_lshrrev_b32_e32 v4, s17, v2
	v_mul_lo_u32 v2, v4, s26
	s_delay_alu instid0(VALU_DEP_1) | instskip(NEXT) | instid1(VALU_DEP_1)
	v_sub_nc_u32_e32 v1, v1, v2
	v_mad_u64_u32 v[2:3], null, v1, s25, v[0:1]
	s_delay_alu instid0(VALU_DEP_1)
	v_dual_mov_b32 v1, v4 :: v_dual_mov_b32 v0, v2
	s_cbranch_scc1 .LBB37_224
.LBB37_225:
	s_cbranch_execnz .LBB37_228
.LBB37_226:
	s_waitcnt lgkmcnt(0)
	v_mul_hi_u32 v0, s5, v6
	s_and_not1_b32 vcc_lo, exec_lo, s23
	s_delay_alu instid0(VALU_DEP_1) | instskip(NEXT) | instid1(VALU_DEP_1)
	v_add_nc_u32_e32 v0, v6, v0
	v_lshrrev_b32_e32 v1, s6, v0
	s_delay_alu instid0(VALU_DEP_1) | instskip(NEXT) | instid1(VALU_DEP_1)
	v_mul_lo_u32 v0, v1, s4
	v_sub_nc_u32_e32 v0, v6, v0
	s_delay_alu instid0(VALU_DEP_1)
	v_mul_lo_u32 v0, v0, s8
	s_cbranch_vccnz .LBB37_228
; %bb.227:
	v_mul_hi_u32 v2, s10, v1
	s_delay_alu instid0(VALU_DEP_1) | instskip(NEXT) | instid1(VALU_DEP_1)
	v_add_nc_u32_e32 v2, v1, v2
	v_lshrrev_b32_e32 v2, s11, v2
	s_delay_alu instid0(VALU_DEP_1) | instskip(NEXT) | instid1(VALU_DEP_1)
	v_mul_lo_u32 v2, v2, s7
	v_sub_nc_u32_e32 v3, v1, v2
	s_delay_alu instid0(VALU_DEP_1) | instskip(NEXT) | instid1(VALU_DEP_1)
	v_mad_u64_u32 v[1:2], null, v3, s9, v[0:1]
	v_mov_b32_e32 v0, v1
.LBB37_228:
	s_waitcnt lgkmcnt(0)
	v_mov_b32_e32 v1, s22
	global_store_b16 v0, v1, s[2:3]
	s_or_b32 exec_lo, exec_lo, s16
                                        ; implicit-def: $vgpr8
                                        ; implicit-def: $vgpr6
	s_and_not1_saveexec_b32 s2, s21
	s_cbranch_execz .LBB37_206
	s_branch .LBB37_8
	.section	.rodata,"a",@progbits
	.p2align	6, 0x0
	.amdhsa_kernel _ZN2at6native32elementwise_kernel_manual_unrollILi128ELi8EZNS0_22gpu_kernel_impl_nocastINS0_11FillFunctorIsEEEEvRNS_18TensorIteratorBaseERKT_EUlibE_EEviT1_
		.amdhsa_group_segment_fixed_size 0
		.amdhsa_private_segment_fixed_size 0
		.amdhsa_kernarg_size 288
		.amdhsa_user_sgpr_count 15
		.amdhsa_user_sgpr_dispatch_ptr 0
		.amdhsa_user_sgpr_queue_ptr 0
		.amdhsa_user_sgpr_kernarg_segment_ptr 1
		.amdhsa_user_sgpr_dispatch_id 0
		.amdhsa_user_sgpr_private_segment_size 0
		.amdhsa_wavefront_size32 1
		.amdhsa_uses_dynamic_stack 0
		.amdhsa_enable_private_segment 0
		.amdhsa_system_sgpr_workgroup_id_x 1
		.amdhsa_system_sgpr_workgroup_id_y 0
		.amdhsa_system_sgpr_workgroup_id_z 0
		.amdhsa_system_sgpr_workgroup_info 0
		.amdhsa_system_vgpr_workitem_id 0
		.amdhsa_next_free_vgpr 18
		.amdhsa_next_free_sgpr 52
		.amdhsa_reserve_vcc 1
		.amdhsa_float_round_mode_32 0
		.amdhsa_float_round_mode_16_64 0
		.amdhsa_float_denorm_mode_32 3
		.amdhsa_float_denorm_mode_16_64 3
		.amdhsa_dx10_clamp 1
		.amdhsa_ieee_mode 1
		.amdhsa_fp16_overflow 0
		.amdhsa_workgroup_processor_mode 1
		.amdhsa_memory_ordered 1
		.amdhsa_forward_progress 0
		.amdhsa_shared_vgpr_count 0
		.amdhsa_exception_fp_ieee_invalid_op 0
		.amdhsa_exception_fp_denorm_src 0
		.amdhsa_exception_fp_ieee_div_zero 0
		.amdhsa_exception_fp_ieee_overflow 0
		.amdhsa_exception_fp_ieee_underflow 0
		.amdhsa_exception_fp_ieee_inexact 0
		.amdhsa_exception_int_div_zero 0
	.end_amdhsa_kernel
	.section	.text._ZN2at6native32elementwise_kernel_manual_unrollILi128ELi8EZNS0_22gpu_kernel_impl_nocastINS0_11FillFunctorIsEEEEvRNS_18TensorIteratorBaseERKT_EUlibE_EEviT1_,"axG",@progbits,_ZN2at6native32elementwise_kernel_manual_unrollILi128ELi8EZNS0_22gpu_kernel_impl_nocastINS0_11FillFunctorIsEEEEvRNS_18TensorIteratorBaseERKT_EUlibE_EEviT1_,comdat
.Lfunc_end37:
	.size	_ZN2at6native32elementwise_kernel_manual_unrollILi128ELi8EZNS0_22gpu_kernel_impl_nocastINS0_11FillFunctorIsEEEEvRNS_18TensorIteratorBaseERKT_EUlibE_EEviT1_, .Lfunc_end37-_ZN2at6native32elementwise_kernel_manual_unrollILi128ELi8EZNS0_22gpu_kernel_impl_nocastINS0_11FillFunctorIsEEEEvRNS_18TensorIteratorBaseERKT_EUlibE_EEviT1_
                                        ; -- End function
	.section	.AMDGPU.csdata,"",@progbits
; Kernel info:
; codeLenInByte = 11652
; NumSgprs: 54
; NumVgprs: 18
; ScratchSize: 0
; MemoryBound: 0
; FloatMode: 240
; IeeeMode: 1
; LDSByteSize: 0 bytes/workgroup (compile time only)
; SGPRBlocks: 6
; VGPRBlocks: 2
; NumSGPRsForWavesPerEU: 54
; NumVGPRsForWavesPerEU: 18
; Occupancy: 16
; WaveLimiterHint : 1
; COMPUTE_PGM_RSRC2:SCRATCH_EN: 0
; COMPUTE_PGM_RSRC2:USER_SGPR: 15
; COMPUTE_PGM_RSRC2:TRAP_HANDLER: 0
; COMPUTE_PGM_RSRC2:TGID_X_EN: 1
; COMPUTE_PGM_RSRC2:TGID_Y_EN: 0
; COMPUTE_PGM_RSRC2:TGID_Z_EN: 0
; COMPUTE_PGM_RSRC2:TIDIG_COMP_CNT: 0
	.section	.text._ZN2at6native32elementwise_kernel_manual_unrollILi128ELi4EZNS0_15gpu_kernel_implINS0_11FillFunctorIsEEEEvRNS_18TensorIteratorBaseERKT_EUlibE_EEviT1_,"axG",@progbits,_ZN2at6native32elementwise_kernel_manual_unrollILi128ELi4EZNS0_15gpu_kernel_implINS0_11FillFunctorIsEEEEvRNS_18TensorIteratorBaseERKT_EUlibE_EEviT1_,comdat
	.protected	_ZN2at6native32elementwise_kernel_manual_unrollILi128ELi4EZNS0_15gpu_kernel_implINS0_11FillFunctorIsEEEEvRNS_18TensorIteratorBaseERKT_EUlibE_EEviT1_ ; -- Begin function _ZN2at6native32elementwise_kernel_manual_unrollILi128ELi4EZNS0_15gpu_kernel_implINS0_11FillFunctorIsEEEEvRNS_18TensorIteratorBaseERKT_EUlibE_EEviT1_
	.globl	_ZN2at6native32elementwise_kernel_manual_unrollILi128ELi4EZNS0_15gpu_kernel_implINS0_11FillFunctorIsEEEEvRNS_18TensorIteratorBaseERKT_EUlibE_EEviT1_
	.p2align	8
	.type	_ZN2at6native32elementwise_kernel_manual_unrollILi128ELi4EZNS0_15gpu_kernel_implINS0_11FillFunctorIsEEEEvRNS_18TensorIteratorBaseERKT_EUlibE_EEviT1_,@function
_ZN2at6native32elementwise_kernel_manual_unrollILi128ELi4EZNS0_15gpu_kernel_implINS0_11FillFunctorIsEEEEvRNS_18TensorIteratorBaseERKT_EUlibE_EEviT1_: ; @_ZN2at6native32elementwise_kernel_manual_unrollILi128ELi4EZNS0_15gpu_kernel_implINS0_11FillFunctorIsEEEEvRNS_18TensorIteratorBaseERKT_EUlibE_EEviT1_
; %bb.0:
	s_clause 0x1
	s_load_b32 s29, s[0:1], 0x0
	s_load_b128 s[4:7], s[0:1], 0x8
	v_lshl_or_b32 v15, s15, 9, v0
	s_mov_b32 s8, 0
	s_mov_b32 s1, 0
	s_mov_b32 s0, exec_lo
	s_delay_alu instid0(VALU_DEP_1) | instskip(SKIP_2) | instid1(VALU_DEP_1)
	v_or_b32_e32 v0, 0x180, v15
	s_waitcnt lgkmcnt(0)
	s_lshr_b32 s9, s7, 16
	v_cmpx_le_i32_e64 s29, v0
	s_xor_b32 s10, exec_lo, s0
	s_cbranch_execz .LBB38_151
; %bb.1:
	s_sext_i32_i16 s2, s7
	s_mov_b32 s33, 0
	v_cvt_f32_i32_e32 v4, s2
	s_ashr_i32 s3, s2, 31
	s_mov_b32 s34, -1
	s_mov_b32 s30, 0
	s_mov_b32 s31, exec_lo
	v_bfe_u32 v2, v4, 23, 8
	v_and_b32_e32 v0, 0x3fffff, v4
	v_and_b32_e32 v1, 0x400000, v4
	v_readfirstlane_b32 s1, v4
	v_add_f32_e64 v14, 0x46000000, |v4|
	v_add_f32_e64 v13, 0x42800000, |v4|
	v_or_b32_e32 v0, v2, v0
	v_cmp_ne_u32_e32 vcc_lo, 0, v1
	s_and_b32 s15, s1, 0x7fffffff
	v_lshrrev_b32_e32 v5, 24, v4
	v_bfe_u32 v8, v4, 16, 1
	v_cmp_ne_u32_e64 s0, 0, v0
	v_cvt_f64_i32_e32 v[0:1], s2
	v_lshrrev_b32_e32 v3, 23, v4
	v_and_b32_e32 v12, 0x80, v5
	v_add_nc_u32_e32 v5, v4, v8
	s_and_b32 s12, vcc_lo, s0
	s_cmp_lt_u32 s15, 0x43800000
	v_readfirstlane_b32 s0, v14
	s_cselect_b32 s25, -1, 0
	s_cmp_gt_u32 s15, 0x3bffffff
	v_add_f32_e64 v6, 0x46800000, |v4|
	s_cselect_b32 s21, -1, 0
	s_bfe_u32 s11, s1, 0x10014
	s_and_b32 s0, s0, 0xff
	s_add_i32 s13, s1, s11
	v_add_f32_e64 v7, 0x43000000, |v4|
	s_add_i32 s11, s13, 0x487ffff
	v_cvt_f16_i16_e32 v8, s7
	s_lshr_b32 s27, s11, 20
	s_cmp_lg_u32 s0, 0
	v_readfirstlane_b32 s0, v13
	s_cselect_b32 s28, -1, 0
	s_cmp_gt_u32 s15, 0x477fffff
	v_readfirstlane_b32 s17, v6
	s_cselect_b32 s11, -1, 0
	s_cmp_lt_u32 s15, 0x47800000
	v_and_b32_e32 v9, 0xffff, v8
	s_cselect_b32 s24, -1, 0
	s_cmp_gt_u32 s15, 0x37ffffff
	s_cselect_b32 s19, -1, 0
	s_bfe_u32 s14, s1, 0x10015
	s_and_b32 s0, s0, 0xff
	s_add_i32 s1, s1, s14
	s_delay_alu instid0(SALU_CYCLE_1) | instskip(NEXT) | instid1(SALU_CYCLE_1)
	s_add_i32 s14, s1, 0x88fffff
	s_lshr_b32 s22, s14, 21
	s_cmp_lg_u32 s0, 0
	v_cmp_eq_u32_e64 s0, 0xff, v2
	s_cselect_b32 s26, -1, 0
	s_cmp_gt_u32 s15, 0x43efffff
	v_cndmask_b32_e64 v2, 0, 1, s12
	s_cselect_b32 s14, -1, 0
	s_cmp_lt_u32 s15, 0x3c800000
	s_cselect_b32 s16, -1, 0
	s_add_i32 s13, s13, 0x407ffff
	v_add_nc_u32_e32 v16, v3, v2
	s_and_b32 s18, s13, 0xff00000
	s_lshr_b32 s13, s13, 20
	s_cmp_lg_u32 s18, 0x7f00000
	v_add_nc_u32_e32 v2, 0x7fff, v5
	s_cselect_b32 s20, s13, 0x7e
	s_cmp_lt_u32 s15, 0x38800000
	v_cmp_ne_u16_e64 s18, s7, 0
	s_cselect_b32 s12, -1, 0
	s_add_i32 s1, s1, 0x80fffff
	v_lshrrev_b32_e32 v11, 16, v2
	s_lshr_b32 s13, s1, 21
	s_cmp_gt_u32 s15, 0x7f800000
	s_movk_i32 s1, 0x7f
	v_readfirstlane_b32 s15, v7
	v_cndmask_b32_e64 v10, 0, 1, s18
	s_cselect_b32 s23, s1, 0x7e
	s_movk_i32 s1, 0x7c
	s_delay_alu instid0(SALU_CYCLE_1)
	s_cselect_b32 s18, 0x7f, s1
	v_cmpx_gt_i32_e64 s29, v15
	s_cbranch_execz .LBB38_100
; %bb.2:
	v_mul_lo_u32 v2, v15, s6
	v_and_b32_e64 v17, 0xff, s9
	s_delay_alu instid0(VALU_DEP_1) | instskip(NEXT) | instid1(VALU_DEP_3)
	v_cmp_gt_i16_e32 vcc_lo, 11, v17
	v_ashrrev_i32_e32 v3, 31, v2
	v_add_co_u32 v6, s1, s4, v2
	s_delay_alu instid0(VALU_DEP_1)
	v_add_co_ci_u32_e64 v7, s1, s5, v3, s1
	s_cbranch_vccnz .LBB38_9
; %bb.3:
	v_cmp_lt_i16_e32 vcc_lo, 25, v17
	s_cbranch_vccz .LBB38_12
; %bb.4:
	v_cmp_lt_i16_e32 vcc_lo, 28, v17
	s_cbranch_vccz .LBB38_13
	;; [unrolled: 3-line block ×4, first 2 shown]
; %bb.7:
	v_cmp_eq_u16_e32 vcc_lo, 46, v17
	s_mov_b32 s34, 0
	s_mov_b32 s1, -1
	s_cbranch_vccz .LBB38_16
; %bb.8:
	s_mov_b32 s30, -1
	s_mov_b32 s1, 0
	global_store_b32 v[6:7], v11, off
	s_branch .LBB38_16
.LBB38_9:
	s_mov_b32 s1, 0
	s_and_b32 vcc_lo, exec_lo, s34
	s_cbranch_vccnz .LBB38_60
.LBB38_10:
	s_and_not1_b32 vcc_lo, exec_lo, s30
	s_cbranch_vccnz .LBB38_98
.LBB38_11:
	v_add_nc_u32_e32 v15, 0x80, v15
	s_mov_b32 s34, -1
	s_branch .LBB38_99
.LBB38_12:
	s_mov_b32 s1, 0
	s_and_b32 vcc_lo, exec_lo, s34
	s_cbranch_vccnz .LBB38_38
	s_branch .LBB38_59
.LBB38_13:
	s_mov_b32 s1, 0
	s_branch .LBB38_24
.LBB38_14:
	s_mov_b32 s1, 0
	s_branch .LBB38_20
.LBB38_15:
	s_mov_b32 s1, 0
.LBB38_16:
	s_and_b32 vcc_lo, exec_lo, s34
	s_cbranch_vccz .LBB38_19
; %bb.17:
	v_cmp_eq_u16_e32 vcc_lo, 44, v17
	s_mov_b32 s1, -1
	s_cbranch_vccz .LBB38_19
; %bb.18:
	v_cndmask_b32_e64 v2, v16, 0xff, s0
	s_mov_b32 s30, -1
	s_mov_b32 s1, 0
	s_mov_b32 s34, 0
	global_store_b8 v[6:7], v2, off
	s_branch .LBB38_20
.LBB38_19:
	s_mov_b32 s34, 0
.LBB38_20:
	s_delay_alu instid0(SALU_CYCLE_1)
	s_and_b32 vcc_lo, exec_lo, s34
	s_cbranch_vccz .LBB38_23
; %bb.21:
	v_cmp_eq_u16_e32 vcc_lo, 29, v17
	s_mov_b32 s1, -1
	s_cbranch_vccz .LBB38_23
; %bb.22:
	v_dual_mov_b32 v2, s2 :: v_dual_mov_b32 v3, s3
	s_mov_b32 s30, -1
	s_mov_b32 s1, 0
	s_mov_b32 s34, 0
	global_store_b64 v[6:7], v[2:3], off
	s_branch .LBB38_24
.LBB38_23:
	s_mov_b32 s34, 0
.LBB38_24:
	s_delay_alu instid0(SALU_CYCLE_1)
	s_and_b32 vcc_lo, exec_lo, s34
	s_cbranch_vccz .LBB38_37
; %bb.25:
	v_cmp_gt_i16_e32 vcc_lo, 27, v17
	s_mov_b32 s30, -1
	s_cbranch_vccnz .LBB38_31
; %bb.26:
	v_cmp_lt_i16_e32 vcc_lo, 27, v17
	s_cbranch_vccz .LBB38_28
; %bb.27:
	v_mov_b32_e32 v2, s2
	s_mov_b32 s30, 0
	global_store_b32 v[6:7], v2, off
.LBB38_28:
	s_and_not1_b32 vcc_lo, exec_lo, s30
	s_cbranch_vccnz .LBB38_30
; %bb.29:
	v_mov_b32_e32 v2, s7
	global_store_b16 v[6:7], v2, off
.LBB38_30:
	s_mov_b32 s30, 0
.LBB38_31:
	s_delay_alu instid0(SALU_CYCLE_1)
	s_and_not1_b32 vcc_lo, exec_lo, s30
	s_cbranch_vccnz .LBB38_36
; %bb.32:
	v_mov_b32_e32 v2, 0x80
	s_and_not1_b32 vcc_lo, exec_lo, s25
	s_cbranch_vccnz .LBB38_35
; %bb.33:
	v_mov_b32_e32 v2, 0
	s_or_b32 s30, s21, s28
	s_delay_alu instid0(SALU_CYCLE_1)
	s_and_not1_b32 vcc_lo, exec_lo, s30
	s_cbranch_vccnz .LBB38_35
; %bb.34:
	v_cndmask_b32_e64 v2, v14, s27, s21
	s_delay_alu instid0(VALU_DEP_1)
	v_or_b32_e32 v2, v2, v12
.LBB38_35:
	global_store_b8 v[6:7], v2, off
.LBB38_36:
	s_mov_b32 s30, -1
.LBB38_37:
	s_branch .LBB38_59
.LBB38_38:
	v_cmp_lt_i16_e32 vcc_lo, 22, v17
	s_mov_b32 s34, -1
	s_cbranch_vccz .LBB38_51
; %bb.39:
	v_cmp_gt_i16_e32 vcc_lo, 24, v17
	s_mov_b32 s30, -1
	s_cbranch_vccnz .LBB38_48
; %bb.40:
	v_cmp_lt_i16_e32 vcc_lo, 24, v17
	s_cbranch_vccz .LBB38_45
; %bb.41:
	v_mov_b32_e32 v2, 0x80
	s_and_not1_b32 vcc_lo, exec_lo, s24
	s_cbranch_vccnz .LBB38_44
; %bb.42:
	v_mov_b32_e32 v2, 0
	s_or_b32 s30, s19, s26
	s_delay_alu instid0(SALU_CYCLE_1)
	s_and_not1_b32 vcc_lo, exec_lo, s30
	s_cbranch_vccnz .LBB38_44
; %bb.43:
	v_cndmask_b32_e64 v2, v13, s22, s19
	s_delay_alu instid0(VALU_DEP_1)
	v_or_b32_e32 v2, v2, v12
.LBB38_44:
	s_mov_b32 s30, 0
	global_store_b8 v[6:7], v2, off
.LBB38_45:
	s_and_b32 vcc_lo, exec_lo, s30
	s_cbranch_vccz .LBB38_47
; %bb.46:
	s_and_b32 s30, s16, exec_lo
	s_cselect_b32 s30, s17, s20
	s_and_b32 s34, s14, exec_lo
	s_cselect_b32 s30, s23, s30
	s_delay_alu instid0(SALU_CYCLE_1)
	v_or_b32_e32 v2, s30, v12
	global_store_b8 v[6:7], v2, off
.LBB38_47:
	s_mov_b32 s30, 0
.LBB38_48:
	s_delay_alu instid0(SALU_CYCLE_1)
	s_and_not1_b32 vcc_lo, exec_lo, s30
	s_cbranch_vccnz .LBB38_50
; %bb.49:
	s_and_b32 s30, s12, exec_lo
	s_cselect_b32 s30, s15, s13
	s_and_b32 s34, s11, exec_lo
	s_cselect_b32 s30, s18, s30
	s_delay_alu instid0(SALU_CYCLE_1)
	v_or_b32_e32 v2, s30, v12
	global_store_b8 v[6:7], v2, off
.LBB38_50:
	s_mov_b32 s34, 0
	s_mov_b32 s30, -1
.LBB38_51:
	s_and_not1_b32 vcc_lo, exec_lo, s34
	s_cbranch_vccnz .LBB38_59
; %bb.52:
	v_cmp_lt_i16_e32 vcc_lo, 14, v17
	s_mov_b32 s34, -1
	s_cbranch_vccz .LBB38_56
; %bb.53:
	v_cmp_eq_u16_e32 vcc_lo, 15, v17
	s_mov_b32 s1, -1
	s_cbranch_vccz .LBB38_55
; %bb.54:
	s_mov_b32 s30, -1
	s_mov_b32 s1, 0
	global_store_b16 v[6:7], v11, off
.LBB38_55:
	s_mov_b32 s34, 0
.LBB38_56:
	s_delay_alu instid0(SALU_CYCLE_1)
	s_and_b32 vcc_lo, exec_lo, s34
	s_cbranch_vccz .LBB38_59
; %bb.57:
	v_cmp_eq_u16_e32 vcc_lo, 11, v17
	s_mov_b32 s1, -1
	s_cbranch_vccz .LBB38_59
; %bb.58:
	s_mov_b32 s30, -1
	s_mov_b32 s1, 0
	global_store_b8 v[6:7], v10, off
.LBB38_59:
	s_branch .LBB38_10
.LBB38_60:
	v_cmp_gt_i16_e32 vcc_lo, 5, v17
	s_mov_b32 s30, -1
	s_cbranch_vccnz .LBB38_81
; %bb.61:
	v_cmp_gt_i16_e32 vcc_lo, 8, v17
	s_cbranch_vccnz .LBB38_71
; %bb.62:
	v_cmp_gt_i16_e32 vcc_lo, 9, v17
	s_cbranch_vccnz .LBB38_68
; %bb.63:
	v_cmp_lt_i16_e32 vcc_lo, 9, v17
	s_cbranch_vccz .LBB38_65
; %bb.64:
	v_mov_b32_e32 v2, 0
	s_mov_b32 s30, 0
	s_delay_alu instid0(VALU_DEP_1)
	v_mov_b32_e32 v3, v2
	global_store_b128 v[6:7], v[0:3], off
.LBB38_65:
	s_and_not1_b32 vcc_lo, exec_lo, s30
	s_cbranch_vccnz .LBB38_67
; %bb.66:
	v_mov_b32_e32 v5, 0
	global_store_b64 v[6:7], v[4:5], off
.LBB38_67:
	s_mov_b32 s30, 0
.LBB38_68:
	s_delay_alu instid0(SALU_CYCLE_1)
	s_and_not1_b32 vcc_lo, exec_lo, s30
	s_cbranch_vccnz .LBB38_70
; %bb.69:
	global_store_b32 v[6:7], v9, off
.LBB38_70:
	s_mov_b32 s30, 0
.LBB38_71:
	s_delay_alu instid0(SALU_CYCLE_1)
	s_and_not1_b32 vcc_lo, exec_lo, s30
	s_cbranch_vccnz .LBB38_80
; %bb.72:
	v_cmp_gt_i16_e32 vcc_lo, 6, v17
	s_mov_b32 s30, -1
	s_cbranch_vccnz .LBB38_78
; %bb.73:
	v_cmp_lt_i16_e32 vcc_lo, 6, v17
	s_cbranch_vccz .LBB38_75
; %bb.74:
	s_mov_b32 s30, 0
	global_store_b64 v[6:7], v[0:1], off
.LBB38_75:
	s_and_not1_b32 vcc_lo, exec_lo, s30
	s_cbranch_vccnz .LBB38_77
; %bb.76:
	global_store_b32 v[6:7], v4, off
.LBB38_77:
	s_mov_b32 s30, 0
.LBB38_78:
	s_delay_alu instid0(SALU_CYCLE_1)
	s_and_not1_b32 vcc_lo, exec_lo, s30
	s_cbranch_vccnz .LBB38_80
; %bb.79:
	global_store_b16 v[6:7], v8, off
.LBB38_80:
	s_mov_b32 s30, 0
.LBB38_81:
	s_delay_alu instid0(SALU_CYCLE_1)
	s_and_not1_b32 vcc_lo, exec_lo, s30
	s_cbranch_vccnz .LBB38_97
; %bb.82:
	v_cmp_gt_i16_e32 vcc_lo, 2, v17
	s_mov_b32 s30, -1
	s_cbranch_vccnz .LBB38_92
; %bb.83:
	v_cmp_gt_i16_e32 vcc_lo, 3, v17
	s_cbranch_vccnz .LBB38_89
; %bb.84:
	v_cmp_lt_i16_e32 vcc_lo, 3, v17
	s_cbranch_vccz .LBB38_86
; %bb.85:
	v_dual_mov_b32 v2, s2 :: v_dual_mov_b32 v3, s3
	s_mov_b32 s30, 0
	global_store_b64 v[6:7], v[2:3], off
.LBB38_86:
	s_and_not1_b32 vcc_lo, exec_lo, s30
	s_cbranch_vccnz .LBB38_88
; %bb.87:
	v_mov_b32_e32 v2, s2
	global_store_b32 v[6:7], v2, off
.LBB38_88:
	s_mov_b32 s30, 0
.LBB38_89:
	s_delay_alu instid0(SALU_CYCLE_1)
	s_and_not1_b32 vcc_lo, exec_lo, s30
	s_cbranch_vccnz .LBB38_91
; %bb.90:
	v_mov_b32_e32 v2, s7
	global_store_b16 v[6:7], v2, off
.LBB38_91:
	s_mov_b32 s30, 0
.LBB38_92:
	s_delay_alu instid0(SALU_CYCLE_1)
	s_and_not1_b32 vcc_lo, exec_lo, s30
	s_cbranch_vccnz .LBB38_97
; %bb.93:
	v_cmp_lt_i16_e32 vcc_lo, 0, v17
	s_mov_b32 s30, -1
	s_cbranch_vccz .LBB38_95
; %bb.94:
	v_mov_b32_e32 v2, s7
	s_mov_b32 s30, 0
	global_store_b8 v[6:7], v2, off
.LBB38_95:
	s_and_not1_b32 vcc_lo, exec_lo, s30
	s_cbranch_vccnz .LBB38_97
; %bb.96:
	v_mov_b32_e32 v2, s7
	global_store_b8 v[6:7], v2, off
.LBB38_97:
	s_branch .LBB38_11
.LBB38_98:
	s_mov_b32 s34, 0
                                        ; implicit-def: $vgpr15
.LBB38_99:
	s_and_b32 s30, s1, exec_lo
	s_or_not1_b32 s34, s34, exec_lo
.LBB38_100:
	s_or_b32 exec_lo, exec_lo, s31
	s_mov_b32 s1, 0
                                        ; implicit-def: $vgpr17
                                        ; implicit-def: $vgpr6_vgpr7
	s_and_saveexec_b32 s31, s34
	s_cbranch_execz .LBB38_109
; %bb.101:
	s_mov_b32 s1, -1
	s_mov_b32 s33, s30
	s_mov_b32 s34, exec_lo
	v_cmpx_gt_i32_e64 s29, v15
	s_cbranch_execz .LBB38_326
; %bb.102:
	v_mul_lo_u32 v2, v15, s6
	v_and_b32_e64 v17, 0xff, s9
	s_delay_alu instid0(VALU_DEP_1) | instskip(NEXT) | instid1(VALU_DEP_3)
	v_cmp_gt_i16_e32 vcc_lo, 11, v17
	v_ashrrev_i32_e32 v3, 31, v2
	v_add_co_u32 v6, s1, s4, v2
	s_delay_alu instid0(VALU_DEP_1)
	v_add_co_ci_u32_e64 v7, s1, s5, v3, s1
	s_cbranch_vccnz .LBB38_219
; %bb.103:
	v_cmp_lt_i16_e32 vcc_lo, 25, v17
	s_cbranch_vccz .LBB38_222
; %bb.104:
	v_cmp_lt_i16_e32 vcc_lo, 28, v17
	s_cbranch_vccz .LBB38_223
	;; [unrolled: 3-line block ×4, first 2 shown]
; %bb.107:
	v_cmp_eq_u16_e32 vcc_lo, 46, v17
	s_mov_b32 s35, 0
	s_mov_b32 s1, -1
	s_mov_b32 s33, 0
	s_cbranch_vccz .LBB38_241
; %bb.108:
	s_mov_b32 s33, -1
	s_mov_b32 s1, 0
	global_store_b32 v[6:7], v11, off
	s_branch .LBB38_241
.LBB38_109:
	s_or_b32 exec_lo, exec_lo, s31
	s_mov_b32 s0, 0
	s_and_saveexec_b32 s11, s30
	s_cbranch_execnz .LBB38_791
.LBB38_110:
	s_or_b32 exec_lo, exec_lo, s11
	s_and_saveexec_b32 s11, s33
	s_delay_alu instid0(SALU_CYCLE_1)
	s_xor_b32 s11, exec_lo, s11
	s_cbranch_execz .LBB38_112
.LBB38_111:
	global_store_b8 v[6:7], v10, off
.LBB38_112:
	s_or_b32 exec_lo, exec_lo, s11
	s_and_saveexec_b32 s11, s1
	s_delay_alu instid0(SALU_CYCLE_1)
	s_xor_b32 s1, exec_lo, s11
	s_cbranch_execz .LBB38_150
; %bb.113:
	v_cmp_gt_i16_e32 vcc_lo, 5, v17
	s_mov_b32 s11, -1
	s_cbranch_vccnz .LBB38_134
; %bb.114:
	v_cmp_gt_i16_e32 vcc_lo, 8, v17
	s_cbranch_vccnz .LBB38_124
; %bb.115:
	v_cmp_gt_i16_e32 vcc_lo, 9, v17
	s_cbranch_vccnz .LBB38_121
; %bb.116:
	v_cmp_lt_i16_e32 vcc_lo, 9, v17
	s_cbranch_vccz .LBB38_118
; %bb.117:
	v_mov_b32_e32 v2, 0
	s_mov_b32 s11, 0
	s_delay_alu instid0(VALU_DEP_1)
	v_mov_b32_e32 v3, v2
	global_store_b128 v[6:7], v[0:3], off
.LBB38_118:
	s_and_not1_b32 vcc_lo, exec_lo, s11
	s_cbranch_vccnz .LBB38_120
; %bb.119:
	v_mov_b32_e32 v5, 0
	global_store_b64 v[6:7], v[4:5], off
.LBB38_120:
	s_mov_b32 s11, 0
.LBB38_121:
	s_delay_alu instid0(SALU_CYCLE_1)
	s_and_not1_b32 vcc_lo, exec_lo, s11
	s_cbranch_vccnz .LBB38_123
; %bb.122:
	global_store_b32 v[6:7], v9, off
.LBB38_123:
	s_mov_b32 s11, 0
.LBB38_124:
	s_delay_alu instid0(SALU_CYCLE_1)
	s_and_not1_b32 vcc_lo, exec_lo, s11
	s_cbranch_vccnz .LBB38_133
; %bb.125:
	v_cmp_gt_i16_e32 vcc_lo, 6, v17
	s_mov_b32 s11, -1
	s_cbranch_vccnz .LBB38_131
; %bb.126:
	v_cmp_lt_i16_e32 vcc_lo, 6, v17
	s_cbranch_vccz .LBB38_128
; %bb.127:
	s_mov_b32 s11, 0
	global_store_b64 v[6:7], v[0:1], off
.LBB38_128:
	s_and_not1_b32 vcc_lo, exec_lo, s11
	s_cbranch_vccnz .LBB38_130
; %bb.129:
	global_store_b32 v[6:7], v4, off
.LBB38_130:
	s_mov_b32 s11, 0
.LBB38_131:
	s_delay_alu instid0(SALU_CYCLE_1)
	s_and_not1_b32 vcc_lo, exec_lo, s11
	s_cbranch_vccnz .LBB38_133
; %bb.132:
	global_store_b16 v[6:7], v8, off
.LBB38_133:
	s_mov_b32 s11, 0
.LBB38_134:
	s_delay_alu instid0(SALU_CYCLE_1)
	s_and_not1_b32 vcc_lo, exec_lo, s11
	s_cbranch_vccnz .LBB38_150
; %bb.135:
	v_cmp_gt_i16_e32 vcc_lo, 2, v17
	s_mov_b32 s11, -1
	s_cbranch_vccnz .LBB38_145
; %bb.136:
	v_cmp_gt_i16_e32 vcc_lo, 3, v17
	s_cbranch_vccnz .LBB38_142
; %bb.137:
	v_cmp_lt_i16_e32 vcc_lo, 3, v17
	s_cbranch_vccz .LBB38_139
; %bb.138:
	v_dual_mov_b32 v0, s2 :: v_dual_mov_b32 v1, s3
	s_mov_b32 s11, 0
	global_store_b64 v[6:7], v[0:1], off
.LBB38_139:
	s_and_not1_b32 vcc_lo, exec_lo, s11
	s_cbranch_vccnz .LBB38_141
; %bb.140:
	v_mov_b32_e32 v0, s2
	global_store_b32 v[6:7], v0, off
.LBB38_141:
	s_mov_b32 s11, 0
.LBB38_142:
	s_delay_alu instid0(SALU_CYCLE_1)
	s_and_not1_b32 vcc_lo, exec_lo, s11
	s_cbranch_vccnz .LBB38_144
; %bb.143:
	v_mov_b32_e32 v0, s7
	global_store_b16 v[6:7], v0, off
.LBB38_144:
	s_mov_b32 s11, 0
.LBB38_145:
	s_delay_alu instid0(SALU_CYCLE_1)
	s_and_not1_b32 vcc_lo, exec_lo, s11
	s_cbranch_vccnz .LBB38_150
; %bb.146:
	v_cmp_lt_i16_e32 vcc_lo, 0, v17
	s_mov_b32 s2, -1
	s_cbranch_vccz .LBB38_148
; %bb.147:
	v_mov_b32_e32 v0, s7
	s_mov_b32 s2, 0
	global_store_b8 v[6:7], v0, off
.LBB38_148:
	s_and_not1_b32 vcc_lo, exec_lo, s2
	s_cbranch_vccnz .LBB38_150
; %bb.149:
	v_mov_b32_e32 v0, s7
	global_store_b8 v[6:7], v0, off
.LBB38_150:
	s_or_b32 exec_lo, exec_lo, s1
	s_delay_alu instid0(SALU_CYCLE_1)
	s_and_b32 s1, s0, exec_lo
                                        ; implicit-def: $vgpr15
.LBB38_151:
	s_or_saveexec_b32 s2, s10
	s_mov_b32 s0, 0
                                        ; implicit-def: $vgpr2
                                        ; implicit-def: $vgpr0_vgpr1
	s_xor_b32 exec_lo, exec_lo, s2
	s_cbranch_execz .LBB38_685
; %bb.152:
	v_mul_lo_u32 v3, s6, v15
	v_and_b32_e64 v2, 0xff, s9
	s_delay_alu instid0(VALU_DEP_1) | instskip(NEXT) | instid1(VALU_DEP_3)
	v_cmp_gt_i16_e32 vcc_lo, 11, v2
	v_ashrrev_i32_e32 v1, 31, v3
	v_add_co_u32 v0, s0, s4, v3
	s_delay_alu instid0(VALU_DEP_1)
	v_add_co_ci_u32_e64 v1, s0, s5, v1, s0
	s_cbranch_vccnz .LBB38_180
; %bb.153:
	v_cmp_lt_i16_e32 vcc_lo, 25, v2
	s_mov_b32 s3, -1
	s_mov_b32 s9, 0
	s_mov_b32 s0, 0
	s_cbranch_vccz .LBB38_233
; %bb.154:
	v_cmp_lt_i16_e32 vcc_lo, 28, v2
	s_cbranch_vccz .LBB38_169
; %bb.155:
	v_cmp_lt_i16_e32 vcc_lo, 43, v2
	;; [unrolled: 3-line block ×3, first 2 shown]
	s_cbranch_vccz .LBB38_159
; %bb.157:
	v_cmp_eq_u16_e32 vcc_lo, 46, v2
	s_mov_b32 s0, -1
	s_mov_b32 s3, 0
	s_cbranch_vccz .LBB38_159
; %bb.158:
	s_sext_i32_i16 s0, s7
	s_mov_b32 s9, -1
	v_cvt_f32_i32_e32 v4, s0
	s_mov_b32 s0, 0
	s_delay_alu instid0(VALU_DEP_1) | instskip(NEXT) | instid1(VALU_DEP_1)
	v_bfe_u32 v5, v4, 16, 1
	v_add_nc_u32_e32 v4, v4, v5
	s_delay_alu instid0(VALU_DEP_1) | instskip(NEXT) | instid1(VALU_DEP_1)
	v_add_nc_u32_e32 v4, 0x7fff, v4
	v_lshrrev_b32_e32 v4, 16, v4
	global_store_b32 v[0:1], v4, off
.LBB38_159:
	s_and_b32 vcc_lo, exec_lo, s3
	s_cbranch_vccz .LBB38_164
; %bb.160:
	v_cmp_eq_u16_e32 vcc_lo, 44, v2
	s_mov_b32 s0, -1
	s_cbranch_vccz .LBB38_164
; %bb.161:
	s_sext_i32_i16 s0, s7
	v_mov_b32_e32 v5, 0xff
	v_cvt_f32_i32_e32 v4, s0
	s_delay_alu instid0(VALU_DEP_1) | instskip(NEXT) | instid1(VALU_DEP_1)
	v_readfirstlane_b32 s0, v4
	s_bfe_u32 s3, s0, 0x80017
	s_delay_alu instid0(SALU_CYCLE_1)
	s_cmpk_eq_i32 s3, 0xff
	s_cbranch_scc1 .LBB38_163
; %bb.162:
	s_bitcmp1_b32 s0, 22
	v_lshrrev_b32_e32 v4, 23, v4
	s_cselect_b32 s9, -1, 0
	s_and_b32 s0, s0, 0x3fffff
	s_delay_alu instid0(SALU_CYCLE_1) | instskip(NEXT) | instid1(SALU_CYCLE_1)
	s_or_b32 s0, s3, s0
	s_cmp_lg_u32 s0, 0
	s_cselect_b32 s0, -1, 0
	s_delay_alu instid0(SALU_CYCLE_1) | instskip(NEXT) | instid1(SALU_CYCLE_1)
	s_and_b32 s0, s9, s0
	v_cndmask_b32_e64 v5, 0, 1, s0
	s_delay_alu instid0(VALU_DEP_1)
	v_add_nc_u32_e32 v5, v4, v5
.LBB38_163:
	s_mov_b32 s0, 0
	s_mov_b32 s9, -1
	global_store_b8 v[0:1], v5, off
.LBB38_164:
	s_mov_b32 s3, 0
.LBB38_165:
	s_delay_alu instid0(SALU_CYCLE_1)
	s_and_b32 vcc_lo, exec_lo, s3
	s_cbranch_vccz .LBB38_168
; %bb.166:
	v_cmp_eq_u16_e32 vcc_lo, 29, v2
	s_mov_b32 s0, -1
	s_cbranch_vccz .LBB38_168
; %bb.167:
	s_sext_i32_i16 s0, s7
	s_mov_b32 s9, -1
	s_ashr_i32 s3, s0, 31
	s_delay_alu instid0(SALU_CYCLE_1)
	v_dual_mov_b32 v4, s0 :: v_dual_mov_b32 v5, s3
	s_mov_b32 s0, 0
	global_store_b64 v[0:1], v[4:5], off
.LBB38_168:
	s_mov_b32 s3, 0
.LBB38_169:
	s_delay_alu instid0(SALU_CYCLE_1)
	s_and_b32 vcc_lo, exec_lo, s3
	s_cbranch_vccz .LBB38_232
; %bb.170:
	v_cmp_gt_i16_e32 vcc_lo, 27, v2
	s_mov_b32 s3, -1
	s_cbranch_vccnz .LBB38_176
; %bb.171:
	v_cmp_lt_i16_e32 vcc_lo, 27, v2
	s_cbranch_vccz .LBB38_173
; %bb.172:
	s_sext_i32_i16 s3, s7
	s_delay_alu instid0(SALU_CYCLE_1)
	v_mov_b32_e32 v4, s3
	s_mov_b32 s3, 0
	global_store_b32 v[0:1], v4, off
.LBB38_173:
	s_and_not1_b32 vcc_lo, exec_lo, s3
	s_cbranch_vccnz .LBB38_175
; %bb.174:
	v_mov_b32_e32 v4, s7
	global_store_b16 v[0:1], v4, off
.LBB38_175:
	s_mov_b32 s3, 0
.LBB38_176:
	s_delay_alu instid0(SALU_CYCLE_1)
	s_and_not1_b32 vcc_lo, exec_lo, s3
	s_cbranch_vccnz .LBB38_231
; %bb.177:
	s_sext_i32_i16 s3, s7
	v_mov_b32_e32 v5, 0x80
	v_cvt_f32_i32_e32 v4, s3
	s_delay_alu instid0(VALU_DEP_1) | instskip(NEXT) | instid1(VALU_DEP_1)
	v_readfirstlane_b32 s3, v4
	s_and_b32 s9, s3, 0x7fffffff
	s_delay_alu instid0(SALU_CYCLE_1)
	s_cmp_gt_u32 s9, 0x437fffff
	s_cbranch_scc1 .LBB38_230
; %bb.178:
	s_cmp_gt_u32 s9, 0x3bffffff
	s_cbranch_scc0 .LBB38_225
; %bb.179:
	s_bfe_u32 s9, s3, 0x10014
	s_mov_b32 s10, 0
	s_add_i32 s9, s3, s9
	s_delay_alu instid0(SALU_CYCLE_1) | instskip(NEXT) | instid1(SALU_CYCLE_1)
	s_add_i32 s9, s9, 0x487ffff
	s_lshr_b32 s11, s9, 20
	s_mov_b32 s9, -1
	s_branch .LBB38_226
.LBB38_180:
	s_mov_b32 s9, 0
	s_mov_b32 s3, s1
	s_cbranch_execz .LBB38_382
; %bb.181:
	v_cmp_gt_i16_e32 vcc_lo, 5, v2
	s_mov_b32 s0, -1
	s_cbranch_vccnz .LBB38_202
; %bb.182:
	v_cmp_gt_i16_e32 vcc_lo, 8, v2
	s_cbranch_vccnz .LBB38_192
; %bb.183:
	v_cmp_gt_i16_e32 vcc_lo, 9, v2
	s_cbranch_vccnz .LBB38_189
; %bb.184:
	v_cmp_lt_i16_e32 vcc_lo, 9, v2
	s_cbranch_vccz .LBB38_186
; %bb.185:
	s_sext_i32_i16 s0, s7
	v_mov_b32_e32 v6, 0
	v_cvt_f64_i32_e32 v[4:5], s0
	s_mov_b32 s0, 0
	s_delay_alu instid0(VALU_DEP_2)
	v_mov_b32_e32 v7, v6
	global_store_b128 v[0:1], v[4:7], off
.LBB38_186:
	s_and_not1_b32 vcc_lo, exec_lo, s0
	s_cbranch_vccnz .LBB38_188
; %bb.187:
	s_sext_i32_i16 s0, s7
	v_mov_b32_e32 v5, 0
	v_cvt_f32_i32_e32 v4, s0
	global_store_b64 v[0:1], v[4:5], off
.LBB38_188:
	s_mov_b32 s0, 0
.LBB38_189:
	s_delay_alu instid0(SALU_CYCLE_1)
	s_and_not1_b32 vcc_lo, exec_lo, s0
	s_cbranch_vccnz .LBB38_191
; %bb.190:
	v_cvt_f16_i16_e32 v4, s7
	s_delay_alu instid0(VALU_DEP_1)
	v_and_b32_e32 v4, 0xffff, v4
	global_store_b32 v[0:1], v4, off
.LBB38_191:
	s_mov_b32 s0, 0
.LBB38_192:
	s_delay_alu instid0(SALU_CYCLE_1)
	s_and_not1_b32 vcc_lo, exec_lo, s0
	s_cbranch_vccnz .LBB38_201
; %bb.193:
	v_cmp_gt_i16_e32 vcc_lo, 6, v2
	s_mov_b32 s0, -1
	s_cbranch_vccnz .LBB38_199
; %bb.194:
	v_cmp_lt_i16_e32 vcc_lo, 6, v2
	s_cbranch_vccz .LBB38_196
; %bb.195:
	s_sext_i32_i16 s0, s7
	s_delay_alu instid0(SALU_CYCLE_1)
	v_cvt_f64_i32_e32 v[4:5], s0
	s_mov_b32 s0, 0
	global_store_b64 v[0:1], v[4:5], off
.LBB38_196:
	s_and_not1_b32 vcc_lo, exec_lo, s0
	s_cbranch_vccnz .LBB38_198
; %bb.197:
	s_sext_i32_i16 s0, s7
	s_delay_alu instid0(SALU_CYCLE_1)
	v_cvt_f32_i32_e32 v4, s0
	global_store_b32 v[0:1], v4, off
.LBB38_198:
	s_mov_b32 s0, 0
.LBB38_199:
	s_delay_alu instid0(SALU_CYCLE_1)
	s_and_not1_b32 vcc_lo, exec_lo, s0
	s_cbranch_vccnz .LBB38_201
; %bb.200:
	v_cvt_f16_i16_e32 v4, s7
	global_store_b16 v[0:1], v4, off
.LBB38_201:
	s_mov_b32 s0, 0
.LBB38_202:
	s_delay_alu instid0(SALU_CYCLE_1)
	s_and_not1_b32 vcc_lo, exec_lo, s0
	s_cbranch_vccnz .LBB38_218
; %bb.203:
	v_cmp_gt_i16_e32 vcc_lo, 2, v2
	s_mov_b32 s0, -1
	s_cbranch_vccnz .LBB38_213
; %bb.204:
	v_cmp_gt_i16_e32 vcc_lo, 3, v2
	s_cbranch_vccnz .LBB38_210
; %bb.205:
	v_cmp_lt_i16_e32 vcc_lo, 3, v2
	s_cbranch_vccz .LBB38_207
; %bb.206:
	s_sext_i32_i16 s0, s7
	s_delay_alu instid0(SALU_CYCLE_1) | instskip(NEXT) | instid1(SALU_CYCLE_1)
	s_ashr_i32 s8, s0, 31
	v_dual_mov_b32 v4, s0 :: v_dual_mov_b32 v5, s8
	s_mov_b32 s0, 0
	global_store_b64 v[0:1], v[4:5], off
.LBB38_207:
	s_and_not1_b32 vcc_lo, exec_lo, s0
	s_cbranch_vccnz .LBB38_209
; %bb.208:
	s_sext_i32_i16 s0, s7
	s_delay_alu instid0(SALU_CYCLE_1)
	v_mov_b32_e32 v4, s0
	global_store_b32 v[0:1], v4, off
.LBB38_209:
	s_mov_b32 s0, 0
.LBB38_210:
	s_delay_alu instid0(SALU_CYCLE_1)
	s_and_not1_b32 vcc_lo, exec_lo, s0
	s_cbranch_vccnz .LBB38_212
; %bb.211:
	v_mov_b32_e32 v4, s7
	global_store_b16 v[0:1], v4, off
.LBB38_212:
	s_mov_b32 s0, 0
.LBB38_213:
	s_delay_alu instid0(SALU_CYCLE_1)
	s_and_not1_b32 vcc_lo, exec_lo, s0
	s_cbranch_vccnz .LBB38_218
; %bb.214:
	v_cmp_lt_i16_e32 vcc_lo, 0, v2
	s_mov_b32 s0, -1
	s_cbranch_vccz .LBB38_216
; %bb.215:
	v_mov_b32_e32 v4, s7
	s_mov_b32 s0, 0
	global_store_b8 v[0:1], v4, off
.LBB38_216:
	s_and_not1_b32 vcc_lo, exec_lo, s0
	s_cbranch_vccnz .LBB38_218
; %bb.217:
	v_mov_b32_e32 v4, s7
	global_store_b8 v[0:1], v4, off
.LBB38_218:
	s_branch .LBB38_383
.LBB38_219:
	s_mov_b32 s33, 0
	s_mov_b32 s1, s30
	s_cbranch_execnz .LBB38_286
.LBB38_220:
	s_and_not1_b32 vcc_lo, exec_lo, s33
	s_cbranch_vccnz .LBB38_324
.LBB38_221:
	v_add_nc_u32_e32 v15, 0x80, v15
	s_mov_b32 s35, -1
	s_branch .LBB38_325
.LBB38_222:
	s_mov_b32 s35, -1
	s_mov_b32 s33, 0
	s_mov_b32 s1, s30
	s_branch .LBB38_263
.LBB38_223:
	s_mov_b32 s35, -1
	s_mov_b32 s33, 0
	s_mov_b32 s1, s30
	s_branch .LBB38_249
.LBB38_224:
	s_mov_b32 s35, -1
	s_mov_b32 s33, 0
	s_mov_b32 s1, s30
	s_branch .LBB38_245
.LBB38_225:
	s_mov_b32 s10, -1
	s_mov_b32 s9, 0
                                        ; implicit-def: $sgpr11
.LBB38_226:
	v_mov_b32_e32 v4, s11
	s_and_not1_b32 vcc_lo, exec_lo, s10
                                        ; implicit-def: $sgpr10
	s_cbranch_vccnz .LBB38_228
; %bb.227:
	v_add_f32_e64 v4, 0x46000000, |s3|
	s_mov_b32 s10, 0
	s_delay_alu instid0(VALU_DEP_1) | instskip(NEXT) | instid1(VALU_DEP_1)
	v_and_b32_e32 v4, 0xff, v4
	v_cmp_ne_u32_e64 s9, 0, v4
.LBB38_228:
	v_mov_b32_e32 v5, s10
	s_delay_alu instid0(VALU_DEP_2)
	s_and_not1_b32 vcc_lo, exec_lo, s9
	s_cbranch_vccnz .LBB38_230
; %bb.229:
	s_lshr_b32 s3, s3, 24
	s_delay_alu instid0(SALU_CYCLE_1) | instskip(NEXT) | instid1(SALU_CYCLE_1)
	s_and_b32 s3, s3, 0x80
	v_or_b32_e32 v5, s3, v4
.LBB38_230:
	global_store_b8 v[0:1], v5, off
.LBB38_231:
	s_mov_b32 s9, -1
.LBB38_232:
	s_mov_b32 s3, 0
.LBB38_233:
	s_delay_alu instid0(SALU_CYCLE_1)
	s_and_b32 vcc_lo, exec_lo, s3
	s_cbranch_vccz .LBB38_378
; %bb.234:
	v_cmp_lt_i16_e32 vcc_lo, 22, v2
	s_mov_b32 s3, -1
	s_cbranch_vccz .LBB38_371
; %bb.235:
	v_cmp_gt_i16_e32 vcc_lo, 24, v2
	s_cbranch_vccnz .LBB38_358
; %bb.236:
	v_cmp_lt_i16_e32 vcc_lo, 24, v2
	s_cbranch_vccz .LBB38_345
; %bb.237:
	s_sext_i32_i16 s3, s7
	v_mov_b32_e32 v5, 0x80
	v_cvt_f32_i32_e32 v4, s3
	s_delay_alu instid0(VALU_DEP_1) | instskip(NEXT) | instid1(VALU_DEP_1)
	v_readfirstlane_b32 s3, v4
	s_and_b32 s8, s3, 0x7fffffff
	s_delay_alu instid0(SALU_CYCLE_1)
	s_cmp_gt_u32 s8, 0x477fffff
	s_cbranch_scc1 .LBB38_344
; %bb.238:
	s_cmp_gt_u32 s8, 0x37ffffff
	s_cbranch_scc0 .LBB38_339
; %bb.239:
	s_bfe_u32 s8, s3, 0x10015
	s_mov_b32 s9, 0
	s_add_i32 s8, s3, s8
	s_delay_alu instid0(SALU_CYCLE_1) | instskip(NEXT) | instid1(SALU_CYCLE_1)
	s_add_i32 s8, s8, 0x88fffff
	s_lshr_b32 s10, s8, 21
	s_mov_b32 s8, -1
	s_branch .LBB38_340
.LBB38_240:
	s_mov_b32 s35, -1
	s_mov_b32 s33, 0
	s_mov_b32 s1, s30
.LBB38_241:
	s_and_b32 vcc_lo, exec_lo, s35
	s_cbranch_vccz .LBB38_244
; %bb.242:
	v_cmp_eq_u16_e32 vcc_lo, 44, v17
	s_mov_b32 s1, -1
	s_cbranch_vccz .LBB38_244
; %bb.243:
	v_cndmask_b32_e64 v2, v16, 0xff, s0
	s_mov_b32 s33, -1
	s_mov_b32 s1, 0
	global_store_b8 v[6:7], v2, off
.LBB38_244:
	s_mov_b32 s35, 0
.LBB38_245:
	s_delay_alu instid0(SALU_CYCLE_1)
	s_and_b32 vcc_lo, exec_lo, s35
	s_cbranch_vccz .LBB38_248
; %bb.246:
	v_cmp_eq_u16_e32 vcc_lo, 29, v17
	s_mov_b32 s1, -1
	s_cbranch_vccz .LBB38_248
; %bb.247:
	v_dual_mov_b32 v2, s2 :: v_dual_mov_b32 v3, s3
	s_mov_b32 s33, -1
	s_mov_b32 s1, 0
	s_mov_b32 s35, 0
	global_store_b64 v[6:7], v[2:3], off
	s_branch .LBB38_249
.LBB38_248:
	s_mov_b32 s35, 0
.LBB38_249:
	s_delay_alu instid0(SALU_CYCLE_1)
	s_and_b32 vcc_lo, exec_lo, s35
	s_cbranch_vccz .LBB38_262
; %bb.250:
	v_cmp_gt_i16_e32 vcc_lo, 27, v17
	s_mov_b32 s33, -1
	s_cbranch_vccnz .LBB38_256
; %bb.251:
	v_cmp_lt_i16_e32 vcc_lo, 27, v17
	s_cbranch_vccz .LBB38_253
; %bb.252:
	v_mov_b32_e32 v2, s2
	s_mov_b32 s33, 0
	global_store_b32 v[6:7], v2, off
.LBB38_253:
	s_and_not1_b32 vcc_lo, exec_lo, s33
	s_cbranch_vccnz .LBB38_255
; %bb.254:
	v_mov_b32_e32 v2, s7
	global_store_b16 v[6:7], v2, off
.LBB38_255:
	s_mov_b32 s33, 0
.LBB38_256:
	s_delay_alu instid0(SALU_CYCLE_1)
	s_and_not1_b32 vcc_lo, exec_lo, s33
	s_cbranch_vccnz .LBB38_261
; %bb.257:
	v_mov_b32_e32 v2, 0x80
	s_and_not1_b32 vcc_lo, exec_lo, s25
	s_cbranch_vccnz .LBB38_260
; %bb.258:
	v_mov_b32_e32 v2, 0
	s_or_b32 s33, s21, s28
	s_delay_alu instid0(SALU_CYCLE_1)
	s_and_not1_b32 vcc_lo, exec_lo, s33
	s_cbranch_vccnz .LBB38_260
; %bb.259:
	v_cndmask_b32_e64 v2, v14, s27, s21
	s_delay_alu instid0(VALU_DEP_1)
	v_or_b32_e32 v2, v2, v12
.LBB38_260:
	global_store_b8 v[6:7], v2, off
.LBB38_261:
	s_mov_b32 s33, -1
.LBB38_262:
	s_mov_b32 s35, 0
.LBB38_263:
	s_delay_alu instid0(SALU_CYCLE_1)
	s_and_b32 vcc_lo, exec_lo, s35
	s_cbranch_vccz .LBB38_285
; %bb.264:
	v_cmp_lt_i16_e32 vcc_lo, 22, v17
	s_mov_b32 s35, -1
	s_cbranch_vccz .LBB38_277
; %bb.265:
	v_cmp_gt_i16_e32 vcc_lo, 24, v17
	s_mov_b32 s33, -1
	s_cbranch_vccnz .LBB38_274
; %bb.266:
	v_cmp_lt_i16_e32 vcc_lo, 24, v17
	s_cbranch_vccz .LBB38_271
; %bb.267:
	v_mov_b32_e32 v2, 0x80
	s_and_not1_b32 vcc_lo, exec_lo, s24
	s_cbranch_vccnz .LBB38_270
; %bb.268:
	v_mov_b32_e32 v2, 0
	s_or_b32 s33, s19, s26
	s_delay_alu instid0(SALU_CYCLE_1)
	s_and_not1_b32 vcc_lo, exec_lo, s33
	s_cbranch_vccnz .LBB38_270
; %bb.269:
	v_cndmask_b32_e64 v2, v13, s22, s19
	s_delay_alu instid0(VALU_DEP_1)
	v_or_b32_e32 v2, v2, v12
.LBB38_270:
	s_mov_b32 s33, 0
	global_store_b8 v[6:7], v2, off
.LBB38_271:
	s_and_b32 vcc_lo, exec_lo, s33
	s_cbranch_vccz .LBB38_273
; %bb.272:
	s_and_b32 s33, s16, exec_lo
	s_cselect_b32 s33, s17, s20
	s_and_b32 s35, s14, exec_lo
	s_cselect_b32 s33, s23, s33
	s_delay_alu instid0(SALU_CYCLE_1)
	v_or_b32_e32 v2, s33, v12
	global_store_b8 v[6:7], v2, off
.LBB38_273:
	s_mov_b32 s33, 0
.LBB38_274:
	s_delay_alu instid0(SALU_CYCLE_1)
	s_and_not1_b32 vcc_lo, exec_lo, s33
	s_cbranch_vccnz .LBB38_276
; %bb.275:
	s_and_b32 s33, s12, exec_lo
	s_cselect_b32 s33, s15, s13
	s_and_b32 s35, s11, exec_lo
	s_cselect_b32 s33, s18, s33
	s_delay_alu instid0(SALU_CYCLE_1)
	v_or_b32_e32 v2, s33, v12
	global_store_b8 v[6:7], v2, off
.LBB38_276:
	s_mov_b32 s35, 0
	s_mov_b32 s33, -1
.LBB38_277:
	s_and_not1_b32 vcc_lo, exec_lo, s35
	s_cbranch_vccnz .LBB38_285
; %bb.278:
	v_cmp_lt_i16_e32 vcc_lo, 14, v17
	s_mov_b32 s35, -1
	s_cbranch_vccz .LBB38_282
; %bb.279:
	v_cmp_eq_u16_e32 vcc_lo, 15, v17
	s_mov_b32 s1, -1
	s_cbranch_vccz .LBB38_281
; %bb.280:
	s_mov_b32 s33, -1
	s_mov_b32 s1, 0
	global_store_b16 v[6:7], v11, off
.LBB38_281:
	s_mov_b32 s35, 0
.LBB38_282:
	s_delay_alu instid0(SALU_CYCLE_1)
	s_and_b32 vcc_lo, exec_lo, s35
	s_cbranch_vccz .LBB38_285
; %bb.283:
	v_cmp_eq_u16_e32 vcc_lo, 11, v17
	s_mov_b32 s1, -1
	s_cbranch_vccz .LBB38_285
; %bb.284:
	s_mov_b32 s33, -1
	s_mov_b32 s1, 0
	global_store_b8 v[6:7], v10, off
.LBB38_285:
	s_branch .LBB38_220
.LBB38_286:
	v_cmp_gt_i16_e32 vcc_lo, 5, v17
	s_mov_b32 s33, -1
	s_cbranch_vccnz .LBB38_307
; %bb.287:
	v_cmp_gt_i16_e32 vcc_lo, 8, v17
	s_cbranch_vccnz .LBB38_297
; %bb.288:
	v_cmp_gt_i16_e32 vcc_lo, 9, v17
	s_cbranch_vccnz .LBB38_294
; %bb.289:
	v_cmp_lt_i16_e32 vcc_lo, 9, v17
	s_cbranch_vccz .LBB38_291
; %bb.290:
	v_mov_b32_e32 v2, 0
	s_mov_b32 s33, 0
	s_delay_alu instid0(VALU_DEP_1)
	v_mov_b32_e32 v3, v2
	global_store_b128 v[6:7], v[0:3], off
.LBB38_291:
	s_and_not1_b32 vcc_lo, exec_lo, s33
	s_cbranch_vccnz .LBB38_293
; %bb.292:
	v_mov_b32_e32 v5, 0
	global_store_b64 v[6:7], v[4:5], off
.LBB38_293:
	s_mov_b32 s33, 0
.LBB38_294:
	s_delay_alu instid0(SALU_CYCLE_1)
	s_and_not1_b32 vcc_lo, exec_lo, s33
	s_cbranch_vccnz .LBB38_296
; %bb.295:
	global_store_b32 v[6:7], v9, off
.LBB38_296:
	s_mov_b32 s33, 0
.LBB38_297:
	s_delay_alu instid0(SALU_CYCLE_1)
	s_and_not1_b32 vcc_lo, exec_lo, s33
	s_cbranch_vccnz .LBB38_306
; %bb.298:
	v_cmp_gt_i16_e32 vcc_lo, 6, v17
	s_mov_b32 s33, -1
	s_cbranch_vccnz .LBB38_304
; %bb.299:
	v_cmp_lt_i16_e32 vcc_lo, 6, v17
	s_cbranch_vccz .LBB38_301
; %bb.300:
	s_mov_b32 s33, 0
	global_store_b64 v[6:7], v[0:1], off
.LBB38_301:
	s_and_not1_b32 vcc_lo, exec_lo, s33
	s_cbranch_vccnz .LBB38_303
; %bb.302:
	global_store_b32 v[6:7], v4, off
.LBB38_303:
	s_mov_b32 s33, 0
.LBB38_304:
	s_delay_alu instid0(SALU_CYCLE_1)
	s_and_not1_b32 vcc_lo, exec_lo, s33
	s_cbranch_vccnz .LBB38_306
; %bb.305:
	global_store_b16 v[6:7], v8, off
.LBB38_306:
	s_mov_b32 s33, 0
.LBB38_307:
	s_delay_alu instid0(SALU_CYCLE_1)
	s_and_not1_b32 vcc_lo, exec_lo, s33
	s_cbranch_vccnz .LBB38_323
; %bb.308:
	v_cmp_gt_i16_e32 vcc_lo, 2, v17
	s_mov_b32 s33, -1
	s_cbranch_vccnz .LBB38_318
; %bb.309:
	v_cmp_gt_i16_e32 vcc_lo, 3, v17
	s_cbranch_vccnz .LBB38_315
; %bb.310:
	v_cmp_lt_i16_e32 vcc_lo, 3, v17
	s_cbranch_vccz .LBB38_312
; %bb.311:
	v_dual_mov_b32 v2, s2 :: v_dual_mov_b32 v3, s3
	s_mov_b32 s33, 0
	global_store_b64 v[6:7], v[2:3], off
.LBB38_312:
	s_and_not1_b32 vcc_lo, exec_lo, s33
	s_cbranch_vccnz .LBB38_314
; %bb.313:
	v_mov_b32_e32 v2, s2
	global_store_b32 v[6:7], v2, off
.LBB38_314:
	s_mov_b32 s33, 0
.LBB38_315:
	s_delay_alu instid0(SALU_CYCLE_1)
	s_and_not1_b32 vcc_lo, exec_lo, s33
	s_cbranch_vccnz .LBB38_317
; %bb.316:
	v_mov_b32_e32 v2, s7
	global_store_b16 v[6:7], v2, off
.LBB38_317:
	s_mov_b32 s33, 0
.LBB38_318:
	s_delay_alu instid0(SALU_CYCLE_1)
	s_and_not1_b32 vcc_lo, exec_lo, s33
	s_cbranch_vccnz .LBB38_323
; %bb.319:
	v_cmp_lt_i16_e32 vcc_lo, 0, v17
	s_mov_b32 s33, -1
	s_cbranch_vccz .LBB38_321
; %bb.320:
	v_mov_b32_e32 v2, s7
	s_mov_b32 s33, 0
	global_store_b8 v[6:7], v2, off
.LBB38_321:
	s_and_not1_b32 vcc_lo, exec_lo, s33
	s_cbranch_vccnz .LBB38_323
; %bb.322:
	v_mov_b32_e32 v2, s7
	global_store_b8 v[6:7], v2, off
.LBB38_323:
	s_branch .LBB38_221
.LBB38_324:
	s_mov_b32 s35, 0
                                        ; implicit-def: $vgpr15
.LBB38_325:
	s_and_not1_b32 s33, s30, exec_lo
	s_and_b32 s1, s1, exec_lo
	s_delay_alu instid0(SALU_CYCLE_1)
	s_or_b32 s33, s33, s1
	s_or_not1_b32 s1, s35, exec_lo
.LBB38_326:
	s_or_b32 exec_lo, exec_lo, s34
	s_mov_b32 s35, 0
	s_mov_b32 s37, 0
                                        ; implicit-def: $vgpr17
                                        ; implicit-def: $vgpr6_vgpr7
	s_and_saveexec_b32 s34, s1
	s_cbranch_execz .LBB38_790
; %bb.327:
	s_mov_b32 s38, -1
	s_mov_b32 s36, s33
	s_mov_b32 s35, exec_lo
	v_cmpx_gt_i32_e64 s29, v15
	s_cbranch_execz .LBB38_558
; %bb.328:
	v_mul_lo_u32 v2, v15, s6
	v_and_b32_e64 v17, 0xff, s9
	s_delay_alu instid0(VALU_DEP_1) | instskip(NEXT) | instid1(VALU_DEP_3)
	v_cmp_gt_i16_e32 vcc_lo, 11, v17
	v_ashrrev_i32_e32 v3, 31, v2
	v_add_co_u32 v6, s1, s4, v2
	s_delay_alu instid0(VALU_DEP_1)
	v_add_co_ci_u32_e64 v7, s1, s5, v3, s1
	s_cbranch_vccnz .LBB38_335
; %bb.329:
	v_cmp_lt_i16_e32 vcc_lo, 25, v17
	s_cbranch_vccz .LBB38_336
; %bb.330:
	v_cmp_lt_i16_e32 vcc_lo, 28, v17
	s_cbranch_vccz .LBB38_337
	;; [unrolled: 3-line block ×4, first 2 shown]
; %bb.333:
	v_cmp_eq_u16_e32 vcc_lo, 46, v17
	s_mov_b32 s1, -1
	s_mov_b32 s36, 0
	s_cbranch_vccz .LBB38_470
; %bb.334:
	s_mov_b32 s36, -1
	s_mov_b32 s1, 0
	global_store_b32 v[6:7], v11, off
	s_branch .LBB38_470
.LBB38_335:
	s_mov_b32 s37, -1
	s_mov_b32 s36, 0
	s_mov_b32 s1, s33
	s_branch .LBB38_515
.LBB38_336:
	s_mov_b32 s37, -1
	s_mov_b32 s36, 0
	s_mov_b32 s1, s33
	s_branch .LBB38_492
.LBB38_337:
	s_mov_b32 s37, -1
	s_mov_b32 s36, 0
	s_mov_b32 s1, s33
	s_branch .LBB38_478
.LBB38_338:
	s_mov_b32 s37, -1
	s_mov_b32 s36, 0
	s_mov_b32 s1, s33
	s_branch .LBB38_474
.LBB38_339:
	s_mov_b32 s9, -1
	s_mov_b32 s8, 0
                                        ; implicit-def: $sgpr10
.LBB38_340:
	v_mov_b32_e32 v4, s10
	s_and_not1_b32 vcc_lo, exec_lo, s9
                                        ; implicit-def: $sgpr9
	s_cbranch_vccnz .LBB38_342
; %bb.341:
	v_add_f32_e64 v4, 0x42800000, |s3|
	s_mov_b32 s9, 0
	s_delay_alu instid0(VALU_DEP_1) | instskip(NEXT) | instid1(VALU_DEP_1)
	v_and_b32_e32 v4, 0xff, v4
	v_cmp_ne_u32_e64 s8, 0, v4
.LBB38_342:
	v_mov_b32_e32 v5, s9
	s_delay_alu instid0(VALU_DEP_2)
	s_and_not1_b32 vcc_lo, exec_lo, s8
	s_cbranch_vccnz .LBB38_344
; %bb.343:
	s_lshr_b32 s3, s3, 24
	s_delay_alu instid0(SALU_CYCLE_1) | instskip(NEXT) | instid1(SALU_CYCLE_1)
	s_and_b32 s3, s3, 0x80
	v_or_b32_e32 v5, s3, v4
.LBB38_344:
	s_mov_b32 s3, 0
	global_store_b8 v[0:1], v5, off
.LBB38_345:
	s_and_b32 vcc_lo, exec_lo, s3
	s_cbranch_vccz .LBB38_357
; %bb.346:
	s_sext_i32_i16 s3, s7
	s_delay_alu instid0(SALU_CYCLE_1) | instskip(NEXT) | instid1(VALU_DEP_1)
	v_cvt_f32_i32_e32 v4, s3
	v_readfirstlane_b32 s3, v4
	s_delay_alu instid0(VALU_DEP_1) | instskip(NEXT) | instid1(SALU_CYCLE_1)
	s_and_b32 s8, s3, 0x7fffffff
	s_cmp_lt_u32 s8, 0x43f00000
	s_cbranch_scc0 .LBB38_349
; %bb.347:
	s_cmp_gt_u32 s8, 0x3c7fffff
	s_cbranch_scc0 .LBB38_350
; %bb.348:
	s_bfe_u32 s9, s3, 0x10014
	s_delay_alu instid0(SALU_CYCLE_1) | instskip(NEXT) | instid1(SALU_CYCLE_1)
	s_add_i32 s9, s3, s9
	s_add_i32 s9, s9, 0x407ffff
	s_delay_alu instid0(SALU_CYCLE_1)
	s_and_b32 s10, s9, 0xff00000
	s_lshr_b32 s9, s9, 20
	s_cmp_lg_u32 s10, 0x7f00000
	s_cselect_b32 s10, s9, 0x7e
	s_mov_b32 s9, 0
	s_branch .LBB38_351
.LBB38_349:
	s_mov_b32 s9, -1
                                        ; implicit-def: $vgpr5
	s_branch .LBB38_354
.LBB38_350:
	s_mov_b32 s9, -1
                                        ; implicit-def: $sgpr10
.LBB38_351:
	v_mov_b32_e32 v5, s10
	s_and_not1_b32 vcc_lo, exec_lo, s9
	s_cbranch_vccnz .LBB38_353
; %bb.352:
	v_add_f32_e64 v5, 0x46800000, |v4|
.LBB38_353:
	s_mov_b32 s9, 0
.LBB38_354:
	s_delay_alu instid0(SALU_CYCLE_1)
	s_and_not1_b32 vcc_lo, exec_lo, s9
	s_cbranch_vccnz .LBB38_356
; %bb.355:
	s_cmp_gt_u32 s8, 0x7f800000
	s_movk_i32 s8, 0x7f
	s_delay_alu instid0(SALU_CYCLE_1) | instskip(NEXT) | instid1(SALU_CYCLE_1)
	s_cselect_b32 s8, s8, 0x7e
	v_mov_b32_e32 v5, s8
.LBB38_356:
	s_lshr_b32 s3, s3, 24
	s_delay_alu instid0(SALU_CYCLE_1)
	s_and_b32 s3, s3, 0x80
	s_delay_alu instid0(VALU_DEP_1) | instid1(SALU_CYCLE_1)
	v_or_b32_e32 v4, s3, v5
	global_store_b8 v[0:1], v4, off
.LBB38_357:
	s_mov_b32 s3, 0
.LBB38_358:
	s_delay_alu instid0(SALU_CYCLE_1)
	s_and_not1_b32 vcc_lo, exec_lo, s3
	s_cbranch_vccnz .LBB38_370
; %bb.359:
	s_sext_i32_i16 s3, s7
	s_delay_alu instid0(SALU_CYCLE_1) | instskip(NEXT) | instid1(VALU_DEP_1)
	v_cvt_f32_i32_e32 v4, s3
	v_readfirstlane_b32 s3, v4
	s_delay_alu instid0(VALU_DEP_1) | instskip(NEXT) | instid1(SALU_CYCLE_1)
	s_and_b32 s8, s3, 0x7fffffff
	s_cmp_lt_u32 s8, 0x47800000
	s_cbranch_scc0 .LBB38_362
; %bb.360:
	s_cmp_gt_u32 s8, 0x387fffff
	s_cbranch_scc0 .LBB38_363
; %bb.361:
	s_bfe_u32 s9, s3, 0x10015
	s_delay_alu instid0(SALU_CYCLE_1) | instskip(NEXT) | instid1(SALU_CYCLE_1)
	s_add_i32 s9, s3, s9
	s_add_i32 s9, s9, 0x80fffff
	s_delay_alu instid0(SALU_CYCLE_1)
	s_lshr_b32 s10, s9, 21
	s_mov_b32 s9, 0
	s_branch .LBB38_364
.LBB38_362:
	s_mov_b32 s9, -1
                                        ; implicit-def: $vgpr5
	s_branch .LBB38_367
.LBB38_363:
	s_mov_b32 s9, -1
                                        ; implicit-def: $sgpr10
.LBB38_364:
	v_mov_b32_e32 v5, s10
	s_and_not1_b32 vcc_lo, exec_lo, s9
	s_cbranch_vccnz .LBB38_366
; %bb.365:
	v_add_f32_e64 v5, 0x43000000, |v4|
.LBB38_366:
	s_mov_b32 s9, 0
.LBB38_367:
	s_delay_alu instid0(SALU_CYCLE_1)
	s_and_not1_b32 vcc_lo, exec_lo, s9
	s_cbranch_vccnz .LBB38_369
; %bb.368:
	s_cmp_gt_u32 s8, 0x7f800000
	s_movk_i32 s8, 0x7f
	s_delay_alu instid0(SALU_CYCLE_1) | instskip(NEXT) | instid1(SALU_CYCLE_1)
	s_cselect_b32 s8, s8, 0x7c
	v_mov_b32_e32 v5, s8
.LBB38_369:
	s_lshr_b32 s3, s3, 24
	s_delay_alu instid0(SALU_CYCLE_1)
	s_and_b32 s3, s3, 0x80
	s_delay_alu instid0(VALU_DEP_1) | instid1(SALU_CYCLE_1)
	v_or_b32_e32 v4, s3, v5
	global_store_b8 v[0:1], v4, off
.LBB38_370:
	s_mov_b32 s3, 0
	s_mov_b32 s9, -1
.LBB38_371:
	s_and_not1_b32 vcc_lo, exec_lo, s3
	s_mov_b32 s8, 0
	s_cbranch_vccnz .LBB38_378
; %bb.372:
	v_cmp_lt_i16_e32 vcc_lo, 14, v2
	s_mov_b32 s3, -1
	s_cbranch_vccz .LBB38_376
; %bb.373:
	v_cmp_eq_u16_e32 vcc_lo, 15, v2
	s_mov_b32 s0, -1
	s_cbranch_vccz .LBB38_375
; %bb.374:
	s_sext_i32_i16 s0, s7
	s_mov_b32 s9, -1
	v_cvt_f32_i32_e32 v4, s0
	s_mov_b32 s0, 0
	s_delay_alu instid0(VALU_DEP_1) | instskip(NEXT) | instid1(VALU_DEP_1)
	v_bfe_u32 v5, v4, 16, 1
	v_add_nc_u32_e32 v4, v4, v5
	s_delay_alu instid0(VALU_DEP_1)
	v_add_nc_u32_e32 v4, 0x7fff, v4
	global_store_d16_hi_b16 v[0:1], v4, off
.LBB38_375:
	s_mov_b32 s3, 0
.LBB38_376:
	s_delay_alu instid0(SALU_CYCLE_1)
	s_and_b32 vcc_lo, exec_lo, s3
	s_cbranch_vccz .LBB38_378
; %bb.377:
	v_cmp_ne_u16_e64 s0, 11, v2
	s_mov_b32 s8, -1
.LBB38_378:
	s_delay_alu instid0(VALU_DEP_1)
	s_and_b32 vcc_lo, exec_lo, s0
	s_mov_b32 s3, s1
	s_cbranch_vccnz .LBB38_450
; %bb.379:
	s_and_not1_b32 vcc_lo, exec_lo, s8
	s_cbranch_vccnz .LBB38_381
.LBB38_380:
	v_cmp_ne_u16_e64 s0, s7, 0
	s_mov_b32 s9, -1
	s_delay_alu instid0(VALU_DEP_1)
	v_cndmask_b32_e64 v4, 0, 1, s0
	global_store_b8 v[0:1], v4, off
.LBB38_381:
.LBB38_382:
	s_and_not1_b32 vcc_lo, exec_lo, s9
	s_cbranch_vccnz .LBB38_683
.LBB38_383:
	s_lshl_b32 s6, s6, 7
	v_cmp_gt_i16_e32 vcc_lo, 11, v2
	v_add_nc_u32_e32 v3, s6, v3
	s_delay_alu instid0(VALU_DEP_1) | instskip(SKIP_1) | instid1(VALU_DEP_1)
	v_ashrrev_i32_e32 v1, 31, v3
	v_add_co_u32 v0, s0, s4, v3
	v_add_co_ci_u32_e64 v1, s0, s5, v1, s0
	s_cbranch_vccnz .LBB38_411
; %bb.384:
	v_cmp_lt_i16_e32 vcc_lo, 25, v2
	s_mov_b32 s10, -1
	s_mov_b32 s8, 0
	s_mov_b32 s9, 0
	s_mov_b32 s0, 0
	s_cbranch_vccz .LBB38_462
; %bb.385:
	v_cmp_lt_i16_e32 vcc_lo, 28, v2
	s_cbranch_vccz .LBB38_400
; %bb.386:
	v_cmp_lt_i16_e32 vcc_lo, 43, v2
	;; [unrolled: 3-line block ×3, first 2 shown]
	s_cbranch_vccz .LBB38_390
; %bb.388:
	v_cmp_eq_u16_e32 vcc_lo, 46, v2
	s_mov_b32 s0, -1
	s_mov_b32 s10, 0
	s_cbranch_vccz .LBB38_390
; %bb.389:
	s_sext_i32_i16 s0, s7
	s_mov_b32 s9, -1
	v_cvt_f32_i32_e32 v4, s0
	s_mov_b32 s0, 0
	s_delay_alu instid0(VALU_DEP_1) | instskip(NEXT) | instid1(VALU_DEP_1)
	v_bfe_u32 v5, v4, 16, 1
	v_add_nc_u32_e32 v4, v4, v5
	s_delay_alu instid0(VALU_DEP_1) | instskip(NEXT) | instid1(VALU_DEP_1)
	v_add_nc_u32_e32 v4, 0x7fff, v4
	v_lshrrev_b32_e32 v4, 16, v4
	global_store_b32 v[0:1], v4, off
.LBB38_390:
	s_and_b32 vcc_lo, exec_lo, s10
	s_cbranch_vccz .LBB38_395
; %bb.391:
	v_cmp_eq_u16_e32 vcc_lo, 44, v2
	s_mov_b32 s0, -1
	s_cbranch_vccz .LBB38_395
; %bb.392:
	s_sext_i32_i16 s0, s7
	v_mov_b32_e32 v5, 0xff
	v_cvt_f32_i32_e32 v4, s0
	s_delay_alu instid0(VALU_DEP_1) | instskip(NEXT) | instid1(VALU_DEP_1)
	v_readfirstlane_b32 s0, v4
	s_bfe_u32 s9, s0, 0x80017
	s_delay_alu instid0(SALU_CYCLE_1)
	s_cmpk_eq_i32 s9, 0xff
	s_cbranch_scc1 .LBB38_394
; %bb.393:
	s_bitcmp1_b32 s0, 22
	v_lshrrev_b32_e32 v4, 23, v4
	s_cselect_b32 s10, -1, 0
	s_and_b32 s0, s0, 0x3fffff
	s_delay_alu instid0(SALU_CYCLE_1) | instskip(NEXT) | instid1(SALU_CYCLE_1)
	s_or_b32 s0, s9, s0
	s_cmp_lg_u32 s0, 0
	s_cselect_b32 s0, -1, 0
	s_delay_alu instid0(SALU_CYCLE_1) | instskip(NEXT) | instid1(SALU_CYCLE_1)
	s_and_b32 s0, s10, s0
	v_cndmask_b32_e64 v5, 0, 1, s0
	s_delay_alu instid0(VALU_DEP_1)
	v_add_nc_u32_e32 v5, v4, v5
.LBB38_394:
	s_mov_b32 s0, 0
	s_mov_b32 s9, -1
	global_store_b8 v[0:1], v5, off
.LBB38_395:
	s_mov_b32 s10, 0
.LBB38_396:
	s_delay_alu instid0(SALU_CYCLE_1)
	s_and_b32 vcc_lo, exec_lo, s10
	s_cbranch_vccz .LBB38_399
; %bb.397:
	v_cmp_eq_u16_e32 vcc_lo, 29, v2
	s_mov_b32 s0, -1
	s_cbranch_vccz .LBB38_399
; %bb.398:
	s_sext_i32_i16 s0, s7
	s_delay_alu instid0(SALU_CYCLE_1) | instskip(NEXT) | instid1(SALU_CYCLE_1)
	s_ashr_i32 s9, s0, 31
	v_dual_mov_b32 v4, s0 :: v_dual_mov_b32 v5, s9
	s_mov_b32 s0, 0
	s_mov_b32 s9, -1
	global_store_b64 v[0:1], v[4:5], off
.LBB38_399:
	s_mov_b32 s10, 0
.LBB38_400:
	s_delay_alu instid0(SALU_CYCLE_1)
	s_and_b32 vcc_lo, exec_lo, s10
	s_cbranch_vccz .LBB38_461
; %bb.401:
	v_cmp_gt_i16_e32 vcc_lo, 27, v2
	s_mov_b32 s9, -1
	s_cbranch_vccnz .LBB38_407
; %bb.402:
	v_cmp_lt_i16_e32 vcc_lo, 27, v2
	s_cbranch_vccz .LBB38_404
; %bb.403:
	s_sext_i32_i16 s9, s7
	s_delay_alu instid0(SALU_CYCLE_1)
	v_mov_b32_e32 v4, s9
	s_mov_b32 s9, 0
	global_store_b32 v[0:1], v4, off
.LBB38_404:
	s_and_not1_b32 vcc_lo, exec_lo, s9
	s_cbranch_vccnz .LBB38_406
; %bb.405:
	v_mov_b32_e32 v4, s7
	global_store_b16 v[0:1], v4, off
.LBB38_406:
	s_mov_b32 s9, 0
.LBB38_407:
	s_delay_alu instid0(SALU_CYCLE_1)
	s_and_not1_b32 vcc_lo, exec_lo, s9
	s_cbranch_vccnz .LBB38_460
; %bb.408:
	s_sext_i32_i16 s9, s7
	v_mov_b32_e32 v5, 0x80
	v_cvt_f32_i32_e32 v4, s9
	s_delay_alu instid0(VALU_DEP_1) | instskip(NEXT) | instid1(VALU_DEP_1)
	v_readfirstlane_b32 s9, v4
	s_and_b32 s10, s9, 0x7fffffff
	s_delay_alu instid0(SALU_CYCLE_1)
	s_cmp_gt_u32 s10, 0x437fffff
	s_cbranch_scc1 .LBB38_459
; %bb.409:
	s_cmp_gt_u32 s10, 0x3bffffff
	s_cbranch_scc0 .LBB38_454
; %bb.410:
	s_bfe_u32 s10, s9, 0x10014
	s_mov_b32 s11, 0
	s_add_i32 s10, s9, s10
	s_delay_alu instid0(SALU_CYCLE_1) | instskip(NEXT) | instid1(SALU_CYCLE_1)
	s_add_i32 s10, s10, 0x487ffff
	s_lshr_b32 s12, s10, 20
	s_mov_b32 s10, -1
	s_branch .LBB38_455
.LBB38_411:
	s_mov_b32 s9, 0
	s_cbranch_execz .LBB38_615
; %bb.412:
	v_cmp_gt_i16_e32 vcc_lo, 5, v2
	s_mov_b32 s0, -1
	s_cbranch_vccnz .LBB38_433
; %bb.413:
	v_cmp_gt_i16_e32 vcc_lo, 8, v2
	s_cbranch_vccnz .LBB38_423
; %bb.414:
	v_cmp_gt_i16_e32 vcc_lo, 9, v2
	s_cbranch_vccnz .LBB38_420
; %bb.415:
	v_cmp_lt_i16_e32 vcc_lo, 9, v2
	s_cbranch_vccz .LBB38_417
; %bb.416:
	s_sext_i32_i16 s0, s7
	v_mov_b32_e32 v6, 0
	v_cvt_f64_i32_e32 v[4:5], s0
	s_mov_b32 s0, 0
	s_delay_alu instid0(VALU_DEP_2)
	v_mov_b32_e32 v7, v6
	global_store_b128 v[0:1], v[4:7], off
.LBB38_417:
	s_and_not1_b32 vcc_lo, exec_lo, s0
	s_cbranch_vccnz .LBB38_419
; %bb.418:
	s_sext_i32_i16 s0, s7
	v_mov_b32_e32 v5, 0
	v_cvt_f32_i32_e32 v4, s0
	global_store_b64 v[0:1], v[4:5], off
.LBB38_419:
	s_mov_b32 s0, 0
.LBB38_420:
	s_delay_alu instid0(SALU_CYCLE_1)
	s_and_not1_b32 vcc_lo, exec_lo, s0
	s_cbranch_vccnz .LBB38_422
; %bb.421:
	v_cvt_f16_i16_e32 v4, s7
	s_delay_alu instid0(VALU_DEP_1)
	v_and_b32_e32 v4, 0xffff, v4
	global_store_b32 v[0:1], v4, off
.LBB38_422:
	s_mov_b32 s0, 0
.LBB38_423:
	s_delay_alu instid0(SALU_CYCLE_1)
	s_and_not1_b32 vcc_lo, exec_lo, s0
	s_cbranch_vccnz .LBB38_432
; %bb.424:
	v_cmp_gt_i16_e32 vcc_lo, 6, v2
	s_mov_b32 s0, -1
	s_cbranch_vccnz .LBB38_430
; %bb.425:
	v_cmp_lt_i16_e32 vcc_lo, 6, v2
	s_cbranch_vccz .LBB38_427
; %bb.426:
	s_sext_i32_i16 s0, s7
	s_delay_alu instid0(SALU_CYCLE_1)
	v_cvt_f64_i32_e32 v[4:5], s0
	s_mov_b32 s0, 0
	global_store_b64 v[0:1], v[4:5], off
.LBB38_427:
	s_and_not1_b32 vcc_lo, exec_lo, s0
	s_cbranch_vccnz .LBB38_429
; %bb.428:
	s_sext_i32_i16 s0, s7
	s_delay_alu instid0(SALU_CYCLE_1)
	v_cvt_f32_i32_e32 v4, s0
	global_store_b32 v[0:1], v4, off
.LBB38_429:
	s_mov_b32 s0, 0
.LBB38_430:
	s_delay_alu instid0(SALU_CYCLE_1)
	s_and_not1_b32 vcc_lo, exec_lo, s0
	s_cbranch_vccnz .LBB38_432
; %bb.431:
	v_cvt_f16_i16_e32 v4, s7
	global_store_b16 v[0:1], v4, off
.LBB38_432:
	s_mov_b32 s0, 0
.LBB38_433:
	s_delay_alu instid0(SALU_CYCLE_1)
	s_and_not1_b32 vcc_lo, exec_lo, s0
	s_cbranch_vccnz .LBB38_449
; %bb.434:
	v_cmp_gt_i16_e32 vcc_lo, 2, v2
	s_mov_b32 s0, -1
	s_cbranch_vccnz .LBB38_444
; %bb.435:
	v_cmp_gt_i16_e32 vcc_lo, 3, v2
	s_cbranch_vccnz .LBB38_441
; %bb.436:
	v_cmp_lt_i16_e32 vcc_lo, 3, v2
	s_cbranch_vccz .LBB38_438
; %bb.437:
	s_sext_i32_i16 s0, s7
	s_delay_alu instid0(SALU_CYCLE_1) | instskip(NEXT) | instid1(SALU_CYCLE_1)
	s_ashr_i32 s8, s0, 31
	v_dual_mov_b32 v4, s0 :: v_dual_mov_b32 v5, s8
	s_mov_b32 s0, 0
	global_store_b64 v[0:1], v[4:5], off
.LBB38_438:
	s_and_not1_b32 vcc_lo, exec_lo, s0
	s_cbranch_vccnz .LBB38_440
; %bb.439:
	s_sext_i32_i16 s0, s7
	s_delay_alu instid0(SALU_CYCLE_1)
	v_mov_b32_e32 v4, s0
	global_store_b32 v[0:1], v4, off
.LBB38_440:
	s_mov_b32 s0, 0
.LBB38_441:
	s_delay_alu instid0(SALU_CYCLE_1)
	s_and_not1_b32 vcc_lo, exec_lo, s0
	s_cbranch_vccnz .LBB38_443
; %bb.442:
	v_mov_b32_e32 v4, s7
	global_store_b16 v[0:1], v4, off
.LBB38_443:
	s_mov_b32 s0, 0
.LBB38_444:
	s_delay_alu instid0(SALU_CYCLE_1)
	s_and_not1_b32 vcc_lo, exec_lo, s0
	s_cbranch_vccnz .LBB38_449
; %bb.445:
	v_cmp_lt_i16_e32 vcc_lo, 0, v2
	s_mov_b32 s0, -1
	s_cbranch_vccz .LBB38_447
; %bb.446:
	v_mov_b32_e32 v4, s7
	s_mov_b32 s0, 0
	global_store_b8 v[0:1], v4, off
.LBB38_447:
	s_and_not1_b32 vcc_lo, exec_lo, s0
	s_cbranch_vccnz .LBB38_449
; %bb.448:
	v_mov_b32_e32 v4, s7
	global_store_b8 v[0:1], v4, off
.LBB38_449:
	s_branch .LBB38_616
.LBB38_450:
	s_cbranch_execnz .LBB38_452
; %bb.451:
	s_or_b32 s3, s1, exec_lo
	s_cbranch_execz .LBB38_380
	s_branch .LBB38_381
.LBB38_452:
	s_trap 2
	s_sendmsg_rtn_b32 s0, sendmsg(MSG_RTN_GET_DOORBELL)
	s_mov_b32 ttmp2, m0
	s_waitcnt lgkmcnt(0)
	s_and_b32 s0, s0, 0x3ff
	s_delay_alu instid0(SALU_CYCLE_1) | instskip(NEXT) | instid1(SALU_CYCLE_1)
	s_bitset1_b32 s0, 10
	s_mov_b32 m0, s0
	s_sendmsg sendmsg(MSG_INTERRUPT)
	s_mov_b32 m0, ttmp2
.LBB38_453:                             ; =>This Inner Loop Header: Depth=1
	s_sethalt 5
	s_branch .LBB38_453
.LBB38_454:
	s_mov_b32 s11, -1
	s_mov_b32 s10, 0
                                        ; implicit-def: $sgpr12
.LBB38_455:
	v_mov_b32_e32 v4, s12
	s_and_not1_b32 vcc_lo, exec_lo, s11
                                        ; implicit-def: $sgpr11
	s_cbranch_vccnz .LBB38_457
; %bb.456:
	v_add_f32_e64 v4, 0x46000000, |s9|
	s_mov_b32 s11, 0
	s_delay_alu instid0(VALU_DEP_1) | instskip(NEXT) | instid1(VALU_DEP_1)
	v_and_b32_e32 v4, 0xff, v4
	v_cmp_ne_u32_e64 s10, 0, v4
.LBB38_457:
	v_mov_b32_e32 v5, s11
	s_delay_alu instid0(VALU_DEP_2)
	s_and_not1_b32 vcc_lo, exec_lo, s10
	s_cbranch_vccnz .LBB38_459
; %bb.458:
	s_lshr_b32 s9, s9, 24
	s_delay_alu instid0(SALU_CYCLE_1) | instskip(NEXT) | instid1(SALU_CYCLE_1)
	s_and_b32 s9, s9, 0x80
	v_or_b32_e32 v5, s9, v4
.LBB38_459:
	global_store_b8 v[0:1], v5, off
.LBB38_460:
	s_mov_b32 s9, -1
.LBB38_461:
	s_mov_b32 s10, 0
.LBB38_462:
	s_delay_alu instid0(SALU_CYCLE_1)
	s_and_b32 vcc_lo, exec_lo, s10
	s_cbranch_vccz .LBB38_611
; %bb.463:
	v_cmp_lt_i16_e32 vcc_lo, 22, v2
	s_mov_b32 s8, -1
	s_cbranch_vccz .LBB38_604
; %bb.464:
	v_cmp_gt_i16_e32 vcc_lo, 24, v2
	s_cbranch_vccnz .LBB38_591
; %bb.465:
	v_cmp_lt_i16_e32 vcc_lo, 24, v2
	s_cbranch_vccz .LBB38_578
; %bb.466:
	s_sext_i32_i16 s8, s7
	v_mov_b32_e32 v5, 0x80
	v_cvt_f32_i32_e32 v4, s8
	s_delay_alu instid0(VALU_DEP_1) | instskip(NEXT) | instid1(VALU_DEP_1)
	v_readfirstlane_b32 s8, v4
	s_and_b32 s9, s8, 0x7fffffff
	s_delay_alu instid0(SALU_CYCLE_1)
	s_cmp_gt_u32 s9, 0x477fffff
	s_cbranch_scc1 .LBB38_577
; %bb.467:
	s_cmp_gt_u32 s9, 0x37ffffff
	s_cbranch_scc0 .LBB38_572
; %bb.468:
	s_bfe_u32 s9, s8, 0x10015
	s_mov_b32 s10, 0
	s_add_i32 s9, s8, s9
	s_delay_alu instid0(SALU_CYCLE_1) | instskip(NEXT) | instid1(SALU_CYCLE_1)
	s_add_i32 s9, s9, 0x88fffff
	s_lshr_b32 s11, s9, 21
	s_mov_b32 s9, -1
	s_branch .LBB38_573
.LBB38_469:
	s_mov_b32 s37, -1
	s_mov_b32 s36, 0
	s_mov_b32 s1, s33
.LBB38_470:
	s_and_b32 vcc_lo, exec_lo, s37
	s_cbranch_vccz .LBB38_473
; %bb.471:
	v_cmp_eq_u16_e32 vcc_lo, 44, v17
	s_mov_b32 s1, -1
	s_cbranch_vccz .LBB38_473
; %bb.472:
	v_cndmask_b32_e64 v2, v16, 0xff, s0
	s_mov_b32 s36, -1
	s_mov_b32 s1, 0
	global_store_b8 v[6:7], v2, off
.LBB38_473:
	s_mov_b32 s37, 0
.LBB38_474:
	s_delay_alu instid0(SALU_CYCLE_1)
	s_and_b32 vcc_lo, exec_lo, s37
	s_cbranch_vccz .LBB38_477
; %bb.475:
	v_cmp_eq_u16_e32 vcc_lo, 29, v17
	s_mov_b32 s1, -1
	s_cbranch_vccz .LBB38_477
; %bb.476:
	v_dual_mov_b32 v2, s2 :: v_dual_mov_b32 v3, s3
	s_mov_b32 s36, -1
	s_mov_b32 s1, 0
	s_mov_b32 s37, 0
	global_store_b64 v[6:7], v[2:3], off
	s_branch .LBB38_478
.LBB38_477:
	s_mov_b32 s37, 0
.LBB38_478:
	s_delay_alu instid0(SALU_CYCLE_1)
	s_and_b32 vcc_lo, exec_lo, s37
	s_cbranch_vccz .LBB38_491
; %bb.479:
	v_cmp_gt_i16_e32 vcc_lo, 27, v17
	s_mov_b32 s36, -1
	s_cbranch_vccnz .LBB38_485
; %bb.480:
	v_cmp_lt_i16_e32 vcc_lo, 27, v17
	s_cbranch_vccz .LBB38_482
; %bb.481:
	v_mov_b32_e32 v2, s2
	s_mov_b32 s36, 0
	global_store_b32 v[6:7], v2, off
.LBB38_482:
	s_and_not1_b32 vcc_lo, exec_lo, s36
	s_cbranch_vccnz .LBB38_484
; %bb.483:
	v_mov_b32_e32 v2, s7
	global_store_b16 v[6:7], v2, off
.LBB38_484:
	s_mov_b32 s36, 0
.LBB38_485:
	s_delay_alu instid0(SALU_CYCLE_1)
	s_and_not1_b32 vcc_lo, exec_lo, s36
	s_cbranch_vccnz .LBB38_490
; %bb.486:
	v_mov_b32_e32 v2, 0x80
	s_and_not1_b32 vcc_lo, exec_lo, s25
	s_cbranch_vccnz .LBB38_489
; %bb.487:
	v_mov_b32_e32 v2, 0
	s_or_b32 s36, s21, s28
	s_delay_alu instid0(SALU_CYCLE_1)
	s_and_not1_b32 vcc_lo, exec_lo, s36
	s_cbranch_vccnz .LBB38_489
; %bb.488:
	v_cndmask_b32_e64 v2, v14, s27, s21
	s_delay_alu instid0(VALU_DEP_1)
	v_or_b32_e32 v2, v2, v12
.LBB38_489:
	global_store_b8 v[6:7], v2, off
.LBB38_490:
	s_mov_b32 s36, -1
.LBB38_491:
	s_mov_b32 s37, 0
.LBB38_492:
	s_delay_alu instid0(SALU_CYCLE_1)
	s_and_b32 vcc_lo, exec_lo, s37
	s_cbranch_vccz .LBB38_514
; %bb.493:
	v_cmp_lt_i16_e32 vcc_lo, 22, v17
	s_mov_b32 s37, -1
	s_cbranch_vccz .LBB38_506
; %bb.494:
	v_cmp_gt_i16_e32 vcc_lo, 24, v17
	s_mov_b32 s36, -1
	s_cbranch_vccnz .LBB38_503
; %bb.495:
	v_cmp_lt_i16_e32 vcc_lo, 24, v17
	s_cbranch_vccz .LBB38_500
; %bb.496:
	v_mov_b32_e32 v2, 0x80
	s_and_not1_b32 vcc_lo, exec_lo, s24
	s_cbranch_vccnz .LBB38_499
; %bb.497:
	v_mov_b32_e32 v2, 0
	s_or_b32 s36, s19, s26
	s_delay_alu instid0(SALU_CYCLE_1)
	s_and_not1_b32 vcc_lo, exec_lo, s36
	s_cbranch_vccnz .LBB38_499
; %bb.498:
	v_cndmask_b32_e64 v2, v13, s22, s19
	s_delay_alu instid0(VALU_DEP_1)
	v_or_b32_e32 v2, v2, v12
.LBB38_499:
	s_mov_b32 s36, 0
	global_store_b8 v[6:7], v2, off
.LBB38_500:
	s_and_b32 vcc_lo, exec_lo, s36
	s_cbranch_vccz .LBB38_502
; %bb.501:
	s_and_b32 s36, s16, exec_lo
	s_cselect_b32 s36, s17, s20
	s_and_b32 s37, s14, exec_lo
	s_cselect_b32 s36, s23, s36
	s_delay_alu instid0(SALU_CYCLE_1)
	v_or_b32_e32 v2, s36, v12
	global_store_b8 v[6:7], v2, off
.LBB38_502:
	s_mov_b32 s36, 0
.LBB38_503:
	s_delay_alu instid0(SALU_CYCLE_1)
	s_and_not1_b32 vcc_lo, exec_lo, s36
	s_cbranch_vccnz .LBB38_505
; %bb.504:
	s_and_b32 s36, s12, exec_lo
	s_cselect_b32 s36, s15, s13
	s_and_b32 s37, s11, exec_lo
	s_cselect_b32 s36, s18, s36
	s_delay_alu instid0(SALU_CYCLE_1)
	v_or_b32_e32 v2, s36, v12
	global_store_b8 v[6:7], v2, off
.LBB38_505:
	s_mov_b32 s37, 0
	s_mov_b32 s36, -1
.LBB38_506:
	s_and_not1_b32 vcc_lo, exec_lo, s37
	s_cbranch_vccnz .LBB38_514
; %bb.507:
	v_cmp_lt_i16_e32 vcc_lo, 14, v17
	s_mov_b32 s37, -1
	s_cbranch_vccz .LBB38_511
; %bb.508:
	v_cmp_eq_u16_e32 vcc_lo, 15, v17
	s_mov_b32 s1, -1
	s_cbranch_vccz .LBB38_510
; %bb.509:
	s_mov_b32 s36, -1
	s_mov_b32 s1, 0
	global_store_b16 v[6:7], v11, off
.LBB38_510:
	s_mov_b32 s37, 0
.LBB38_511:
	s_delay_alu instid0(SALU_CYCLE_1)
	s_and_b32 vcc_lo, exec_lo, s37
	s_cbranch_vccz .LBB38_514
; %bb.512:
	v_cmp_eq_u16_e32 vcc_lo, 11, v17
	s_mov_b32 s1, -1
	s_cbranch_vccz .LBB38_514
; %bb.513:
	s_mov_b32 s36, -1
	s_mov_b32 s1, 0
	global_store_b8 v[6:7], v10, off
.LBB38_514:
	s_mov_b32 s37, 0
.LBB38_515:
	s_delay_alu instid0(SALU_CYCLE_1)
	s_and_b32 vcc_lo, exec_lo, s37
	s_cbranch_vccz .LBB38_554
; %bb.516:
	v_cmp_gt_i16_e32 vcc_lo, 5, v17
	s_mov_b32 s36, -1
	s_cbranch_vccnz .LBB38_537
; %bb.517:
	v_cmp_gt_i16_e32 vcc_lo, 8, v17
	s_cbranch_vccnz .LBB38_527
; %bb.518:
	v_cmp_gt_i16_e32 vcc_lo, 9, v17
	s_cbranch_vccnz .LBB38_524
; %bb.519:
	v_cmp_lt_i16_e32 vcc_lo, 9, v17
	s_cbranch_vccz .LBB38_521
; %bb.520:
	v_mov_b32_e32 v2, 0
	s_mov_b32 s36, 0
	s_delay_alu instid0(VALU_DEP_1)
	v_mov_b32_e32 v3, v2
	global_store_b128 v[6:7], v[0:3], off
.LBB38_521:
	s_and_not1_b32 vcc_lo, exec_lo, s36
	s_cbranch_vccnz .LBB38_523
; %bb.522:
	v_mov_b32_e32 v5, 0
	global_store_b64 v[6:7], v[4:5], off
.LBB38_523:
	s_mov_b32 s36, 0
.LBB38_524:
	s_delay_alu instid0(SALU_CYCLE_1)
	s_and_not1_b32 vcc_lo, exec_lo, s36
	s_cbranch_vccnz .LBB38_526
; %bb.525:
	global_store_b32 v[6:7], v9, off
.LBB38_526:
	s_mov_b32 s36, 0
.LBB38_527:
	s_delay_alu instid0(SALU_CYCLE_1)
	s_and_not1_b32 vcc_lo, exec_lo, s36
	s_cbranch_vccnz .LBB38_536
; %bb.528:
	v_cmp_gt_i16_e32 vcc_lo, 6, v17
	s_mov_b32 s36, -1
	s_cbranch_vccnz .LBB38_534
; %bb.529:
	v_cmp_lt_i16_e32 vcc_lo, 6, v17
	s_cbranch_vccz .LBB38_531
; %bb.530:
	s_mov_b32 s36, 0
	global_store_b64 v[6:7], v[0:1], off
.LBB38_531:
	s_and_not1_b32 vcc_lo, exec_lo, s36
	s_cbranch_vccnz .LBB38_533
; %bb.532:
	global_store_b32 v[6:7], v4, off
.LBB38_533:
	s_mov_b32 s36, 0
.LBB38_534:
	s_delay_alu instid0(SALU_CYCLE_1)
	s_and_not1_b32 vcc_lo, exec_lo, s36
	s_cbranch_vccnz .LBB38_536
; %bb.535:
	global_store_b16 v[6:7], v8, off
.LBB38_536:
	s_mov_b32 s36, 0
.LBB38_537:
	s_delay_alu instid0(SALU_CYCLE_1)
	s_and_not1_b32 vcc_lo, exec_lo, s36
	s_cbranch_vccnz .LBB38_553
; %bb.538:
	v_cmp_gt_i16_e32 vcc_lo, 2, v17
	s_mov_b32 s36, -1
	s_cbranch_vccnz .LBB38_548
; %bb.539:
	v_cmp_gt_i16_e32 vcc_lo, 3, v17
	s_cbranch_vccnz .LBB38_545
; %bb.540:
	v_cmp_lt_i16_e32 vcc_lo, 3, v17
	s_cbranch_vccz .LBB38_542
; %bb.541:
	v_dual_mov_b32 v2, s2 :: v_dual_mov_b32 v3, s3
	s_mov_b32 s36, 0
	global_store_b64 v[6:7], v[2:3], off
.LBB38_542:
	s_and_not1_b32 vcc_lo, exec_lo, s36
	s_cbranch_vccnz .LBB38_544
; %bb.543:
	v_mov_b32_e32 v2, s2
	global_store_b32 v[6:7], v2, off
.LBB38_544:
	s_mov_b32 s36, 0
.LBB38_545:
	s_delay_alu instid0(SALU_CYCLE_1)
	s_and_not1_b32 vcc_lo, exec_lo, s36
	s_cbranch_vccnz .LBB38_547
; %bb.546:
	v_mov_b32_e32 v2, s7
	global_store_b16 v[6:7], v2, off
.LBB38_547:
	s_mov_b32 s36, 0
.LBB38_548:
	s_delay_alu instid0(SALU_CYCLE_1)
	s_and_not1_b32 vcc_lo, exec_lo, s36
	s_cbranch_vccnz .LBB38_553
; %bb.549:
	v_cmp_lt_i16_e32 vcc_lo, 0, v17
	s_mov_b32 s36, -1
	s_cbranch_vccz .LBB38_551
; %bb.550:
	v_mov_b32_e32 v2, s7
	s_mov_b32 s36, 0
	global_store_b8 v[6:7], v2, off
.LBB38_551:
	s_and_not1_b32 vcc_lo, exec_lo, s36
	s_cbranch_vccnz .LBB38_553
; %bb.552:
	v_mov_b32_e32 v2, s7
	global_store_b8 v[6:7], v2, off
.LBB38_553:
	s_mov_b32 s36, -1
.LBB38_554:
	s_delay_alu instid0(SALU_CYCLE_1)
	s_and_not1_b32 vcc_lo, exec_lo, s36
	s_cbranch_vccnz .LBB38_556
; %bb.555:
	v_add_nc_u32_e32 v15, 0x80, v15
	s_mov_b32 s37, -1
	s_branch .LBB38_557
.LBB38_556:
	s_mov_b32 s37, 0
                                        ; implicit-def: $vgpr15
.LBB38_557:
	s_and_not1_b32 s36, s33, exec_lo
	s_and_b32 s1, s1, exec_lo
	s_or_not1_b32 s38, s37, exec_lo
	s_or_b32 s36, s36, s1
.LBB38_558:
	s_or_b32 exec_lo, exec_lo, s35
	s_mov_b32 s1, 0
	s_mov_b32 s37, 0
                                        ; implicit-def: $vgpr17
                                        ; implicit-def: $vgpr6_vgpr7
	s_and_saveexec_b32 s35, s38
	s_cbranch_execz .LBB38_789
; %bb.559:
	v_cmp_gt_i32_e32 vcc_lo, s29, v15
	s_mov_b32 s38, s36
                                        ; implicit-def: $vgpr17
                                        ; implicit-def: $vgpr6_vgpr7
	s_and_saveexec_b32 s29, vcc_lo
	s_cbranch_execz .LBB38_788
; %bb.560:
	v_mul_lo_u32 v2, v15, s6
	v_and_b32_e64 v17, 0xff, s9
	s_delay_alu instid0(VALU_DEP_1) | instskip(NEXT) | instid1(VALU_DEP_3)
	v_cmp_gt_i16_e32 vcc_lo, 11, v17
	v_ashrrev_i32_e32 v3, 31, v2
	v_add_co_u32 v6, s1, s4, v2
	s_delay_alu instid0(VALU_DEP_1)
	v_add_co_ci_u32_e64 v7, s1, s5, v3, s1
	s_cbranch_vccnz .LBB38_571
; %bb.561:
	v_cmp_lt_i16_e32 vcc_lo, 25, v17
	s_mov_b32 s37, -1
	s_mov_b32 s1, s36
	s_cbranch_vccz .LBB38_765
; %bb.562:
	v_cmp_lt_i16_e32 vcc_lo, 28, v17
	s_mov_b32 s1, s36
	s_cbranch_vccz .LBB38_752
; %bb.563:
	v_cmp_lt_i16_e32 vcc_lo, 43, v17
	;; [unrolled: 4-line block ×3, first 2 shown]
	s_mov_b32 s1, s36
	s_cbranch_vccz .LBB38_568
; %bb.565:
	v_cmp_eq_u16_e32 vcc_lo, 46, v17
	s_mov_b32 s1, -1
	s_cbranch_vccz .LBB38_567
; %bb.566:
	s_mov_b32 s1, 0
	global_store_b32 v[6:7], v11, off
.LBB38_567:
	s_mov_b32 s37, 0
.LBB38_568:
	s_delay_alu instid0(SALU_CYCLE_1)
	s_and_b32 vcc_lo, exec_lo, s37
	s_cbranch_vccz .LBB38_747
; %bb.569:
	v_cmp_eq_u16_e32 vcc_lo, 44, v17
	s_mov_b32 s1, -1
	s_cbranch_vccz .LBB38_747
; %bb.570:
	v_cndmask_b32_e64 v2, v16, 0xff, s0
	s_mov_b32 s1, 0
	s_mov_b32 s37, 0
	global_store_b8 v[6:7], v2, off
	s_branch .LBB38_748
.LBB38_571:
	s_mov_b32 s11, 0
	s_mov_b32 s0, -1
	s_mov_b32 s1, s36
	s_branch .LBB38_787
.LBB38_572:
	s_mov_b32 s10, -1
	s_mov_b32 s9, 0
                                        ; implicit-def: $sgpr11
.LBB38_573:
	v_mov_b32_e32 v4, s11
	s_and_not1_b32 vcc_lo, exec_lo, s10
                                        ; implicit-def: $sgpr10
	s_cbranch_vccnz .LBB38_575
; %bb.574:
	v_add_f32_e64 v4, 0x42800000, |s8|
	s_mov_b32 s10, 0
	s_delay_alu instid0(VALU_DEP_1) | instskip(NEXT) | instid1(VALU_DEP_1)
	v_and_b32_e32 v4, 0xff, v4
	v_cmp_ne_u32_e64 s9, 0, v4
.LBB38_575:
	v_mov_b32_e32 v5, s10
	s_delay_alu instid0(VALU_DEP_2)
	s_and_not1_b32 vcc_lo, exec_lo, s9
	s_cbranch_vccnz .LBB38_577
; %bb.576:
	s_lshr_b32 s8, s8, 24
	s_delay_alu instid0(SALU_CYCLE_1) | instskip(NEXT) | instid1(SALU_CYCLE_1)
	s_and_b32 s8, s8, 0x80
	v_or_b32_e32 v5, s8, v4
.LBB38_577:
	s_mov_b32 s8, 0
	global_store_b8 v[0:1], v5, off
.LBB38_578:
	s_and_b32 vcc_lo, exec_lo, s8
	s_cbranch_vccz .LBB38_590
; %bb.579:
	s_sext_i32_i16 s8, s7
	s_delay_alu instid0(SALU_CYCLE_1) | instskip(NEXT) | instid1(VALU_DEP_1)
	v_cvt_f32_i32_e32 v4, s8
	v_readfirstlane_b32 s8, v4
	s_delay_alu instid0(VALU_DEP_1) | instskip(NEXT) | instid1(SALU_CYCLE_1)
	s_and_b32 s9, s8, 0x7fffffff
	s_cmp_lt_u32 s9, 0x43f00000
	s_cbranch_scc0 .LBB38_582
; %bb.580:
	s_cmp_gt_u32 s9, 0x3c7fffff
	s_cbranch_scc0 .LBB38_583
; %bb.581:
	s_bfe_u32 s10, s8, 0x10014
	s_delay_alu instid0(SALU_CYCLE_1) | instskip(NEXT) | instid1(SALU_CYCLE_1)
	s_add_i32 s10, s8, s10
	s_add_i32 s10, s10, 0x407ffff
	s_delay_alu instid0(SALU_CYCLE_1)
	s_and_b32 s11, s10, 0xff00000
	s_lshr_b32 s10, s10, 20
	s_cmp_lg_u32 s11, 0x7f00000
	s_cselect_b32 s11, s10, 0x7e
	s_mov_b32 s10, 0
	s_branch .LBB38_584
.LBB38_582:
	s_mov_b32 s10, -1
                                        ; implicit-def: $vgpr5
	s_branch .LBB38_587
.LBB38_583:
	s_mov_b32 s10, -1
                                        ; implicit-def: $sgpr11
.LBB38_584:
	v_mov_b32_e32 v5, s11
	s_and_not1_b32 vcc_lo, exec_lo, s10
	s_cbranch_vccnz .LBB38_586
; %bb.585:
	v_add_f32_e64 v5, 0x46800000, |v4|
.LBB38_586:
	s_mov_b32 s10, 0
.LBB38_587:
	s_delay_alu instid0(SALU_CYCLE_1)
	s_and_not1_b32 vcc_lo, exec_lo, s10
	s_cbranch_vccnz .LBB38_589
; %bb.588:
	s_cmp_gt_u32 s9, 0x7f800000
	s_movk_i32 s9, 0x7f
	s_delay_alu instid0(SALU_CYCLE_1) | instskip(NEXT) | instid1(SALU_CYCLE_1)
	s_cselect_b32 s9, s9, 0x7e
	v_mov_b32_e32 v5, s9
.LBB38_589:
	s_lshr_b32 s8, s8, 24
	s_delay_alu instid0(SALU_CYCLE_1)
	s_and_b32 s8, s8, 0x80
	s_delay_alu instid0(VALU_DEP_1) | instid1(SALU_CYCLE_1)
	v_or_b32_e32 v4, s8, v5
	global_store_b8 v[0:1], v4, off
.LBB38_590:
	s_mov_b32 s8, 0
.LBB38_591:
	s_delay_alu instid0(SALU_CYCLE_1)
	s_and_not1_b32 vcc_lo, exec_lo, s8
	s_cbranch_vccnz .LBB38_603
; %bb.592:
	s_sext_i32_i16 s8, s7
	s_delay_alu instid0(SALU_CYCLE_1) | instskip(NEXT) | instid1(VALU_DEP_1)
	v_cvt_f32_i32_e32 v4, s8
	v_readfirstlane_b32 s8, v4
	s_delay_alu instid0(VALU_DEP_1) | instskip(NEXT) | instid1(SALU_CYCLE_1)
	s_and_b32 s9, s8, 0x7fffffff
	s_cmp_lt_u32 s9, 0x47800000
	s_cbranch_scc0 .LBB38_595
; %bb.593:
	s_cmp_gt_u32 s9, 0x387fffff
	s_cbranch_scc0 .LBB38_596
; %bb.594:
	s_bfe_u32 s10, s8, 0x10015
	s_delay_alu instid0(SALU_CYCLE_1) | instskip(NEXT) | instid1(SALU_CYCLE_1)
	s_add_i32 s10, s8, s10
	s_add_i32 s10, s10, 0x80fffff
	s_delay_alu instid0(SALU_CYCLE_1)
	s_lshr_b32 s11, s10, 21
	s_mov_b32 s10, 0
	s_branch .LBB38_597
.LBB38_595:
	s_mov_b32 s10, -1
                                        ; implicit-def: $vgpr5
	s_branch .LBB38_600
.LBB38_596:
	s_mov_b32 s10, -1
                                        ; implicit-def: $sgpr11
.LBB38_597:
	v_mov_b32_e32 v5, s11
	s_and_not1_b32 vcc_lo, exec_lo, s10
	s_cbranch_vccnz .LBB38_599
; %bb.598:
	v_add_f32_e64 v5, 0x43000000, |v4|
.LBB38_599:
	s_mov_b32 s10, 0
.LBB38_600:
	s_delay_alu instid0(SALU_CYCLE_1)
	s_and_not1_b32 vcc_lo, exec_lo, s10
	s_cbranch_vccnz .LBB38_602
; %bb.601:
	s_cmp_gt_u32 s9, 0x7f800000
	s_movk_i32 s9, 0x7f
	s_delay_alu instid0(SALU_CYCLE_1) | instskip(NEXT) | instid1(SALU_CYCLE_1)
	s_cselect_b32 s9, s9, 0x7c
	v_mov_b32_e32 v5, s9
.LBB38_602:
	s_lshr_b32 s8, s8, 24
	s_delay_alu instid0(SALU_CYCLE_1)
	s_and_b32 s8, s8, 0x80
	s_delay_alu instid0(VALU_DEP_1) | instid1(SALU_CYCLE_1)
	v_or_b32_e32 v4, s8, v5
	global_store_b8 v[0:1], v4, off
.LBB38_603:
	s_mov_b32 s8, 0
	s_mov_b32 s9, -1
.LBB38_604:
	s_and_not1_b32 vcc_lo, exec_lo, s8
	s_mov_b32 s8, 0
	s_cbranch_vccnz .LBB38_611
; %bb.605:
	v_cmp_lt_i16_e32 vcc_lo, 14, v2
	s_mov_b32 s8, -1
	s_cbranch_vccz .LBB38_609
; %bb.606:
	v_cmp_eq_u16_e32 vcc_lo, 15, v2
	s_mov_b32 s0, -1
	s_cbranch_vccz .LBB38_608
; %bb.607:
	s_sext_i32_i16 s0, s7
	s_mov_b32 s9, -1
	v_cvt_f32_i32_e32 v4, s0
	s_mov_b32 s0, 0
	s_delay_alu instid0(VALU_DEP_1) | instskip(NEXT) | instid1(VALU_DEP_1)
	v_bfe_u32 v5, v4, 16, 1
	v_add_nc_u32_e32 v4, v4, v5
	s_delay_alu instid0(VALU_DEP_1)
	v_add_nc_u32_e32 v4, 0x7fff, v4
	global_store_d16_hi_b16 v[0:1], v4, off
.LBB38_608:
	s_mov_b32 s8, 0
.LBB38_609:
	s_delay_alu instid0(SALU_CYCLE_1)
	s_and_b32 vcc_lo, exec_lo, s8
	s_mov_b32 s8, 0
	s_cbranch_vccz .LBB38_611
; %bb.610:
	v_cmp_ne_u16_e64 s0, 11, v2
	s_mov_b32 s8, -1
.LBB38_611:
	s_delay_alu instid0(VALU_DEP_1)
	s_and_b32 vcc_lo, exec_lo, s0
	s_cbranch_vccnz .LBB38_728
; %bb.612:
	s_and_not1_b32 vcc_lo, exec_lo, s8
	s_cbranch_vccnz .LBB38_614
.LBB38_613:
	v_cmp_ne_u16_e64 s0, s7, 0
	s_mov_b32 s9, -1
	s_delay_alu instid0(VALU_DEP_1)
	v_cndmask_b32_e64 v4, 0, 1, s0
	global_store_b8 v[0:1], v4, off
.LBB38_614:
.LBB38_615:
	s_and_not1_b32 vcc_lo, exec_lo, s9
	s_cbranch_vccnz .LBB38_683
.LBB38_616:
	v_add_nc_u32_e32 v3, s6, v3
	v_cmp_gt_i16_e32 vcc_lo, 11, v2
	s_delay_alu instid0(VALU_DEP_2) | instskip(SKIP_1) | instid1(VALU_DEP_1)
	v_ashrrev_i32_e32 v1, 31, v3
	v_add_co_u32 v0, s0, s4, v3
	v_add_co_ci_u32_e64 v1, s0, s5, v1, s0
	s_cbranch_vccnz .LBB38_644
; %bb.617:
	v_cmp_lt_i16_e32 vcc_lo, 25, v2
	s_mov_b32 s10, -1
	s_mov_b32 s8, 0
	s_mov_b32 s9, 0
	;; [unrolled: 1-line block ×3, first 2 shown]
	s_cbranch_vccz .LBB38_740
; %bb.618:
	v_cmp_lt_i16_e32 vcc_lo, 28, v2
	s_cbranch_vccz .LBB38_633
; %bb.619:
	v_cmp_lt_i16_e32 vcc_lo, 43, v2
	;; [unrolled: 3-line block ×3, first 2 shown]
	s_cbranch_vccz .LBB38_623
; %bb.621:
	v_cmp_eq_u16_e32 vcc_lo, 46, v2
	s_mov_b32 s0, -1
	s_mov_b32 s10, 0
	s_cbranch_vccz .LBB38_623
; %bb.622:
	s_sext_i32_i16 s0, s7
	s_mov_b32 s9, -1
	v_cvt_f32_i32_e32 v4, s0
	s_mov_b32 s0, 0
	s_delay_alu instid0(VALU_DEP_1) | instskip(NEXT) | instid1(VALU_DEP_1)
	v_bfe_u32 v5, v4, 16, 1
	v_add_nc_u32_e32 v4, v4, v5
	s_delay_alu instid0(VALU_DEP_1) | instskip(NEXT) | instid1(VALU_DEP_1)
	v_add_nc_u32_e32 v4, 0x7fff, v4
	v_lshrrev_b32_e32 v4, 16, v4
	global_store_b32 v[0:1], v4, off
.LBB38_623:
	s_and_b32 vcc_lo, exec_lo, s10
	s_cbranch_vccz .LBB38_628
; %bb.624:
	v_cmp_eq_u16_e32 vcc_lo, 44, v2
	s_mov_b32 s0, -1
	s_cbranch_vccz .LBB38_628
; %bb.625:
	s_sext_i32_i16 s0, s7
	v_mov_b32_e32 v5, 0xff
	v_cvt_f32_i32_e32 v4, s0
	s_delay_alu instid0(VALU_DEP_1) | instskip(NEXT) | instid1(VALU_DEP_1)
	v_readfirstlane_b32 s0, v4
	s_bfe_u32 s9, s0, 0x80017
	s_delay_alu instid0(SALU_CYCLE_1)
	s_cmpk_eq_i32 s9, 0xff
	s_cbranch_scc1 .LBB38_627
; %bb.626:
	s_bitcmp1_b32 s0, 22
	v_lshrrev_b32_e32 v4, 23, v4
	s_cselect_b32 s10, -1, 0
	s_and_b32 s0, s0, 0x3fffff
	s_delay_alu instid0(SALU_CYCLE_1) | instskip(NEXT) | instid1(SALU_CYCLE_1)
	s_or_b32 s0, s9, s0
	s_cmp_lg_u32 s0, 0
	s_cselect_b32 s0, -1, 0
	s_delay_alu instid0(SALU_CYCLE_1) | instskip(NEXT) | instid1(SALU_CYCLE_1)
	s_and_b32 s0, s10, s0
	v_cndmask_b32_e64 v5, 0, 1, s0
	s_delay_alu instid0(VALU_DEP_1)
	v_add_nc_u32_e32 v5, v4, v5
.LBB38_627:
	s_mov_b32 s0, 0
	s_mov_b32 s9, -1
	global_store_b8 v[0:1], v5, off
.LBB38_628:
	s_mov_b32 s10, 0
.LBB38_629:
	s_delay_alu instid0(SALU_CYCLE_1)
	s_and_b32 vcc_lo, exec_lo, s10
	s_cbranch_vccz .LBB38_632
; %bb.630:
	v_cmp_eq_u16_e32 vcc_lo, 29, v2
	s_mov_b32 s0, -1
	s_cbranch_vccz .LBB38_632
; %bb.631:
	s_sext_i32_i16 s0, s7
	s_delay_alu instid0(SALU_CYCLE_1) | instskip(NEXT) | instid1(SALU_CYCLE_1)
	s_ashr_i32 s9, s0, 31
	v_dual_mov_b32 v4, s0 :: v_dual_mov_b32 v5, s9
	s_mov_b32 s0, 0
	s_mov_b32 s9, -1
	global_store_b64 v[0:1], v[4:5], off
.LBB38_632:
	s_mov_b32 s10, 0
.LBB38_633:
	s_delay_alu instid0(SALU_CYCLE_1)
	s_and_b32 vcc_lo, exec_lo, s10
	s_cbranch_vccz .LBB38_739
; %bb.634:
	v_cmp_gt_i16_e32 vcc_lo, 27, v2
	s_mov_b32 s9, -1
	s_cbranch_vccnz .LBB38_640
; %bb.635:
	v_cmp_lt_i16_e32 vcc_lo, 27, v2
	s_cbranch_vccz .LBB38_637
; %bb.636:
	s_sext_i32_i16 s9, s7
	s_delay_alu instid0(SALU_CYCLE_1)
	v_mov_b32_e32 v4, s9
	s_mov_b32 s9, 0
	global_store_b32 v[0:1], v4, off
.LBB38_637:
	s_and_not1_b32 vcc_lo, exec_lo, s9
	s_cbranch_vccnz .LBB38_639
; %bb.638:
	v_mov_b32_e32 v4, s7
	global_store_b16 v[0:1], v4, off
.LBB38_639:
	s_mov_b32 s9, 0
.LBB38_640:
	s_delay_alu instid0(SALU_CYCLE_1)
	s_and_not1_b32 vcc_lo, exec_lo, s9
	s_cbranch_vccnz .LBB38_738
; %bb.641:
	s_sext_i32_i16 s9, s7
	v_mov_b32_e32 v5, 0x80
	v_cvt_f32_i32_e32 v4, s9
	s_delay_alu instid0(VALU_DEP_1) | instskip(NEXT) | instid1(VALU_DEP_1)
	v_readfirstlane_b32 s9, v4
	s_and_b32 s10, s9, 0x7fffffff
	s_delay_alu instid0(SALU_CYCLE_1)
	s_cmp_gt_u32 s10, 0x437fffff
	s_cbranch_scc1 .LBB38_737
; %bb.642:
	s_cmp_gt_u32 s10, 0x3bffffff
	s_cbranch_scc0 .LBB38_732
; %bb.643:
	s_bfe_u32 s10, s9, 0x10014
	s_mov_b32 s11, 0
	s_add_i32 s10, s9, s10
	s_delay_alu instid0(SALU_CYCLE_1) | instskip(NEXT) | instid1(SALU_CYCLE_1)
	s_add_i32 s10, s10, 0x487ffff
	s_lshr_b32 s12, s10, 20
	s_mov_b32 s10, -1
	s_branch .LBB38_733
.LBB38_644:
	s_mov_b32 s9, 0
	s_cbranch_execz .LBB38_838
; %bb.645:
	v_cmp_gt_i16_e32 vcc_lo, 5, v2
	s_mov_b32 s0, -1
	s_cbranch_vccnz .LBB38_666
; %bb.646:
	v_cmp_gt_i16_e32 vcc_lo, 8, v2
	s_cbranch_vccnz .LBB38_656
; %bb.647:
	v_cmp_gt_i16_e32 vcc_lo, 9, v2
	s_cbranch_vccnz .LBB38_653
; %bb.648:
	v_cmp_lt_i16_e32 vcc_lo, 9, v2
	s_cbranch_vccz .LBB38_650
; %bb.649:
	s_sext_i32_i16 s0, s7
	v_mov_b32_e32 v6, 0
	v_cvt_f64_i32_e32 v[4:5], s0
	s_mov_b32 s0, 0
	s_delay_alu instid0(VALU_DEP_2)
	v_mov_b32_e32 v7, v6
	global_store_b128 v[0:1], v[4:7], off
.LBB38_650:
	s_and_not1_b32 vcc_lo, exec_lo, s0
	s_cbranch_vccnz .LBB38_652
; %bb.651:
	s_sext_i32_i16 s0, s7
	v_mov_b32_e32 v5, 0
	v_cvt_f32_i32_e32 v4, s0
	global_store_b64 v[0:1], v[4:5], off
.LBB38_652:
	s_mov_b32 s0, 0
.LBB38_653:
	s_delay_alu instid0(SALU_CYCLE_1)
	s_and_not1_b32 vcc_lo, exec_lo, s0
	s_cbranch_vccnz .LBB38_655
; %bb.654:
	v_cvt_f16_i16_e32 v4, s7
	s_delay_alu instid0(VALU_DEP_1)
	v_and_b32_e32 v4, 0xffff, v4
	global_store_b32 v[0:1], v4, off
.LBB38_655:
	s_mov_b32 s0, 0
.LBB38_656:
	s_delay_alu instid0(SALU_CYCLE_1)
	s_and_not1_b32 vcc_lo, exec_lo, s0
	s_cbranch_vccnz .LBB38_665
; %bb.657:
	v_cmp_gt_i16_e32 vcc_lo, 6, v2
	s_mov_b32 s0, -1
	s_cbranch_vccnz .LBB38_663
; %bb.658:
	v_cmp_lt_i16_e32 vcc_lo, 6, v2
	s_cbranch_vccz .LBB38_660
; %bb.659:
	s_sext_i32_i16 s0, s7
	s_delay_alu instid0(SALU_CYCLE_1)
	v_cvt_f64_i32_e32 v[4:5], s0
	s_mov_b32 s0, 0
	global_store_b64 v[0:1], v[4:5], off
.LBB38_660:
	s_and_not1_b32 vcc_lo, exec_lo, s0
	s_cbranch_vccnz .LBB38_662
; %bb.661:
	s_sext_i32_i16 s0, s7
	s_delay_alu instid0(SALU_CYCLE_1)
	v_cvt_f32_i32_e32 v4, s0
	global_store_b32 v[0:1], v4, off
.LBB38_662:
	s_mov_b32 s0, 0
.LBB38_663:
	s_delay_alu instid0(SALU_CYCLE_1)
	s_and_not1_b32 vcc_lo, exec_lo, s0
	s_cbranch_vccnz .LBB38_665
; %bb.664:
	v_cvt_f16_i16_e32 v4, s7
	global_store_b16 v[0:1], v4, off
.LBB38_665:
	s_mov_b32 s0, 0
.LBB38_666:
	s_delay_alu instid0(SALU_CYCLE_1)
	s_and_not1_b32 vcc_lo, exec_lo, s0
	s_cbranch_vccnz .LBB38_682
; %bb.667:
	v_cmp_gt_i16_e32 vcc_lo, 2, v2
	s_mov_b32 s0, -1
	s_cbranch_vccnz .LBB38_677
; %bb.668:
	v_cmp_gt_i16_e32 vcc_lo, 3, v2
	s_cbranch_vccnz .LBB38_674
; %bb.669:
	v_cmp_lt_i16_e32 vcc_lo, 3, v2
	s_cbranch_vccz .LBB38_671
; %bb.670:
	s_sext_i32_i16 s0, s7
	s_delay_alu instid0(SALU_CYCLE_1) | instskip(NEXT) | instid1(SALU_CYCLE_1)
	s_ashr_i32 s8, s0, 31
	v_dual_mov_b32 v4, s0 :: v_dual_mov_b32 v5, s8
	s_mov_b32 s0, 0
	global_store_b64 v[0:1], v[4:5], off
.LBB38_671:
	s_and_not1_b32 vcc_lo, exec_lo, s0
	s_cbranch_vccnz .LBB38_673
; %bb.672:
	s_sext_i32_i16 s0, s7
	s_delay_alu instid0(SALU_CYCLE_1)
	v_mov_b32_e32 v4, s0
	global_store_b32 v[0:1], v4, off
.LBB38_673:
	s_mov_b32 s0, 0
.LBB38_674:
	s_delay_alu instid0(SALU_CYCLE_1)
	s_and_not1_b32 vcc_lo, exec_lo, s0
	s_cbranch_vccnz .LBB38_676
; %bb.675:
	v_mov_b32_e32 v4, s7
	global_store_b16 v[0:1], v4, off
.LBB38_676:
	s_mov_b32 s0, 0
.LBB38_677:
	s_delay_alu instid0(SALU_CYCLE_1)
	s_and_not1_b32 vcc_lo, exec_lo, s0
	s_cbranch_vccnz .LBB38_682
; %bb.678:
	v_cmp_lt_i16_e32 vcc_lo, 0, v2
	s_mov_b32 s0, -1
	s_cbranch_vccz .LBB38_680
; %bb.679:
	v_mov_b32_e32 v4, s7
	s_mov_b32 s0, 0
	global_store_b8 v[0:1], v4, off
.LBB38_680:
	s_and_not1_b32 vcc_lo, exec_lo, s0
	s_cbranch_vccnz .LBB38_682
; %bb.681:
	v_mov_b32_e32 v4, s7
	global_store_b8 v[0:1], v4, off
.LBB38_682:
	s_branch .LBB38_839
.LBB38_683:
	s_mov_b32 s0, 0
	s_mov_b32 s4, 0
                                        ; implicit-def: $vgpr2
                                        ; implicit-def: $vgpr0_vgpr1
.LBB38_684:
	s_and_not1_b32 s1, s1, exec_lo
	s_and_b32 s3, s3, exec_lo
	s_and_b32 s0, s0, exec_lo
	;; [unrolled: 1-line block ×3, first 2 shown]
	s_or_b32 s1, s1, s3
.LBB38_685:
	s_or_b32 exec_lo, exec_lo, s2
	s_and_saveexec_b32 s2, s1
	s_cbranch_execz .LBB38_688
; %bb.686:
	; divergent unreachable
	s_or_b32 exec_lo, exec_lo, s2
	s_and_saveexec_b32 s1, s8
	s_delay_alu instid0(SALU_CYCLE_1)
	s_xor_b32 s1, exec_lo, s1
	s_cbranch_execnz .LBB38_689
.LBB38_687:
	s_or_b32 exec_lo, exec_lo, s1
	s_and_saveexec_b32 s1, s0
	s_cbranch_execnz .LBB38_690
	s_branch .LBB38_727
.LBB38_688:
	s_or_b32 exec_lo, exec_lo, s2
	s_and_saveexec_b32 s1, s8
	s_delay_alu instid0(SALU_CYCLE_1)
	s_xor_b32 s1, exec_lo, s1
	s_cbranch_execz .LBB38_687
.LBB38_689:
	v_cmp_ne_u16_e64 s2, s7, 0
	s_delay_alu instid0(VALU_DEP_1)
	v_cndmask_b32_e64 v3, 0, 1, s2
	global_store_b8 v[0:1], v3, off
	s_or_b32 exec_lo, exec_lo, s1
	s_and_saveexec_b32 s1, s0
	s_cbranch_execz .LBB38_727
.LBB38_690:
	v_cmp_gt_i16_e32 vcc_lo, 5, v2
	s_mov_b32 s0, -1
	s_cbranch_vccnz .LBB38_711
; %bb.691:
	v_cmp_gt_i16_e32 vcc_lo, 8, v2
	s_cbranch_vccnz .LBB38_701
; %bb.692:
	v_cmp_gt_i16_e32 vcc_lo, 9, v2
	s_cbranch_vccnz .LBB38_698
; %bb.693:
	v_cmp_lt_i16_e32 vcc_lo, 9, v2
	s_cbranch_vccz .LBB38_695
; %bb.694:
	s_sext_i32_i16 s0, s7
	v_mov_b32_e32 v5, 0
	v_cvt_f64_i32_e32 v[3:4], s0
	s_mov_b32 s0, 0
	s_delay_alu instid0(VALU_DEP_2)
	v_mov_b32_e32 v6, v5
	global_store_b128 v[0:1], v[3:6], off
.LBB38_695:
	s_and_not1_b32 vcc_lo, exec_lo, s0
	s_cbranch_vccnz .LBB38_697
; %bb.696:
	s_sext_i32_i16 s0, s7
	v_mov_b32_e32 v4, 0
	v_cvt_f32_i32_e32 v3, s0
	global_store_b64 v[0:1], v[3:4], off
.LBB38_697:
	s_mov_b32 s0, 0
.LBB38_698:
	s_delay_alu instid0(SALU_CYCLE_1)
	s_and_not1_b32 vcc_lo, exec_lo, s0
	s_cbranch_vccnz .LBB38_700
; %bb.699:
	v_cvt_f16_i16_e32 v3, s7
	s_delay_alu instid0(VALU_DEP_1)
	v_and_b32_e32 v3, 0xffff, v3
	global_store_b32 v[0:1], v3, off
.LBB38_700:
	s_mov_b32 s0, 0
.LBB38_701:
	s_delay_alu instid0(SALU_CYCLE_1)
	s_and_not1_b32 vcc_lo, exec_lo, s0
	s_cbranch_vccnz .LBB38_710
; %bb.702:
	v_cmp_gt_i16_e32 vcc_lo, 6, v2
	s_mov_b32 s0, -1
	s_cbranch_vccnz .LBB38_708
; %bb.703:
	v_cmp_lt_i16_e32 vcc_lo, 6, v2
	s_cbranch_vccz .LBB38_705
; %bb.704:
	s_sext_i32_i16 s0, s7
	s_delay_alu instid0(SALU_CYCLE_1)
	v_cvt_f64_i32_e32 v[3:4], s0
	s_mov_b32 s0, 0
	global_store_b64 v[0:1], v[3:4], off
.LBB38_705:
	s_and_not1_b32 vcc_lo, exec_lo, s0
	s_cbranch_vccnz .LBB38_707
; %bb.706:
	s_sext_i32_i16 s0, s7
	s_delay_alu instid0(SALU_CYCLE_1)
	v_cvt_f32_i32_e32 v3, s0
	global_store_b32 v[0:1], v3, off
.LBB38_707:
	s_mov_b32 s0, 0
.LBB38_708:
	s_delay_alu instid0(SALU_CYCLE_1)
	s_and_not1_b32 vcc_lo, exec_lo, s0
	s_cbranch_vccnz .LBB38_710
; %bb.709:
	v_cvt_f16_i16_e32 v3, s7
	global_store_b16 v[0:1], v3, off
.LBB38_710:
	s_mov_b32 s0, 0
.LBB38_711:
	s_delay_alu instid0(SALU_CYCLE_1)
	s_and_not1_b32 vcc_lo, exec_lo, s0
	s_cbranch_vccnz .LBB38_727
; %bb.712:
	v_cmp_gt_i16_e32 vcc_lo, 2, v2
	s_mov_b32 s0, -1
	s_cbranch_vccnz .LBB38_722
; %bb.713:
	v_cmp_gt_i16_e32 vcc_lo, 3, v2
	s_cbranch_vccnz .LBB38_719
; %bb.714:
	v_cmp_lt_i16_e32 vcc_lo, 3, v2
	s_cbranch_vccz .LBB38_716
; %bb.715:
	s_sext_i32_i16 s0, s7
	s_delay_alu instid0(SALU_CYCLE_1) | instskip(NEXT) | instid1(SALU_CYCLE_1)
	s_ashr_i32 s1, s0, 31
	v_dual_mov_b32 v3, s0 :: v_dual_mov_b32 v4, s1
	s_mov_b32 s0, 0
	global_store_b64 v[0:1], v[3:4], off
.LBB38_716:
	s_and_not1_b32 vcc_lo, exec_lo, s0
	s_cbranch_vccnz .LBB38_718
; %bb.717:
	s_sext_i32_i16 s0, s7
	s_delay_alu instid0(SALU_CYCLE_1)
	v_mov_b32_e32 v3, s0
	global_store_b32 v[0:1], v3, off
.LBB38_718:
	s_mov_b32 s0, 0
.LBB38_719:
	s_delay_alu instid0(SALU_CYCLE_1)
	s_and_not1_b32 vcc_lo, exec_lo, s0
	s_cbranch_vccnz .LBB38_721
; %bb.720:
	v_mov_b32_e32 v3, s7
	global_store_b16 v[0:1], v3, off
.LBB38_721:
	s_mov_b32 s0, 0
.LBB38_722:
	s_delay_alu instid0(SALU_CYCLE_1)
	s_and_not1_b32 vcc_lo, exec_lo, s0
	s_cbranch_vccnz .LBB38_727
; %bb.723:
	v_cmp_lt_i16_e32 vcc_lo, 0, v2
	s_mov_b32 s0, -1
	s_cbranch_vccz .LBB38_725
; %bb.724:
	v_mov_b32_e32 v2, s7
	s_mov_b32 s0, 0
	global_store_b8 v[0:1], v2, off
.LBB38_725:
	s_and_not1_b32 vcc_lo, exec_lo, s0
	s_cbranch_vccnz .LBB38_727
; %bb.726:
	v_mov_b32_e32 v2, s7
	global_store_b8 v[0:1], v2, off
	s_nop 0
	s_sendmsg sendmsg(MSG_DEALLOC_VGPRS)
	s_endpgm
.LBB38_727:
	s_nop 0
	s_sendmsg sendmsg(MSG_DEALLOC_VGPRS)
	s_endpgm
.LBB38_728:
	s_cbranch_execnz .LBB38_730
; %bb.729:
	s_or_b32 s3, s3, exec_lo
	s_cbranch_execz .LBB38_613
	s_branch .LBB38_614
.LBB38_730:
	s_trap 2
	s_sendmsg_rtn_b32 s0, sendmsg(MSG_RTN_GET_DOORBELL)
	s_mov_b32 ttmp2, m0
	s_waitcnt lgkmcnt(0)
	s_and_b32 s0, s0, 0x3ff
	s_delay_alu instid0(SALU_CYCLE_1) | instskip(NEXT) | instid1(SALU_CYCLE_1)
	s_bitset1_b32 s0, 10
	s_mov_b32 m0, s0
	s_sendmsg sendmsg(MSG_INTERRUPT)
	s_mov_b32 m0, ttmp2
.LBB38_731:                             ; =>This Inner Loop Header: Depth=1
	s_sethalt 5
	s_branch .LBB38_731
.LBB38_732:
	s_mov_b32 s11, -1
	s_mov_b32 s10, 0
                                        ; implicit-def: $sgpr12
.LBB38_733:
	v_mov_b32_e32 v4, s12
	s_and_not1_b32 vcc_lo, exec_lo, s11
                                        ; implicit-def: $sgpr11
	s_cbranch_vccnz .LBB38_735
; %bb.734:
	v_add_f32_e64 v4, 0x46000000, |s9|
	s_mov_b32 s11, 0
	s_delay_alu instid0(VALU_DEP_1) | instskip(NEXT) | instid1(VALU_DEP_1)
	v_and_b32_e32 v4, 0xff, v4
	v_cmp_ne_u32_e64 s10, 0, v4
.LBB38_735:
	v_mov_b32_e32 v5, s11
	s_delay_alu instid0(VALU_DEP_2)
	s_and_not1_b32 vcc_lo, exec_lo, s10
	s_cbranch_vccnz .LBB38_737
; %bb.736:
	s_lshr_b32 s9, s9, 24
	s_delay_alu instid0(SALU_CYCLE_1) | instskip(NEXT) | instid1(SALU_CYCLE_1)
	s_and_b32 s9, s9, 0x80
	v_or_b32_e32 v5, s9, v4
.LBB38_737:
	global_store_b8 v[0:1], v5, off
.LBB38_738:
	s_mov_b32 s9, -1
.LBB38_739:
	s_mov_b32 s10, 0
.LBB38_740:
	s_delay_alu instid0(SALU_CYCLE_1)
	s_and_b32 vcc_lo, exec_lo, s10
	s_cbranch_vccz .LBB38_834
; %bb.741:
	v_cmp_lt_i16_e32 vcc_lo, 22, v2
	s_mov_b32 s8, -1
	s_cbranch_vccz .LBB38_827
; %bb.742:
	v_cmp_gt_i16_e32 vcc_lo, 24, v2
	s_cbranch_vccnz .LBB38_814
; %bb.743:
	v_cmp_lt_i16_e32 vcc_lo, 24, v2
	s_cbranch_vccz .LBB38_801
; %bb.744:
	s_sext_i32_i16 s8, s7
	v_mov_b32_e32 v5, 0x80
	v_cvt_f32_i32_e32 v4, s8
	s_delay_alu instid0(VALU_DEP_1) | instskip(NEXT) | instid1(VALU_DEP_1)
	v_readfirstlane_b32 s8, v4
	s_and_b32 s9, s8, 0x7fffffff
	s_delay_alu instid0(SALU_CYCLE_1)
	s_cmp_gt_u32 s9, 0x477fffff
	s_cbranch_scc1 .LBB38_800
; %bb.745:
	s_cmp_gt_u32 s9, 0x37ffffff
	s_cbranch_scc0 .LBB38_795
; %bb.746:
	s_bfe_u32 s9, s8, 0x10015
	s_mov_b32 s10, 0
	s_add_i32 s9, s8, s9
	s_delay_alu instid0(SALU_CYCLE_1) | instskip(NEXT) | instid1(SALU_CYCLE_1)
	s_add_i32 s9, s9, 0x88fffff
	s_lshr_b32 s11, s9, 21
	s_mov_b32 s9, -1
	s_branch .LBB38_796
.LBB38_747:
	s_mov_b32 s37, 0
.LBB38_748:
	s_delay_alu instid0(SALU_CYCLE_1)
	s_and_b32 vcc_lo, exec_lo, s37
	s_cbranch_vccz .LBB38_751
; %bb.749:
	v_cmp_eq_u16_e32 vcc_lo, 29, v17
	s_mov_b32 s1, -1
	s_cbranch_vccz .LBB38_751
; %bb.750:
	v_dual_mov_b32 v2, s2 :: v_dual_mov_b32 v3, s3
	s_mov_b32 s1, 0
	s_mov_b32 s37, 0
	global_store_b64 v[6:7], v[2:3], off
	s_branch .LBB38_752
.LBB38_751:
	s_mov_b32 s37, 0
.LBB38_752:
	s_delay_alu instid0(SALU_CYCLE_1)
	s_and_b32 vcc_lo, exec_lo, s37
	s_cbranch_vccz .LBB38_764
; %bb.753:
	v_cmp_gt_i16_e32 vcc_lo, 27, v17
	s_mov_b32 s0, -1
	s_cbranch_vccnz .LBB38_759
; %bb.754:
	v_cmp_lt_i16_e32 vcc_lo, 27, v17
	s_cbranch_vccz .LBB38_756
; %bb.755:
	v_mov_b32_e32 v2, s2
	s_mov_b32 s0, 0
	global_store_b32 v[6:7], v2, off
.LBB38_756:
	s_and_not1_b32 vcc_lo, exec_lo, s0
	s_cbranch_vccnz .LBB38_758
; %bb.757:
	v_mov_b32_e32 v2, s7
	global_store_b16 v[6:7], v2, off
.LBB38_758:
	s_mov_b32 s0, 0
.LBB38_759:
	s_delay_alu instid0(SALU_CYCLE_1)
	s_and_not1_b32 vcc_lo, exec_lo, s0
	s_cbranch_vccnz .LBB38_764
; %bb.760:
	v_mov_b32_e32 v2, 0x80
	s_and_not1_b32 vcc_lo, exec_lo, s25
	s_cbranch_vccnz .LBB38_763
; %bb.761:
	v_mov_b32_e32 v2, 0
	s_or_b32 s0, s21, s28
	s_delay_alu instid0(SALU_CYCLE_1)
	s_and_not1_b32 vcc_lo, exec_lo, s0
	s_cbranch_vccnz .LBB38_763
; %bb.762:
	v_cndmask_b32_e64 v2, v14, s27, s21
	s_delay_alu instid0(VALU_DEP_1)
	v_or_b32_e32 v2, v2, v12
.LBB38_763:
	global_store_b8 v[6:7], v2, off
.LBB38_764:
	s_mov_b32 s37, 0
.LBB38_765:
	s_delay_alu instid0(SALU_CYCLE_1)
	s_and_b32 vcc_lo, exec_lo, s37
	s_mov_b32 s0, 0
	s_cbranch_vccz .LBB38_786
; %bb.766:
	v_cmp_lt_i16_e32 vcc_lo, 22, v17
	s_mov_b32 s21, -1
	s_cbranch_vccz .LBB38_779
; %bb.767:
	v_cmp_gt_i16_e32 vcc_lo, 24, v17
	s_cbranch_vccnz .LBB38_776
; %bb.768:
	v_cmp_lt_i16_e32 vcc_lo, 24, v17
	s_cbranch_vccz .LBB38_773
; %bb.769:
	v_mov_b32_e32 v2, 0x80
	s_and_not1_b32 vcc_lo, exec_lo, s24
	s_cbranch_vccnz .LBB38_772
; %bb.770:
	v_mov_b32_e32 v2, 0
	s_or_b32 s21, s19, s26
	s_delay_alu instid0(SALU_CYCLE_1)
	s_and_not1_b32 vcc_lo, exec_lo, s21
	s_cbranch_vccnz .LBB38_772
; %bb.771:
	v_cndmask_b32_e64 v2, v13, s22, s19
	s_delay_alu instid0(VALU_DEP_1)
	v_or_b32_e32 v2, v2, v12
.LBB38_772:
	s_mov_b32 s21, 0
	global_store_b8 v[6:7], v2, off
.LBB38_773:
	s_and_b32 vcc_lo, exec_lo, s21
	s_cbranch_vccz .LBB38_775
; %bb.774:
	s_and_b32 s16, s16, exec_lo
	s_cselect_b32 s16, s17, s20
	s_and_b32 s14, s14, exec_lo
	s_cselect_b32 s14, s23, s16
	s_delay_alu instid0(SALU_CYCLE_1)
	v_or_b32_e32 v2, s14, v12
	global_store_b8 v[6:7], v2, off
.LBB38_775:
	s_mov_b32 s21, 0
.LBB38_776:
	s_delay_alu instid0(SALU_CYCLE_1)
	s_and_not1_b32 vcc_lo, exec_lo, s21
	s_cbranch_vccnz .LBB38_778
; %bb.777:
	s_and_b32 s12, s12, exec_lo
	s_cselect_b32 s12, s15, s13
	s_and_b32 s11, s11, exec_lo
	s_cselect_b32 s11, s18, s12
	s_delay_alu instid0(SALU_CYCLE_1)
	v_or_b32_e32 v2, s11, v12
	global_store_b8 v[6:7], v2, off
.LBB38_778:
	s_mov_b32 s21, 0
.LBB38_779:
	s_delay_alu instid0(SALU_CYCLE_1)
	s_and_not1_b32 vcc_lo, exec_lo, s21
	s_mov_b32 s11, 0
	s_cbranch_vccnz .LBB38_787
; %bb.780:
	v_cmp_lt_i16_e32 vcc_lo, 14, v17
	s_mov_b32 s11, -1
	s_cbranch_vccz .LBB38_784
; %bb.781:
	v_cmp_eq_u16_e32 vcc_lo, 15, v17
	s_mov_b32 s1, -1
	s_cbranch_vccz .LBB38_783
; %bb.782:
	s_mov_b32 s1, 0
	global_store_b16 v[6:7], v11, off
.LBB38_783:
	s_mov_b32 s11, 0
.LBB38_784:
	s_delay_alu instid0(SALU_CYCLE_1)
	s_and_b32 vcc_lo, exec_lo, s11
	s_mov_b32 s11, 0
	s_cbranch_vccz .LBB38_787
; %bb.785:
	v_cmp_ne_u16_e32 vcc_lo, 11, v17
	s_and_not1_b32 s1, s1, exec_lo
	s_mov_b32 s11, -1
	s_and_b32 s12, vcc_lo, exec_lo
	s_delay_alu instid0(SALU_CYCLE_1)
	s_or_b32 s1, s1, s12
	s_branch .LBB38_787
.LBB38_786:
	s_mov_b32 s11, 0
.LBB38_787:
	s_and_b32 s37, s0, exec_lo
	s_and_not1_b32 s0, s36, exec_lo
	s_and_b32 s12, s1, exec_lo
	s_and_b32 s1, s11, exec_lo
	s_or_b32 s38, s0, s12
.LBB38_788:
	s_or_b32 exec_lo, exec_lo, s29
	s_delay_alu instid0(SALU_CYCLE_1)
	s_and_not1_b32 s0, s36, exec_lo
	s_and_b32 s11, s38, exec_lo
	s_and_b32 s37, s37, exec_lo
	;; [unrolled: 1-line block ×3, first 2 shown]
	s_or_b32 s36, s0, s11
.LBB38_789:
	s_or_b32 exec_lo, exec_lo, s35
	s_delay_alu instid0(SALU_CYCLE_1)
	s_and_not1_b32 s0, s33, exec_lo
	s_and_b32 s11, s36, exec_lo
	s_and_b32 s37, s37, exec_lo
	;; [unrolled: 1-line block ×3, first 2 shown]
	s_or_b32 s33, s0, s11
.LBB38_790:
	s_or_b32 exec_lo, exec_lo, s34
	s_delay_alu instid0(SALU_CYCLE_1)
	s_and_not1_b32 s0, s30, exec_lo
	s_and_b32 s11, s33, exec_lo
	s_and_b32 s1, s37, exec_lo
	;; [unrolled: 1-line block ×3, first 2 shown]
	s_or_b32 s30, s0, s11
	s_or_b32 exec_lo, exec_lo, s31
	s_mov_b32 s0, 0
	s_and_saveexec_b32 s11, s30
	s_cbranch_execz .LBB38_110
.LBB38_791:
	s_cbranch_execnz .LBB38_793
; %bb.792:
	s_mov_b32 s0, exec_lo
	s_and_not1_b32 s33, s33, exec_lo
	s_or_b32 exec_lo, exec_lo, s11
	s_and_saveexec_b32 s11, s33
	s_delay_alu instid0(SALU_CYCLE_1)
	s_xor_b32 s11, exec_lo, s11
	s_cbranch_execnz .LBB38_111
	s_branch .LBB38_112
.LBB38_793:
	s_trap 2
	s_sendmsg_rtn_b32 s0, sendmsg(MSG_RTN_GET_DOORBELL)
	s_mov_b32 ttmp2, m0
	s_waitcnt lgkmcnt(0)
	s_and_b32 s0, s0, 0x3ff
	s_delay_alu instid0(SALU_CYCLE_1) | instskip(NEXT) | instid1(SALU_CYCLE_1)
	s_bitset1_b32 s0, 10
	s_mov_b32 m0, s0
	s_sendmsg sendmsg(MSG_INTERRUPT)
	s_mov_b32 m0, ttmp2
.LBB38_794:                             ; =>This Inner Loop Header: Depth=1
	s_sethalt 5
	s_branch .LBB38_794
.LBB38_795:
	s_mov_b32 s10, -1
	s_mov_b32 s9, 0
                                        ; implicit-def: $sgpr11
.LBB38_796:
	v_mov_b32_e32 v4, s11
	s_and_not1_b32 vcc_lo, exec_lo, s10
                                        ; implicit-def: $sgpr10
	s_cbranch_vccnz .LBB38_798
; %bb.797:
	v_add_f32_e64 v4, 0x42800000, |s8|
	s_mov_b32 s10, 0
	s_delay_alu instid0(VALU_DEP_1) | instskip(NEXT) | instid1(VALU_DEP_1)
	v_and_b32_e32 v4, 0xff, v4
	v_cmp_ne_u32_e64 s9, 0, v4
.LBB38_798:
	v_mov_b32_e32 v5, s10
	s_delay_alu instid0(VALU_DEP_2)
	s_and_not1_b32 vcc_lo, exec_lo, s9
	s_cbranch_vccnz .LBB38_800
; %bb.799:
	s_lshr_b32 s8, s8, 24
	s_delay_alu instid0(SALU_CYCLE_1) | instskip(NEXT) | instid1(SALU_CYCLE_1)
	s_and_b32 s8, s8, 0x80
	v_or_b32_e32 v5, s8, v4
.LBB38_800:
	s_mov_b32 s8, 0
	global_store_b8 v[0:1], v5, off
.LBB38_801:
	s_and_b32 vcc_lo, exec_lo, s8
	s_cbranch_vccz .LBB38_813
; %bb.802:
	s_sext_i32_i16 s8, s7
	s_delay_alu instid0(SALU_CYCLE_1) | instskip(NEXT) | instid1(VALU_DEP_1)
	v_cvt_f32_i32_e32 v4, s8
	v_readfirstlane_b32 s8, v4
	s_delay_alu instid0(VALU_DEP_1) | instskip(NEXT) | instid1(SALU_CYCLE_1)
	s_and_b32 s9, s8, 0x7fffffff
	s_cmp_lt_u32 s9, 0x43f00000
	s_cbranch_scc0 .LBB38_805
; %bb.803:
	s_cmp_gt_u32 s9, 0x3c7fffff
	s_cbranch_scc0 .LBB38_806
; %bb.804:
	s_bfe_u32 s10, s8, 0x10014
	s_delay_alu instid0(SALU_CYCLE_1) | instskip(NEXT) | instid1(SALU_CYCLE_1)
	s_add_i32 s10, s8, s10
	s_add_i32 s10, s10, 0x407ffff
	s_delay_alu instid0(SALU_CYCLE_1)
	s_and_b32 s11, s10, 0xff00000
	s_lshr_b32 s10, s10, 20
	s_cmp_lg_u32 s11, 0x7f00000
	s_cselect_b32 s11, s10, 0x7e
	s_mov_b32 s10, 0
	s_branch .LBB38_807
.LBB38_805:
	s_mov_b32 s10, -1
                                        ; implicit-def: $vgpr5
	s_branch .LBB38_810
.LBB38_806:
	s_mov_b32 s10, -1
                                        ; implicit-def: $sgpr11
.LBB38_807:
	v_mov_b32_e32 v5, s11
	s_and_not1_b32 vcc_lo, exec_lo, s10
	s_cbranch_vccnz .LBB38_809
; %bb.808:
	v_add_f32_e64 v5, 0x46800000, |v4|
.LBB38_809:
	s_mov_b32 s10, 0
.LBB38_810:
	s_delay_alu instid0(SALU_CYCLE_1)
	s_and_not1_b32 vcc_lo, exec_lo, s10
	s_cbranch_vccnz .LBB38_812
; %bb.811:
	s_cmp_gt_u32 s9, 0x7f800000
	s_movk_i32 s9, 0x7f
	s_delay_alu instid0(SALU_CYCLE_1) | instskip(NEXT) | instid1(SALU_CYCLE_1)
	s_cselect_b32 s9, s9, 0x7e
	v_mov_b32_e32 v5, s9
.LBB38_812:
	s_lshr_b32 s8, s8, 24
	s_delay_alu instid0(SALU_CYCLE_1)
	s_and_b32 s8, s8, 0x80
	s_delay_alu instid0(VALU_DEP_1) | instid1(SALU_CYCLE_1)
	v_or_b32_e32 v4, s8, v5
	global_store_b8 v[0:1], v4, off
.LBB38_813:
	s_mov_b32 s8, 0
.LBB38_814:
	s_delay_alu instid0(SALU_CYCLE_1)
	s_and_not1_b32 vcc_lo, exec_lo, s8
	s_cbranch_vccnz .LBB38_826
; %bb.815:
	s_sext_i32_i16 s8, s7
	s_delay_alu instid0(SALU_CYCLE_1) | instskip(NEXT) | instid1(VALU_DEP_1)
	v_cvt_f32_i32_e32 v4, s8
	v_readfirstlane_b32 s8, v4
	s_delay_alu instid0(VALU_DEP_1) | instskip(NEXT) | instid1(SALU_CYCLE_1)
	s_and_b32 s9, s8, 0x7fffffff
	s_cmp_lt_u32 s9, 0x47800000
	s_cbranch_scc0 .LBB38_818
; %bb.816:
	s_cmp_gt_u32 s9, 0x387fffff
	s_cbranch_scc0 .LBB38_819
; %bb.817:
	s_bfe_u32 s10, s8, 0x10015
	s_delay_alu instid0(SALU_CYCLE_1) | instskip(NEXT) | instid1(SALU_CYCLE_1)
	s_add_i32 s10, s8, s10
	s_add_i32 s10, s10, 0x80fffff
	s_delay_alu instid0(SALU_CYCLE_1)
	s_lshr_b32 s11, s10, 21
	s_mov_b32 s10, 0
	s_branch .LBB38_820
.LBB38_818:
	s_mov_b32 s10, -1
                                        ; implicit-def: $vgpr5
	s_branch .LBB38_823
.LBB38_819:
	s_mov_b32 s10, -1
                                        ; implicit-def: $sgpr11
.LBB38_820:
	v_mov_b32_e32 v5, s11
	s_and_not1_b32 vcc_lo, exec_lo, s10
	s_cbranch_vccnz .LBB38_822
; %bb.821:
	v_add_f32_e64 v5, 0x43000000, |v4|
.LBB38_822:
	s_mov_b32 s10, 0
.LBB38_823:
	s_delay_alu instid0(SALU_CYCLE_1)
	s_and_not1_b32 vcc_lo, exec_lo, s10
	s_cbranch_vccnz .LBB38_825
; %bb.824:
	s_cmp_gt_u32 s9, 0x7f800000
	s_movk_i32 s9, 0x7f
	s_delay_alu instid0(SALU_CYCLE_1) | instskip(NEXT) | instid1(SALU_CYCLE_1)
	s_cselect_b32 s9, s9, 0x7c
	v_mov_b32_e32 v5, s9
.LBB38_825:
	s_lshr_b32 s8, s8, 24
	s_delay_alu instid0(SALU_CYCLE_1)
	s_and_b32 s8, s8, 0x80
	s_delay_alu instid0(VALU_DEP_1) | instid1(SALU_CYCLE_1)
	v_or_b32_e32 v4, s8, v5
	global_store_b8 v[0:1], v4, off
.LBB38_826:
	s_mov_b32 s8, 0
	s_mov_b32 s9, -1
.LBB38_827:
	s_and_not1_b32 vcc_lo, exec_lo, s8
	s_mov_b32 s8, 0
	s_cbranch_vccnz .LBB38_834
; %bb.828:
	v_cmp_lt_i16_e32 vcc_lo, 14, v2
	s_mov_b32 s8, -1
	s_cbranch_vccz .LBB38_832
; %bb.829:
	v_cmp_eq_u16_e32 vcc_lo, 15, v2
	s_mov_b32 s0, -1
	s_cbranch_vccz .LBB38_831
; %bb.830:
	s_sext_i32_i16 s0, s7
	s_mov_b32 s9, -1
	v_cvt_f32_i32_e32 v4, s0
	s_mov_b32 s0, 0
	s_delay_alu instid0(VALU_DEP_1) | instskip(NEXT) | instid1(VALU_DEP_1)
	v_bfe_u32 v5, v4, 16, 1
	v_add_nc_u32_e32 v4, v4, v5
	s_delay_alu instid0(VALU_DEP_1)
	v_add_nc_u32_e32 v4, 0x7fff, v4
	global_store_d16_hi_b16 v[0:1], v4, off
.LBB38_831:
	s_mov_b32 s8, 0
.LBB38_832:
	s_delay_alu instid0(SALU_CYCLE_1)
	s_and_b32 vcc_lo, exec_lo, s8
	s_mov_b32 s8, 0
	s_cbranch_vccz .LBB38_834
; %bb.833:
	v_cmp_ne_u16_e64 s0, 11, v2
	s_mov_b32 s8, -1
.LBB38_834:
	s_delay_alu instid0(VALU_DEP_1)
	s_and_b32 vcc_lo, exec_lo, s0
	s_cbranch_vccnz .LBB38_869
; %bb.835:
	s_and_not1_b32 vcc_lo, exec_lo, s8
	s_cbranch_vccnz .LBB38_837
.LBB38_836:
	v_cmp_ne_u16_e64 s0, s7, 0
	s_mov_b32 s9, -1
	s_delay_alu instid0(VALU_DEP_1)
	v_cndmask_b32_e64 v4, 0, 1, s0
	global_store_b8 v[0:1], v4, off
.LBB38_837:
.LBB38_838:
	s_and_not1_b32 vcc_lo, exec_lo, s9
	s_cbranch_vccnz .LBB38_683
.LBB38_839:
	v_add_nc_u32_e32 v0, s6, v3
	v_cmp_gt_i16_e32 vcc_lo, 11, v2
	s_delay_alu instid0(VALU_DEP_2) | instskip(SKIP_1) | instid1(VALU_DEP_1)
	v_ashrrev_i32_e32 v1, 31, v0
	v_add_co_u32 v0, s0, s4, v0
	v_add_co_ci_u32_e64 v1, s0, s5, v1, s0
	s_cbranch_vccnz .LBB38_868
; %bb.840:
	v_cmp_lt_i16_e32 vcc_lo, 25, v2
	s_mov_b32 s5, -1
	s_mov_b32 s4, 0
	s_mov_b32 s0, 0
	s_cbranch_vccz .LBB38_880
; %bb.841:
	v_cmp_lt_i16_e32 vcc_lo, 28, v2
	s_cbranch_vccz .LBB38_857
; %bb.842:
	v_cmp_lt_i16_e32 vcc_lo, 43, v2
	;; [unrolled: 3-line block ×3, first 2 shown]
	s_cbranch_vccz .LBB38_847
; %bb.844:
	v_cmp_eq_u16_e32 vcc_lo, 46, v2
	s_mov_b32 s0, -1
	s_cbranch_vccz .LBB38_846
; %bb.845:
	s_sext_i32_i16 s0, s7
	s_delay_alu instid0(SALU_CYCLE_1) | instskip(SKIP_1) | instid1(VALU_DEP_1)
	v_cvt_f32_i32_e32 v3, s0
	s_mov_b32 s0, 0
	v_bfe_u32 v4, v3, 16, 1
	s_delay_alu instid0(VALU_DEP_1) | instskip(NEXT) | instid1(VALU_DEP_1)
	v_add_nc_u32_e32 v3, v3, v4
	v_add_nc_u32_e32 v3, 0x7fff, v3
	s_delay_alu instid0(VALU_DEP_1)
	v_lshrrev_b32_e32 v3, 16, v3
	global_store_b32 v[0:1], v3, off
.LBB38_846:
	s_mov_b32 s5, 0
.LBB38_847:
	s_delay_alu instid0(SALU_CYCLE_1)
	s_and_b32 vcc_lo, exec_lo, s5
	s_cbranch_vccz .LBB38_852
; %bb.848:
	v_cmp_eq_u16_e32 vcc_lo, 44, v2
	s_mov_b32 s0, -1
	s_cbranch_vccz .LBB38_852
; %bb.849:
	s_sext_i32_i16 s0, s7
	v_mov_b32_e32 v4, 0xff
	v_cvt_f32_i32_e32 v3, s0
	s_delay_alu instid0(VALU_DEP_1) | instskip(NEXT) | instid1(VALU_DEP_1)
	v_readfirstlane_b32 s0, v3
	s_bfe_u32 s5, s0, 0x80017
	s_delay_alu instid0(SALU_CYCLE_1)
	s_cmpk_eq_i32 s5, 0xff
	s_cbranch_scc1 .LBB38_851
; %bb.850:
	s_bitcmp1_b32 s0, 22
	v_lshrrev_b32_e32 v3, 23, v3
	s_cselect_b32 s6, -1, 0
	s_and_b32 s0, s0, 0x3fffff
	s_delay_alu instid0(SALU_CYCLE_1) | instskip(NEXT) | instid1(SALU_CYCLE_1)
	s_or_b32 s0, s5, s0
	s_cmp_lg_u32 s0, 0
	s_cselect_b32 s0, -1, 0
	s_delay_alu instid0(SALU_CYCLE_1) | instskip(NEXT) | instid1(SALU_CYCLE_1)
	s_and_b32 s0, s6, s0
	v_cndmask_b32_e64 v4, 0, 1, s0
	s_delay_alu instid0(VALU_DEP_1)
	v_add_nc_u32_e32 v4, v3, v4
.LBB38_851:
	s_mov_b32 s0, 0
	global_store_b8 v[0:1], v4, off
.LBB38_852:
	s_mov_b32 s5, 0
.LBB38_853:
	s_delay_alu instid0(SALU_CYCLE_1)
	s_and_b32 vcc_lo, exec_lo, s5
	s_cbranch_vccz .LBB38_856
; %bb.854:
	v_cmp_eq_u16_e32 vcc_lo, 29, v2
	s_mov_b32 s0, -1
	s_cbranch_vccz .LBB38_856
; %bb.855:
	s_sext_i32_i16 s0, s7
	s_delay_alu instid0(SALU_CYCLE_1) | instskip(NEXT) | instid1(SALU_CYCLE_1)
	s_ashr_i32 s5, s0, 31
	v_dual_mov_b32 v3, s0 :: v_dual_mov_b32 v4, s5
	s_mov_b32 s0, 0
	global_store_b64 v[0:1], v[3:4], off
.LBB38_856:
	s_mov_b32 s5, 0
.LBB38_857:
	s_delay_alu instid0(SALU_CYCLE_1)
	s_and_b32 vcc_lo, exec_lo, s5
	s_cbranch_vccz .LBB38_879
; %bb.858:
	v_cmp_gt_i16_e32 vcc_lo, 27, v2
	s_mov_b32 s5, -1
	s_cbranch_vccnz .LBB38_864
; %bb.859:
	v_cmp_lt_i16_e32 vcc_lo, 27, v2
	s_cbranch_vccz .LBB38_861
; %bb.860:
	s_sext_i32_i16 s5, s7
	s_delay_alu instid0(SALU_CYCLE_1)
	v_mov_b32_e32 v3, s5
	s_mov_b32 s5, 0
	global_store_b32 v[0:1], v3, off
.LBB38_861:
	s_and_not1_b32 vcc_lo, exec_lo, s5
	s_cbranch_vccnz .LBB38_863
; %bb.862:
	v_mov_b32_e32 v3, s7
	global_store_b16 v[0:1], v3, off
.LBB38_863:
	s_mov_b32 s5, 0
.LBB38_864:
	s_delay_alu instid0(SALU_CYCLE_1)
	s_and_not1_b32 vcc_lo, exec_lo, s5
	s_cbranch_vccnz .LBB38_879
; %bb.865:
	s_sext_i32_i16 s5, s7
	v_mov_b32_e32 v4, 0x80
	v_cvt_f32_i32_e32 v3, s5
	s_delay_alu instid0(VALU_DEP_1) | instskip(NEXT) | instid1(VALU_DEP_1)
	v_readfirstlane_b32 s5, v3
	s_and_b32 s6, s5, 0x7fffffff
	s_delay_alu instid0(SALU_CYCLE_1)
	s_cmp_gt_u32 s6, 0x437fffff
	s_cbranch_scc1 .LBB38_878
; %bb.866:
	s_cmp_gt_u32 s6, 0x3bffffff
	s_cbranch_scc0 .LBB38_873
; %bb.867:
	s_bfe_u32 s6, s5, 0x10014
	s_mov_b32 s8, 0
	s_add_i32 s6, s5, s6
	s_delay_alu instid0(SALU_CYCLE_1) | instskip(NEXT) | instid1(SALU_CYCLE_1)
	s_add_i32 s6, s6, 0x487ffff
	s_lshr_b32 s9, s6, 20
	s_mov_b32 s6, -1
	s_branch .LBB38_874
.LBB38_868:
	s_mov_b32 s4, 0
	s_mov_b32 s0, -1
	s_branch .LBB38_684
.LBB38_869:
	s_cbranch_execnz .LBB38_871
; %bb.870:
	s_or_b32 s3, s3, exec_lo
	s_cbranch_execz .LBB38_836
	s_branch .LBB38_837
.LBB38_871:
	s_trap 2
	s_sendmsg_rtn_b32 s0, sendmsg(MSG_RTN_GET_DOORBELL)
	s_mov_b32 ttmp2, m0
	s_waitcnt lgkmcnt(0)
	s_and_b32 s0, s0, 0x3ff
	s_delay_alu instid0(SALU_CYCLE_1) | instskip(NEXT) | instid1(SALU_CYCLE_1)
	s_bitset1_b32 s0, 10
	s_mov_b32 m0, s0
	s_sendmsg sendmsg(MSG_INTERRUPT)
	s_mov_b32 m0, ttmp2
.LBB38_872:                             ; =>This Inner Loop Header: Depth=1
	s_sethalt 5
	s_branch .LBB38_872
.LBB38_873:
	s_mov_b32 s8, -1
	s_mov_b32 s6, 0
                                        ; implicit-def: $sgpr9
.LBB38_874:
	v_mov_b32_e32 v3, s9
	s_and_not1_b32 vcc_lo, exec_lo, s8
                                        ; implicit-def: $sgpr8
	s_cbranch_vccnz .LBB38_876
; %bb.875:
	v_add_f32_e64 v3, 0x46000000, |s5|
	s_mov_b32 s8, 0
	s_delay_alu instid0(VALU_DEP_1) | instskip(NEXT) | instid1(VALU_DEP_1)
	v_and_b32_e32 v3, 0xff, v3
	v_cmp_ne_u32_e64 s6, 0, v3
.LBB38_876:
	v_mov_b32_e32 v4, s8
	s_delay_alu instid0(VALU_DEP_2)
	s_and_not1_b32 vcc_lo, exec_lo, s6
	s_cbranch_vccnz .LBB38_878
; %bb.877:
	s_lshr_b32 s5, s5, 24
	s_delay_alu instid0(SALU_CYCLE_1) | instskip(NEXT) | instid1(SALU_CYCLE_1)
	s_and_b32 s5, s5, 0x80
	v_or_b32_e32 v4, s5, v3
.LBB38_878:
	global_store_b8 v[0:1], v4, off
.LBB38_879:
	s_mov_b32 s5, 0
.LBB38_880:
	s_delay_alu instid0(SALU_CYCLE_1)
	s_and_b32 vcc_lo, exec_lo, s5
	s_cbranch_vccz .LBB38_926
; %bb.881:
	v_cmp_lt_i16_e32 vcc_lo, 22, v2
	s_mov_b32 s4, -1
	s_cbranch_vccz .LBB38_919
; %bb.882:
	v_cmp_gt_i16_e32 vcc_lo, 24, v2
	s_cbranch_vccnz .LBB38_906
; %bb.883:
	v_cmp_lt_i16_e32 vcc_lo, 24, v2
	s_cbranch_vccz .LBB38_893
; %bb.884:
	s_sext_i32_i16 s4, s7
	v_mov_b32_e32 v4, 0x80
	v_cvt_f32_i32_e32 v3, s4
	s_delay_alu instid0(VALU_DEP_1) | instskip(NEXT) | instid1(VALU_DEP_1)
	v_readfirstlane_b32 s4, v3
	s_and_b32 s5, s4, 0x7fffffff
	s_delay_alu instid0(SALU_CYCLE_1)
	s_cmp_gt_u32 s5, 0x477fffff
	s_cbranch_scc1 .LBB38_892
; %bb.885:
	s_cmp_gt_u32 s5, 0x37ffffff
	s_cbranch_scc0 .LBB38_887
; %bb.886:
	s_bfe_u32 s5, s4, 0x10015
	s_mov_b32 s6, 0
	s_add_i32 s5, s4, s5
	s_delay_alu instid0(SALU_CYCLE_1) | instskip(NEXT) | instid1(SALU_CYCLE_1)
	s_add_i32 s5, s5, 0x88fffff
	s_lshr_b32 s8, s5, 21
	s_mov_b32 s5, -1
	s_branch .LBB38_888
.LBB38_887:
	s_mov_b32 s6, -1
	s_mov_b32 s5, 0
                                        ; implicit-def: $sgpr8
.LBB38_888:
	v_mov_b32_e32 v3, s8
	s_and_not1_b32 vcc_lo, exec_lo, s6
                                        ; implicit-def: $sgpr6
	s_cbranch_vccnz .LBB38_890
; %bb.889:
	v_add_f32_e64 v3, 0x42800000, |s4|
	s_mov_b32 s6, 0
	s_delay_alu instid0(VALU_DEP_1) | instskip(NEXT) | instid1(VALU_DEP_1)
	v_and_b32_e32 v3, 0xff, v3
	v_cmp_ne_u32_e64 s5, 0, v3
.LBB38_890:
	v_mov_b32_e32 v4, s6
	s_delay_alu instid0(VALU_DEP_2)
	s_and_not1_b32 vcc_lo, exec_lo, s5
	s_cbranch_vccnz .LBB38_892
; %bb.891:
	s_lshr_b32 s4, s4, 24
	s_delay_alu instid0(SALU_CYCLE_1) | instskip(NEXT) | instid1(SALU_CYCLE_1)
	s_and_b32 s4, s4, 0x80
	v_or_b32_e32 v4, s4, v3
.LBB38_892:
	s_mov_b32 s4, 0
	global_store_b8 v[0:1], v4, off
.LBB38_893:
	s_and_b32 vcc_lo, exec_lo, s4
	s_cbranch_vccz .LBB38_905
; %bb.894:
	s_sext_i32_i16 s4, s7
	s_delay_alu instid0(SALU_CYCLE_1) | instskip(NEXT) | instid1(VALU_DEP_1)
	v_cvt_f32_i32_e32 v3, s4
	v_readfirstlane_b32 s4, v3
	s_delay_alu instid0(VALU_DEP_1) | instskip(NEXT) | instid1(SALU_CYCLE_1)
	s_and_b32 s5, s4, 0x7fffffff
	s_cmp_lt_u32 s5, 0x43f00000
	s_cbranch_scc0 .LBB38_897
; %bb.895:
	s_cmp_gt_u32 s5, 0x3c7fffff
	s_cbranch_scc0 .LBB38_898
; %bb.896:
	s_bfe_u32 s6, s4, 0x10014
	s_delay_alu instid0(SALU_CYCLE_1) | instskip(NEXT) | instid1(SALU_CYCLE_1)
	s_add_i32 s6, s4, s6
	s_add_i32 s6, s6, 0x407ffff
	s_delay_alu instid0(SALU_CYCLE_1)
	s_and_b32 s8, s6, 0xff00000
	s_lshr_b32 s6, s6, 20
	s_cmp_lg_u32 s8, 0x7f00000
	s_cselect_b32 s8, s6, 0x7e
	s_mov_b32 s6, 0
	s_branch .LBB38_899
.LBB38_897:
	s_mov_b32 s6, -1
                                        ; implicit-def: $vgpr4
	s_branch .LBB38_902
.LBB38_898:
	s_mov_b32 s6, -1
                                        ; implicit-def: $sgpr8
.LBB38_899:
	v_mov_b32_e32 v4, s8
	s_and_not1_b32 vcc_lo, exec_lo, s6
	s_cbranch_vccnz .LBB38_901
; %bb.900:
	v_add_f32_e64 v4, 0x46800000, |v3|
.LBB38_901:
	s_mov_b32 s6, 0
.LBB38_902:
	s_delay_alu instid0(SALU_CYCLE_1)
	s_and_not1_b32 vcc_lo, exec_lo, s6
	s_cbranch_vccnz .LBB38_904
; %bb.903:
	s_cmp_gt_u32 s5, 0x7f800000
	s_movk_i32 s5, 0x7f
	s_delay_alu instid0(SALU_CYCLE_1) | instskip(NEXT) | instid1(SALU_CYCLE_1)
	s_cselect_b32 s5, s5, 0x7e
	v_mov_b32_e32 v4, s5
.LBB38_904:
	s_lshr_b32 s4, s4, 24
	s_delay_alu instid0(SALU_CYCLE_1)
	s_and_b32 s4, s4, 0x80
	s_delay_alu instid0(VALU_DEP_1) | instid1(SALU_CYCLE_1)
	v_or_b32_e32 v3, s4, v4
	global_store_b8 v[0:1], v3, off
.LBB38_905:
	s_mov_b32 s4, 0
.LBB38_906:
	s_delay_alu instid0(SALU_CYCLE_1)
	s_and_not1_b32 vcc_lo, exec_lo, s4
	s_cbranch_vccnz .LBB38_918
; %bb.907:
	s_sext_i32_i16 s4, s7
	s_delay_alu instid0(SALU_CYCLE_1) | instskip(NEXT) | instid1(VALU_DEP_1)
	v_cvt_f32_i32_e32 v3, s4
	v_readfirstlane_b32 s4, v3
	s_delay_alu instid0(VALU_DEP_1) | instskip(NEXT) | instid1(SALU_CYCLE_1)
	s_and_b32 s5, s4, 0x7fffffff
	s_cmp_lt_u32 s5, 0x47800000
	s_cbranch_scc0 .LBB38_910
; %bb.908:
	s_cmp_gt_u32 s5, 0x387fffff
	s_cbranch_scc0 .LBB38_911
; %bb.909:
	s_bfe_u32 s6, s4, 0x10015
	s_delay_alu instid0(SALU_CYCLE_1) | instskip(NEXT) | instid1(SALU_CYCLE_1)
	s_add_i32 s6, s4, s6
	s_add_i32 s6, s6, 0x80fffff
	s_delay_alu instid0(SALU_CYCLE_1)
	s_lshr_b32 s8, s6, 21
	s_mov_b32 s6, 0
	s_branch .LBB38_912
.LBB38_910:
	s_mov_b32 s6, -1
                                        ; implicit-def: $vgpr4
	s_branch .LBB38_915
.LBB38_911:
	s_mov_b32 s6, -1
                                        ; implicit-def: $sgpr8
.LBB38_912:
	v_mov_b32_e32 v4, s8
	s_and_not1_b32 vcc_lo, exec_lo, s6
	s_cbranch_vccnz .LBB38_914
; %bb.913:
	v_add_f32_e64 v4, 0x43000000, |v3|
.LBB38_914:
	s_mov_b32 s6, 0
.LBB38_915:
	s_delay_alu instid0(SALU_CYCLE_1)
	s_and_not1_b32 vcc_lo, exec_lo, s6
	s_cbranch_vccnz .LBB38_917
; %bb.916:
	s_cmp_gt_u32 s5, 0x7f800000
	s_movk_i32 s5, 0x7f
	s_delay_alu instid0(SALU_CYCLE_1) | instskip(NEXT) | instid1(SALU_CYCLE_1)
	s_cselect_b32 s5, s5, 0x7c
	v_mov_b32_e32 v4, s5
.LBB38_917:
	s_lshr_b32 s4, s4, 24
	s_delay_alu instid0(SALU_CYCLE_1)
	s_and_b32 s4, s4, 0x80
	s_delay_alu instid0(VALU_DEP_1) | instid1(SALU_CYCLE_1)
	v_or_b32_e32 v3, s4, v4
	global_store_b8 v[0:1], v3, off
.LBB38_918:
	s_mov_b32 s4, 0
.LBB38_919:
	s_delay_alu instid0(SALU_CYCLE_1)
	s_and_not1_b32 vcc_lo, exec_lo, s4
	s_mov_b32 s4, 0
	s_cbranch_vccnz .LBB38_926
; %bb.920:
	v_cmp_lt_i16_e32 vcc_lo, 14, v2
	s_mov_b32 s4, -1
	s_cbranch_vccz .LBB38_924
; %bb.921:
	v_cmp_eq_u16_e32 vcc_lo, 15, v2
	s_mov_b32 s0, -1
	s_cbranch_vccz .LBB38_923
; %bb.922:
	s_sext_i32_i16 s0, s7
	s_delay_alu instid0(SALU_CYCLE_1) | instskip(SKIP_1) | instid1(VALU_DEP_1)
	v_cvt_f32_i32_e32 v3, s0
	s_mov_b32 s0, 0
	v_bfe_u32 v4, v3, 16, 1
	s_delay_alu instid0(VALU_DEP_1) | instskip(NEXT) | instid1(VALU_DEP_1)
	v_add_nc_u32_e32 v3, v3, v4
	v_add_nc_u32_e32 v3, 0x7fff, v3
	global_store_d16_hi_b16 v[0:1], v3, off
.LBB38_923:
	s_mov_b32 s4, 0
.LBB38_924:
	s_delay_alu instid0(SALU_CYCLE_1)
	s_and_b32 vcc_lo, exec_lo, s4
	s_mov_b32 s4, 0
	s_cbranch_vccz .LBB38_926
; %bb.925:
	v_cmp_ne_u16_e64 s0, 11, v2
	s_mov_b32 s4, -1
.LBB38_926:
	s_delay_alu instid0(VALU_DEP_1)
	s_and_b32 vcc_lo, exec_lo, s0
	s_cbranch_vccnz .LBB38_928
.LBB38_927:
	s_mov_b32 s0, 0
	s_branch .LBB38_684
.LBB38_928:
	s_cbranch_execnz .LBB38_930
; %bb.929:
	s_mov_b32 s4, 0
	s_or_b32 s3, s3, exec_lo
	s_branch .LBB38_927
.LBB38_930:
	s_trap 2
	s_sendmsg_rtn_b32 s0, sendmsg(MSG_RTN_GET_DOORBELL)
	s_mov_b32 ttmp2, m0
	s_waitcnt lgkmcnt(0)
	s_and_b32 s0, s0, 0x3ff
	s_delay_alu instid0(SALU_CYCLE_1) | instskip(NEXT) | instid1(SALU_CYCLE_1)
	s_bitset1_b32 s0, 10
	s_mov_b32 m0, s0
	s_sendmsg sendmsg(MSG_INTERRUPT)
	s_mov_b32 m0, ttmp2
.LBB38_931:                             ; =>This Inner Loop Header: Depth=1
	s_sethalt 5
	s_branch .LBB38_931
	.section	.rodata,"a",@progbits
	.p2align	6, 0x0
	.amdhsa_kernel _ZN2at6native32elementwise_kernel_manual_unrollILi128ELi4EZNS0_15gpu_kernel_implINS0_11FillFunctorIsEEEEvRNS_18TensorIteratorBaseERKT_EUlibE_EEviT1_
		.amdhsa_group_segment_fixed_size 0
		.amdhsa_private_segment_fixed_size 0
		.amdhsa_kernarg_size 24
		.amdhsa_user_sgpr_count 15
		.amdhsa_user_sgpr_dispatch_ptr 0
		.amdhsa_user_sgpr_queue_ptr 0
		.amdhsa_user_sgpr_kernarg_segment_ptr 1
		.amdhsa_user_sgpr_dispatch_id 0
		.amdhsa_user_sgpr_private_segment_size 0
		.amdhsa_wavefront_size32 1
		.amdhsa_uses_dynamic_stack 0
		.amdhsa_enable_private_segment 0
		.amdhsa_system_sgpr_workgroup_id_x 1
		.amdhsa_system_sgpr_workgroup_id_y 0
		.amdhsa_system_sgpr_workgroup_id_z 0
		.amdhsa_system_sgpr_workgroup_info 0
		.amdhsa_system_vgpr_workitem_id 0
		.amdhsa_next_free_vgpr 18
		.amdhsa_next_free_sgpr 39
		.amdhsa_reserve_vcc 1
		.amdhsa_float_round_mode_32 0
		.amdhsa_float_round_mode_16_64 0
		.amdhsa_float_denorm_mode_32 3
		.amdhsa_float_denorm_mode_16_64 3
		.amdhsa_dx10_clamp 1
		.amdhsa_ieee_mode 1
		.amdhsa_fp16_overflow 0
		.amdhsa_workgroup_processor_mode 1
		.amdhsa_memory_ordered 1
		.amdhsa_forward_progress 0
		.amdhsa_shared_vgpr_count 0
		.amdhsa_exception_fp_ieee_invalid_op 0
		.amdhsa_exception_fp_denorm_src 0
		.amdhsa_exception_fp_ieee_div_zero 0
		.amdhsa_exception_fp_ieee_overflow 0
		.amdhsa_exception_fp_ieee_underflow 0
		.amdhsa_exception_fp_ieee_inexact 0
		.amdhsa_exception_int_div_zero 0
	.end_amdhsa_kernel
	.section	.text._ZN2at6native32elementwise_kernel_manual_unrollILi128ELi4EZNS0_15gpu_kernel_implINS0_11FillFunctorIsEEEEvRNS_18TensorIteratorBaseERKT_EUlibE_EEviT1_,"axG",@progbits,_ZN2at6native32elementwise_kernel_manual_unrollILi128ELi4EZNS0_15gpu_kernel_implINS0_11FillFunctorIsEEEEvRNS_18TensorIteratorBaseERKT_EUlibE_EEviT1_,comdat
.Lfunc_end38:
	.size	_ZN2at6native32elementwise_kernel_manual_unrollILi128ELi4EZNS0_15gpu_kernel_implINS0_11FillFunctorIsEEEEvRNS_18TensorIteratorBaseERKT_EUlibE_EEviT1_, .Lfunc_end38-_ZN2at6native32elementwise_kernel_manual_unrollILi128ELi4EZNS0_15gpu_kernel_implINS0_11FillFunctorIsEEEEvRNS_18TensorIteratorBaseERKT_EUlibE_EEviT1_
                                        ; -- End function
	.section	.AMDGPU.csdata,"",@progbits
; Kernel info:
; codeLenInByte = 14072
; NumSgprs: 41
; NumVgprs: 18
; ScratchSize: 0
; MemoryBound: 0
; FloatMode: 240
; IeeeMode: 1
; LDSByteSize: 0 bytes/workgroup (compile time only)
; SGPRBlocks: 5
; VGPRBlocks: 2
; NumSGPRsForWavesPerEU: 41
; NumVGPRsForWavesPerEU: 18
; Occupancy: 16
; WaveLimiterHint : 0
; COMPUTE_PGM_RSRC2:SCRATCH_EN: 0
; COMPUTE_PGM_RSRC2:USER_SGPR: 15
; COMPUTE_PGM_RSRC2:TRAP_HANDLER: 0
; COMPUTE_PGM_RSRC2:TGID_X_EN: 1
; COMPUTE_PGM_RSRC2:TGID_Y_EN: 0
; COMPUTE_PGM_RSRC2:TGID_Z_EN: 0
; COMPUTE_PGM_RSRC2:TIDIG_COMP_CNT: 0
	.section	.text._ZN2at6native32elementwise_kernel_manual_unrollILi128ELi4EZNS0_15gpu_kernel_implINS0_11FillFunctorIsEEEEvRNS_18TensorIteratorBaseERKT_EUlibE0_EEviT1_,"axG",@progbits,_ZN2at6native32elementwise_kernel_manual_unrollILi128ELi4EZNS0_15gpu_kernel_implINS0_11FillFunctorIsEEEEvRNS_18TensorIteratorBaseERKT_EUlibE0_EEviT1_,comdat
	.protected	_ZN2at6native32elementwise_kernel_manual_unrollILi128ELi4EZNS0_15gpu_kernel_implINS0_11FillFunctorIsEEEEvRNS_18TensorIteratorBaseERKT_EUlibE0_EEviT1_ ; -- Begin function _ZN2at6native32elementwise_kernel_manual_unrollILi128ELi4EZNS0_15gpu_kernel_implINS0_11FillFunctorIsEEEEvRNS_18TensorIteratorBaseERKT_EUlibE0_EEviT1_
	.globl	_ZN2at6native32elementwise_kernel_manual_unrollILi128ELi4EZNS0_15gpu_kernel_implINS0_11FillFunctorIsEEEEvRNS_18TensorIteratorBaseERKT_EUlibE0_EEviT1_
	.p2align	8
	.type	_ZN2at6native32elementwise_kernel_manual_unrollILi128ELi4EZNS0_15gpu_kernel_implINS0_11FillFunctorIsEEEEvRNS_18TensorIteratorBaseERKT_EUlibE0_EEviT1_,@function
_ZN2at6native32elementwise_kernel_manual_unrollILi128ELi4EZNS0_15gpu_kernel_implINS0_11FillFunctorIsEEEEvRNS_18TensorIteratorBaseERKT_EUlibE0_EEviT1_: ; @_ZN2at6native32elementwise_kernel_manual_unrollILi128ELi4EZNS0_15gpu_kernel_implINS0_11FillFunctorIsEEEEvRNS_18TensorIteratorBaseERKT_EUlibE0_EEviT1_
; %bb.0:
	s_clause 0x1
	s_load_b32 s11, s[0:1], 0x8
	s_load_b32 s51, s[0:1], 0x0
	v_lshl_or_b32 v9, s15, 9, v0
	s_or_b32 s8, s0, 8
	s_mov_b32 s22, -1
	s_mov_b32 s3, 0
	s_mov_b32 s9, s1
	v_or_b32_e32 v4, 0x180, v9
	s_mov_b32 s6, 0
	s_mov_b32 s2, exec_lo
	s_waitcnt lgkmcnt(0)
	s_add_i32 s26, s11, -1
	s_delay_alu instid0(SALU_CYCLE_1)
	s_cmp_gt_u32 s26, 1
	s_cselect_b32 s27, -1, 0
	v_cmpx_le_i32_e64 s51, v4
	s_xor_b32 s28, exec_lo, s2
	s_cbranch_execz .LBB39_159
; %bb.1:
	s_clause 0x1
	s_load_b32 s10, s[8:9], 0x110
	s_load_b32 s2, s[0:1], 0x118
	s_cmp_lg_u32 s11, 0
	s_clause 0x1
	s_load_b64 s[16:17], s[8:9], 0xc4
	s_load_b64 s[14:15], s[8:9], 0x108
	s_cselect_b32 s53, -1, 0
	s_add_u32 s20, s8, 0xc4
	s_addc_u32 s21, s9, 0
	s_min_u32 s52, s26, 15
	s_cmp_gt_u32 s11, 1
	s_movk_i32 s23, 0x7f
	s_cselect_b32 s49, -1, 0
	s_movk_i32 s24, 0x7c
	s_mov_b32 s56, 0
	s_mov_b32 s54, 0
	s_mov_b32 s55, exec_lo
	s_waitcnt lgkmcnt(0)
	s_and_b32 s4, s10, 0xffff
	s_lshr_b32 s50, s2, 16
	s_sext_i32_i16 s29, s4
	s_bfe_i64 s[12:13], s[10:11], 0x100000
	v_cvt_f32_i32_e32 v4, s29
	s_clause 0x1
	s_load_b128 s[4:7], s[8:9], 0x4
	s_load_b64 s[18:19], s[8:9], 0x14
	v_cvt_f16_i16_e32 v8, s10
	v_bfe_u32 v2, v4, 23, 8
	v_and_b32_e32 v0, 0x3fffff, v4
	v_and_b32_e32 v1, 0x400000, v4
	v_readfirstlane_b32 s25, v4
	v_add_f32_e64 v15, 0x46000000, |v4|
	v_add_f32_e64 v14, 0x42800000, |v4|
	v_or_b32_e32 v0, v2, v0
	v_cmp_ne_u32_e32 vcc_lo, 0, v1
	s_and_b32 s37, s25, 0x7fffffff
	v_bfe_u32 v10, v4, 16, 1
	v_readfirstlane_b32 s31, v14
	v_cmp_ne_u32_e64 s2, 0, v0
	v_cvt_f64_i32_e32 v[0:1], s29
	v_lshrrev_b32_e32 v5, 24, v4
	v_lshrrev_b32_e32 v3, 23, v4
	v_add_f32_e64 v6, 0x46800000, |v4|
	s_and_b32 s33, vcc_lo, s2
	s_cmp_lt_u32 s37, 0x43800000
	v_readfirstlane_b32 s2, v15
	s_cselect_b32 s47, -1, 0
	s_cmp_gt_u32 s37, 0x3bffffff
	v_and_b32_e32 v13, 0x80, v5
	s_cselect_b32 s45, -1, 0
	s_bfe_u32 s30, s25, 0x10014
	s_and_b32 s2, s2, 0xff
	s_add_i32 s35, s25, s30
	v_cndmask_b32_e64 v5, 0, 1, s33
	s_add_i32 s30, s35, 0x487ffff
	v_add_f32_e64 v7, 0x43000000, |v4|
	s_lshr_b32 s46, s30, 20
	s_cmp_lg_u32 s2, 0
	v_cmp_eq_u32_e64 s2, 0xff, v2
	s_cselect_b32 s48, -1, 0
	s_cmp_gt_u32 s37, 0x477fffff
	v_add_nc_u32_e32 v2, v4, v10
	s_cselect_b32 s30, -1, 0
	s_cmp_lt_u32 s37, 0x47800000
	v_add_nc_u32_e32 v16, v3, v5
	s_cselect_b32 s43, -1, 0
	s_cmp_gt_u32 s37, 0x37ffffff
	v_add_nc_u32_e32 v2, 0x7fff, v2
	s_cselect_b32 s39, -1, 0
	s_bfe_u32 s34, s25, 0x10015
	s_and_b32 s31, s31, 0xff
	s_add_i32 s25, s25, s34
	v_lshrrev_b32_e32 v12, 16, v2
	s_add_i32 s34, s25, 0x88fffff
	v_and_b32_e32 v10, 0xffff, v8
	s_lshr_b32 s41, s34, 21
	s_cmp_lg_u32 s31, 0
	v_readfirstlane_b32 s34, v6
	s_cselect_b32 s44, -1, 0
	s_cmp_gt_u32 s37, 0x43efffff
	v_readfirstlane_b32 s31, v7
	s_cselect_b32 s36, -1, 0
	s_cmp_lt_u32 s37, 0x3c800000
	s_cselect_b32 s38, -1, 0
	s_add_i32 s35, s35, 0x407ffff
	s_delay_alu instid0(SALU_CYCLE_1)
	s_and_b32 s40, s35, 0xff00000
	s_lshr_b32 s35, s35, 20
	s_cmp_lg_u32 s40, 0x7f00000
	s_cselect_b32 s40, s35, 0x7e
	s_cmp_lt_u32 s37, 0x38800000
	s_cselect_b32 s33, -1, 0
	s_add_i32 s25, s25, 0x80fffff
	s_delay_alu instid0(SALU_CYCLE_1) | instskip(SKIP_4) | instid1(VALU_DEP_1)
	s_lshr_b32 s35, s25, 21
	v_cmp_ne_u16_e64 s25, s10, 0
	s_cmp_gt_u32 s37, 0x7f800000
	s_cselect_b32 s42, s23, 0x7e
	s_cselect_b32 s37, 0x7f, s24
	v_cndmask_b32_e64 v11, 0, 1, s25
	v_cmpx_gt_i32_e64 s51, v9
	s_cbranch_execz .LBB39_110
; %bb.2:
	s_and_not1_b32 vcc_lo, exec_lo, s27
	s_cbranch_vccnz .LBB39_7
; %bb.3:
	v_mov_b32_e32 v2, 0
	s_and_not1_b32 vcc_lo, exec_lo, s53
	s_cbranch_vccnz .LBB39_12
; %bb.4:
	s_add_i32 s57, s52, 1
	s_cmp_eq_u32 s26, 2
	s_cbranch_scc1 .LBB39_8
; %bb.5:
	v_dual_mov_b32 v2, 0 :: v_dual_mov_b32 v3, v9
	s_and_b32 s54, s57, 28
	s_mov_b32 s58, 0
	s_mov_b64 s[22:23], s[8:9]
	s_mov_b64 s[24:25], s[20:21]
.LBB39_6:                               ; =>This Inner Loop Header: Depth=1
	s_clause 0x1
	s_load_b256 s[60:67], s[22:23], 0x4
	s_load_b128 s[68:71], s[22:23], 0x24
	s_load_b128 s[72:75], s[24:25], 0x0
	s_add_u32 s22, s22, 48
	s_addc_u32 s23, s23, 0
	s_add_i32 s58, s58, 4
	s_add_u32 s24, s24, 16
	s_addc_u32 s25, s25, 0
	s_cmp_lg_u32 s54, s58
	s_waitcnt lgkmcnt(0)
	v_mul_hi_u32 v5, s61, v3
	s_delay_alu instid0(VALU_DEP_1) | instskip(NEXT) | instid1(VALU_DEP_1)
	v_add_nc_u32_e32 v5, v3, v5
	v_lshrrev_b32_e32 v5, s62, v5
	s_delay_alu instid0(VALU_DEP_1) | instskip(SKIP_1) | instid1(VALU_DEP_2)
	v_mul_hi_u32 v6, s64, v5
	v_mul_lo_u32 v18, v5, s60
	v_add_nc_u32_e32 v6, v5, v6
	s_delay_alu instid0(VALU_DEP_2) | instskip(NEXT) | instid1(VALU_DEP_2)
	v_sub_nc_u32_e32 v18, v3, v18
	v_lshrrev_b32_e32 v6, s65, v6
	s_delay_alu instid0(VALU_DEP_2) | instskip(NEXT) | instid1(VALU_DEP_2)
	v_mul_lo_u32 v18, v18, s72
	v_mul_hi_u32 v7, s67, v6
	v_mul_lo_u32 v19, v6, s63
	s_delay_alu instid0(VALU_DEP_2) | instskip(NEXT) | instid1(VALU_DEP_2)
	v_add_nc_u32_e32 v7, v6, v7
	v_sub_nc_u32_e32 v5, v5, v19
	s_delay_alu instid0(VALU_DEP_2) | instskip(NEXT) | instid1(VALU_DEP_2)
	v_lshrrev_b32_e32 v7, s68, v7
	v_mul_lo_u32 v5, v5, s73
	s_delay_alu instid0(VALU_DEP_2) | instskip(NEXT) | instid1(VALU_DEP_2)
	v_mul_hi_u32 v17, s70, v7
	v_add3_u32 v2, v18, v2, v5
	s_delay_alu instid0(VALU_DEP_2) | instskip(NEXT) | instid1(VALU_DEP_1)
	v_add_nc_u32_e32 v17, v7, v17
	v_lshrrev_b32_e32 v3, s71, v17
	v_mul_lo_u32 v17, v7, s66
	s_delay_alu instid0(VALU_DEP_2) | instskip(NEXT) | instid1(VALU_DEP_2)
	v_mul_lo_u32 v20, v3, s69
	v_sub_nc_u32_e32 v6, v6, v17
	s_delay_alu instid0(VALU_DEP_2) | instskip(NEXT) | instid1(VALU_DEP_2)
	v_sub_nc_u32_e32 v7, v7, v20
	v_mul_lo_u32 v6, v6, s74
	s_delay_alu instid0(VALU_DEP_2) | instskip(NEXT) | instid1(VALU_DEP_1)
	v_mul_lo_u32 v7, v7, s75
	v_add3_u32 v2, v6, v2, v7
	s_cbranch_scc1 .LBB39_6
	s_branch .LBB39_9
.LBB39_7:
                                        ; implicit-def: $vgpr2
	s_and_not1_b32 vcc_lo, exec_lo, s22
	s_cbranch_vccz .LBB39_13
	s_branch .LBB39_15
.LBB39_8:
	v_mov_b32_e32 v3, v9
.LBB39_9:
	s_and_b32 s57, s57, 3
	s_delay_alu instid0(SALU_CYCLE_1)
	s_cmp_eq_u32 s57, 0
	s_cbranch_scc1 .LBB39_12
; %bb.10:
	s_lshl_b32 s22, s54, 2
	s_mul_i32 s24, s54, 12
	s_add_u32 s22, s22, s8
	s_addc_u32 s23, s9, 0
	s_add_u32 s22, s22, 0xc4
	s_addc_u32 s23, s23, 0
	;; [unrolled: 2-line block ×3, first 2 shown]
	.p2align	6
.LBB39_11:                              ; =>This Inner Loop Header: Depth=1
	s_clause 0x1
	s_load_b64 s[58:59], s[24:25], 0x4
	s_load_b32 s54, s[24:25], 0xc
	s_add_u32 s24, s24, 12
	s_addc_u32 s25, s25, 0
	s_waitcnt lgkmcnt(0)
	v_mul_hi_u32 v5, s59, v3
	s_load_b32 s59, s[22:23], 0x0
	s_add_u32 s22, s22, 4
	s_addc_u32 s23, s23, 0
	s_add_i32 s57, s57, -1
	s_delay_alu instid0(SALU_CYCLE_1) | instskip(NEXT) | instid1(VALU_DEP_1)
	s_cmp_lg_u32 s57, 0
	v_add_nc_u32_e32 v5, v3, v5
	s_delay_alu instid0(VALU_DEP_1) | instskip(NEXT) | instid1(VALU_DEP_1)
	v_lshrrev_b32_e32 v7, s54, v5
	v_mul_lo_u32 v5, v7, s58
	s_delay_alu instid0(VALU_DEP_1) | instskip(SKIP_1) | instid1(VALU_DEP_1)
	v_sub_nc_u32_e32 v3, v3, v5
	s_waitcnt lgkmcnt(0)
	v_mad_u64_u32 v[5:6], null, v3, s59, v[2:3]
	s_delay_alu instid0(VALU_DEP_1)
	v_dual_mov_b32 v3, v7 :: v_dual_mov_b32 v2, v5
	s_cbranch_scc1 .LBB39_11
.LBB39_12:
	s_cbranch_execnz .LBB39_15
.LBB39_13:
	s_waitcnt lgkmcnt(0)
	v_mul_hi_u32 v2, s5, v9
	s_and_not1_b32 vcc_lo, exec_lo, s49
	s_delay_alu instid0(VALU_DEP_1) | instskip(NEXT) | instid1(VALU_DEP_1)
	v_add_nc_u32_e32 v2, v9, v2
	v_lshrrev_b32_e32 v3, s6, v2
	s_delay_alu instid0(VALU_DEP_1) | instskip(NEXT) | instid1(VALU_DEP_1)
	v_mul_lo_u32 v2, v3, s4
	v_sub_nc_u32_e32 v2, v9, v2
	s_delay_alu instid0(VALU_DEP_1)
	v_mul_lo_u32 v2, v2, s16
	s_cbranch_vccnz .LBB39_15
; %bb.14:
	v_mul_hi_u32 v5, s18, v3
	s_delay_alu instid0(VALU_DEP_1) | instskip(NEXT) | instid1(VALU_DEP_1)
	v_add_nc_u32_e32 v5, v3, v5
	v_lshrrev_b32_e32 v5, s19, v5
	s_delay_alu instid0(VALU_DEP_1) | instskip(NEXT) | instid1(VALU_DEP_1)
	v_mul_lo_u32 v5, v5, s7
	v_sub_nc_u32_e32 v3, v3, v5
	s_delay_alu instid0(VALU_DEP_1) | instskip(NEXT) | instid1(VALU_DEP_1)
	v_mad_u64_u32 v[5:6], null, v3, s17, v[2:3]
	v_mov_b32_e32 v2, v5
.LBB39_15:
	v_and_b32_e64 v17, 0xff, s50
	s_delay_alu instid0(VALU_DEP_2) | instskip(NEXT) | instid1(VALU_DEP_1)
	v_add_co_u32 v6, s23, s14, v2
	v_add_co_ci_u32_e64 v7, null, s15, 0, s23
	s_delay_alu instid0(VALU_DEP_3)
	v_cmp_gt_i16_e32 vcc_lo, 11, v17
	s_mov_b32 s22, 0
	s_mov_b32 s24, -1
	s_mov_b32 s23, 0
	s_cbranch_vccnz .LBB39_69
; %bb.16:
	v_cmp_lt_i16_e32 vcc_lo, 25, v17
	s_cbranch_vccz .LBB39_44
; %bb.17:
	v_cmp_lt_i16_e32 vcc_lo, 28, v17
	s_cbranch_vccz .LBB39_30
	;; [unrolled: 3-line block ×4, first 2 shown]
; %bb.20:
	v_cmp_eq_u16_e32 vcc_lo, 46, v17
	s_mov_b32 s24, 0
	s_mov_b32 s22, -1
	s_cbranch_vccz .LBB39_22
; %bb.21:
	s_mov_b32 s23, -1
	s_mov_b32 s22, 0
	global_store_b32 v[6:7], v12, off
.LBB39_22:
	s_and_b32 vcc_lo, exec_lo, s24
	s_cbranch_vccz .LBB39_25
; %bb.23:
	v_cmp_eq_u16_e32 vcc_lo, 44, v17
	s_mov_b32 s22, -1
	s_cbranch_vccz .LBB39_25
; %bb.24:
	v_cndmask_b32_e64 v2, v16, 0xff, s2
	s_mov_b32 s23, -1
	s_mov_b32 s22, 0
	global_store_b8 v[6:7], v2, off
.LBB39_25:
	s_mov_b32 s24, 0
.LBB39_26:
	s_delay_alu instid0(SALU_CYCLE_1)
	s_and_b32 vcc_lo, exec_lo, s24
	s_cbranch_vccz .LBB39_29
; %bb.27:
	v_cmp_eq_u16_e32 vcc_lo, 29, v17
	s_mov_b32 s22, -1
	s_cbranch_vccz .LBB39_29
; %bb.28:
	v_dual_mov_b32 v2, s12 :: v_dual_mov_b32 v3, s13
	s_mov_b32 s23, -1
	s_mov_b32 s22, 0
	global_store_b64 v[6:7], v[2:3], off
.LBB39_29:
	s_mov_b32 s24, 0
.LBB39_30:
	s_delay_alu instid0(SALU_CYCLE_1)
	s_and_b32 vcc_lo, exec_lo, s24
	s_cbranch_vccz .LBB39_43
; %bb.31:
	v_cmp_gt_i16_e32 vcc_lo, 27, v17
	s_mov_b32 s23, -1
	s_cbranch_vccnz .LBB39_37
; %bb.32:
	v_cmp_lt_i16_e32 vcc_lo, 27, v17
	s_cbranch_vccz .LBB39_34
; %bb.33:
	v_mov_b32_e32 v2, s29
	s_mov_b32 s23, 0
	global_store_b32 v[6:7], v2, off
.LBB39_34:
	s_and_not1_b32 vcc_lo, exec_lo, s23
	s_cbranch_vccnz .LBB39_36
; %bb.35:
	v_mov_b32_e32 v2, s10
	global_store_b16 v[6:7], v2, off
.LBB39_36:
	s_mov_b32 s23, 0
.LBB39_37:
	s_delay_alu instid0(SALU_CYCLE_1)
	s_and_not1_b32 vcc_lo, exec_lo, s23
	s_cbranch_vccnz .LBB39_42
; %bb.38:
	v_mov_b32_e32 v2, 0x80
	s_and_not1_b32 vcc_lo, exec_lo, s47
	s_cbranch_vccnz .LBB39_41
; %bb.39:
	v_mov_b32_e32 v2, 0
	s_or_b32 s23, s45, s48
	s_delay_alu instid0(SALU_CYCLE_1)
	s_and_not1_b32 vcc_lo, exec_lo, s23
	s_cbranch_vccnz .LBB39_41
; %bb.40:
	v_cndmask_b32_e64 v2, v15, s46, s45
	s_delay_alu instid0(VALU_DEP_1)
	v_or_b32_e32 v2, v2, v13
.LBB39_41:
	global_store_b8 v[6:7], v2, off
.LBB39_42:
	s_mov_b32 s23, -1
.LBB39_43:
	s_mov_b32 s24, 0
.LBB39_44:
	s_delay_alu instid0(SALU_CYCLE_1)
	s_and_b32 vcc_lo, exec_lo, s24
	s_cbranch_vccz .LBB39_66
; %bb.45:
	v_cmp_lt_i16_e32 vcc_lo, 22, v17
	s_mov_b32 s24, -1
	s_cbranch_vccz .LBB39_58
; %bb.46:
	v_cmp_gt_i16_e32 vcc_lo, 24, v17
	s_mov_b32 s23, -1
	s_cbranch_vccnz .LBB39_55
; %bb.47:
	v_cmp_lt_i16_e32 vcc_lo, 24, v17
	s_cbranch_vccz .LBB39_52
; %bb.48:
	v_mov_b32_e32 v2, 0x80
	s_and_not1_b32 vcc_lo, exec_lo, s43
	s_cbranch_vccnz .LBB39_51
; %bb.49:
	v_mov_b32_e32 v2, 0
	s_or_b32 s23, s39, s44
	s_delay_alu instid0(SALU_CYCLE_1)
	s_and_not1_b32 vcc_lo, exec_lo, s23
	s_cbranch_vccnz .LBB39_51
; %bb.50:
	v_cndmask_b32_e64 v2, v14, s41, s39
	s_delay_alu instid0(VALU_DEP_1)
	v_or_b32_e32 v2, v2, v13
.LBB39_51:
	s_mov_b32 s23, 0
	global_store_b8 v[6:7], v2, off
.LBB39_52:
	s_and_b32 vcc_lo, exec_lo, s23
	s_cbranch_vccz .LBB39_54
; %bb.53:
	s_and_b32 s23, s38, exec_lo
	s_cselect_b32 s23, s34, s40
	s_and_b32 s24, s36, exec_lo
	s_cselect_b32 s23, s42, s23
	s_delay_alu instid0(SALU_CYCLE_1)
	v_or_b32_e32 v2, s23, v13
	global_store_b8 v[6:7], v2, off
.LBB39_54:
	s_mov_b32 s23, 0
.LBB39_55:
	s_delay_alu instid0(SALU_CYCLE_1)
	s_and_not1_b32 vcc_lo, exec_lo, s23
	s_cbranch_vccnz .LBB39_57
; %bb.56:
	s_and_b32 s23, s33, exec_lo
	s_cselect_b32 s23, s31, s35
	s_and_b32 s24, s30, exec_lo
	s_cselect_b32 s23, s37, s23
	s_delay_alu instid0(SALU_CYCLE_1)
	v_or_b32_e32 v2, s23, v13
	global_store_b8 v[6:7], v2, off
.LBB39_57:
	s_mov_b32 s24, 0
	s_mov_b32 s23, -1
.LBB39_58:
	s_and_not1_b32 vcc_lo, exec_lo, s24
	s_cbranch_vccnz .LBB39_66
; %bb.59:
	v_cmp_lt_i16_e32 vcc_lo, 14, v17
	s_mov_b32 s24, -1
	s_cbranch_vccz .LBB39_63
; %bb.60:
	v_cmp_eq_u16_e32 vcc_lo, 15, v17
	s_mov_b32 s22, -1
	s_cbranch_vccz .LBB39_62
; %bb.61:
	s_mov_b32 s23, -1
	s_mov_b32 s22, 0
	global_store_b16 v[6:7], v12, off
.LBB39_62:
	s_mov_b32 s24, 0
.LBB39_63:
	s_delay_alu instid0(SALU_CYCLE_1)
	s_and_b32 vcc_lo, exec_lo, s24
	s_cbranch_vccz .LBB39_66
; %bb.64:
	v_cmp_eq_u16_e32 vcc_lo, 11, v17
	s_mov_b32 s22, -1
	s_cbranch_vccz .LBB39_66
; %bb.65:
	s_mov_b32 s23, -1
	s_mov_b32 s22, 0
	global_store_b8 v[6:7], v11, off
.LBB39_66:
.LBB39_67:
	s_and_not1_b32 vcc_lo, exec_lo, s23
	s_cbranch_vccnz .LBB39_108
.LBB39_68:
	v_add_nc_u32_e32 v9, 0x80, v9
	s_mov_b32 s23, -1
	s_branch .LBB39_109
.LBB39_69:
	s_and_b32 vcc_lo, exec_lo, s24
	s_cbranch_vccz .LBB39_67
; %bb.70:
	v_cmp_gt_i16_e32 vcc_lo, 5, v17
	s_mov_b32 s23, -1
	s_cbranch_vccnz .LBB39_91
; %bb.71:
	v_cmp_gt_i16_e32 vcc_lo, 8, v17
	s_cbranch_vccnz .LBB39_81
; %bb.72:
	v_cmp_gt_i16_e32 vcc_lo, 9, v17
	s_cbranch_vccnz .LBB39_78
; %bb.73:
	v_cmp_lt_i16_e32 vcc_lo, 9, v17
	s_cbranch_vccz .LBB39_75
; %bb.74:
	v_mov_b32_e32 v2, 0
	s_mov_b32 s23, 0
	s_delay_alu instid0(VALU_DEP_1)
	v_mov_b32_e32 v3, v2
	global_store_b128 v[6:7], v[0:3], off
.LBB39_75:
	s_and_not1_b32 vcc_lo, exec_lo, s23
	s_cbranch_vccnz .LBB39_77
; %bb.76:
	v_mov_b32_e32 v5, 0
	global_store_b64 v[6:7], v[4:5], off
.LBB39_77:
	s_mov_b32 s23, 0
.LBB39_78:
	s_delay_alu instid0(SALU_CYCLE_1)
	s_and_not1_b32 vcc_lo, exec_lo, s23
	s_cbranch_vccnz .LBB39_80
; %bb.79:
	global_store_b32 v[6:7], v10, off
.LBB39_80:
	s_mov_b32 s23, 0
.LBB39_81:
	s_delay_alu instid0(SALU_CYCLE_1)
	s_and_not1_b32 vcc_lo, exec_lo, s23
	s_cbranch_vccnz .LBB39_90
; %bb.82:
	v_cmp_gt_i16_e32 vcc_lo, 6, v17
	s_mov_b32 s23, -1
	s_cbranch_vccnz .LBB39_88
; %bb.83:
	v_cmp_lt_i16_e32 vcc_lo, 6, v17
	s_cbranch_vccz .LBB39_85
; %bb.84:
	s_mov_b32 s23, 0
	global_store_b64 v[6:7], v[0:1], off
.LBB39_85:
	s_and_not1_b32 vcc_lo, exec_lo, s23
	s_cbranch_vccnz .LBB39_87
; %bb.86:
	global_store_b32 v[6:7], v4, off
.LBB39_87:
	s_mov_b32 s23, 0
.LBB39_88:
	s_delay_alu instid0(SALU_CYCLE_1)
	s_and_not1_b32 vcc_lo, exec_lo, s23
	s_cbranch_vccnz .LBB39_90
; %bb.89:
	global_store_b16 v[6:7], v8, off
.LBB39_90:
	s_mov_b32 s23, 0
.LBB39_91:
	s_delay_alu instid0(SALU_CYCLE_1)
	s_and_not1_b32 vcc_lo, exec_lo, s23
	s_cbranch_vccnz .LBB39_107
; %bb.92:
	v_cmp_gt_i16_e32 vcc_lo, 2, v17
	s_mov_b32 s23, -1
	s_cbranch_vccnz .LBB39_102
; %bb.93:
	v_cmp_gt_i16_e32 vcc_lo, 3, v17
	s_cbranch_vccnz .LBB39_99
; %bb.94:
	v_cmp_lt_i16_e32 vcc_lo, 3, v17
	s_cbranch_vccz .LBB39_96
; %bb.95:
	v_dual_mov_b32 v2, s12 :: v_dual_mov_b32 v3, s13
	s_mov_b32 s23, 0
	global_store_b64 v[6:7], v[2:3], off
.LBB39_96:
	s_and_not1_b32 vcc_lo, exec_lo, s23
	s_cbranch_vccnz .LBB39_98
; %bb.97:
	v_mov_b32_e32 v2, s29
	global_store_b32 v[6:7], v2, off
.LBB39_98:
	s_mov_b32 s23, 0
.LBB39_99:
	s_delay_alu instid0(SALU_CYCLE_1)
	s_and_not1_b32 vcc_lo, exec_lo, s23
	s_cbranch_vccnz .LBB39_101
; %bb.100:
	v_mov_b32_e32 v2, s10
	global_store_b16 v[6:7], v2, off
.LBB39_101:
	s_mov_b32 s23, 0
.LBB39_102:
	s_delay_alu instid0(SALU_CYCLE_1)
	s_and_not1_b32 vcc_lo, exec_lo, s23
	s_cbranch_vccnz .LBB39_107
; %bb.103:
	v_cmp_lt_i16_e32 vcc_lo, 0, v17
	s_mov_b32 s23, -1
	s_cbranch_vccz .LBB39_105
; %bb.104:
	v_mov_b32_e32 v2, s10
	s_mov_b32 s23, 0
	global_store_b8 v[6:7], v2, off
.LBB39_105:
	s_and_not1_b32 vcc_lo, exec_lo, s23
	s_cbranch_vccnz .LBB39_107
; %bb.106:
	v_mov_b32_e32 v2, s10
	global_store_b8 v[6:7], v2, off
.LBB39_107:
	s_branch .LBB39_68
.LBB39_108:
	s_mov_b32 s23, 0
                                        ; implicit-def: $vgpr9
.LBB39_109:
	s_and_b32 s54, s22, exec_lo
	s_or_not1_b32 s22, s23, exec_lo
.LBB39_110:
	s_or_b32 exec_lo, exec_lo, s55
	s_mov_b32 s23, 0
                                        ; implicit-def: $vgpr17
                                        ; implicit-def: $vgpr6_vgpr7
	s_and_saveexec_b32 s55, s22
	s_cbranch_execz .LBB39_117
; %bb.111:
	s_mov_b32 s24, -1
	s_mov_b32 s56, s54
	s_mov_b32 s57, exec_lo
	v_cmpx_gt_i32_e64 s51, v9
	s_cbranch_execz .LBB39_362
; %bb.112:
	s_and_not1_b32 vcc_lo, exec_lo, s27
	s_cbranch_vccnz .LBB39_240
; %bb.113:
	v_mov_b32_e32 v2, 0
	s_and_not1_b32 vcc_lo, exec_lo, s53
	s_cbranch_vccnz .LBB39_245
; %bb.114:
	s_add_i32 s58, s52, 1
	s_cmp_eq_u32 s26, 2
	s_mov_b32 s56, 0
	s_cbranch_scc1 .LBB39_241
; %bb.115:
	v_dual_mov_b32 v2, 0 :: v_dual_mov_b32 v3, v9
	s_and_b32 s56, s58, 28
	s_mov_b32 s59, 0
	s_mov_b64 s[22:23], s[8:9]
	s_mov_b64 s[24:25], s[20:21]
.LBB39_116:                             ; =>This Inner Loop Header: Depth=1
	s_clause 0x1
	s_load_b256 s[60:67], s[22:23], 0x4
	s_load_b128 s[68:71], s[22:23], 0x24
	s_load_b128 s[72:75], s[24:25], 0x0
	s_add_u32 s22, s22, 48
	s_addc_u32 s23, s23, 0
	s_add_i32 s59, s59, 4
	s_add_u32 s24, s24, 16
	s_addc_u32 s25, s25, 0
	s_cmp_eq_u32 s56, s59
	s_waitcnt lgkmcnt(0)
	v_mul_hi_u32 v5, s61, v3
	s_delay_alu instid0(VALU_DEP_1) | instskip(NEXT) | instid1(VALU_DEP_1)
	v_add_nc_u32_e32 v5, v3, v5
	v_lshrrev_b32_e32 v5, s62, v5
	s_delay_alu instid0(VALU_DEP_1) | instskip(SKIP_1) | instid1(VALU_DEP_2)
	v_mul_hi_u32 v6, s64, v5
	v_mul_lo_u32 v18, v5, s60
	v_add_nc_u32_e32 v6, v5, v6
	s_delay_alu instid0(VALU_DEP_2) | instskip(NEXT) | instid1(VALU_DEP_2)
	v_sub_nc_u32_e32 v18, v3, v18
	v_lshrrev_b32_e32 v6, s65, v6
	s_delay_alu instid0(VALU_DEP_2) | instskip(NEXT) | instid1(VALU_DEP_2)
	v_mul_lo_u32 v18, v18, s72
	v_mul_hi_u32 v7, s67, v6
	v_mul_lo_u32 v19, v6, s63
	s_delay_alu instid0(VALU_DEP_2) | instskip(NEXT) | instid1(VALU_DEP_2)
	v_add_nc_u32_e32 v7, v6, v7
	v_sub_nc_u32_e32 v5, v5, v19
	s_delay_alu instid0(VALU_DEP_2) | instskip(NEXT) | instid1(VALU_DEP_2)
	v_lshrrev_b32_e32 v7, s68, v7
	v_mul_lo_u32 v5, v5, s73
	s_delay_alu instid0(VALU_DEP_2) | instskip(NEXT) | instid1(VALU_DEP_2)
	v_mul_hi_u32 v17, s70, v7
	v_add3_u32 v2, v18, v2, v5
	s_delay_alu instid0(VALU_DEP_2) | instskip(NEXT) | instid1(VALU_DEP_1)
	v_add_nc_u32_e32 v17, v7, v17
	v_lshrrev_b32_e32 v3, s71, v17
	v_mul_lo_u32 v17, v7, s66
	s_delay_alu instid0(VALU_DEP_2) | instskip(NEXT) | instid1(VALU_DEP_2)
	v_mul_lo_u32 v20, v3, s69
	v_sub_nc_u32_e32 v6, v6, v17
	s_delay_alu instid0(VALU_DEP_2) | instskip(NEXT) | instid1(VALU_DEP_2)
	v_sub_nc_u32_e32 v7, v7, v20
	v_mul_lo_u32 v6, v6, s74
	s_delay_alu instid0(VALU_DEP_2) | instskip(NEXT) | instid1(VALU_DEP_1)
	v_mul_lo_u32 v7, v7, s75
	v_add3_u32 v2, v6, v2, v7
	s_cbranch_scc0 .LBB39_116
	s_branch .LBB39_242
.LBB39_117:
	s_or_b32 exec_lo, exec_lo, s55
	s_mov_b32 s2, 0
	s_waitcnt lgkmcnt(0)
	s_and_saveexec_b32 s4, s54
	s_cbranch_execnz .LBB39_677
.LBB39_118:
	s_or_b32 exec_lo, exec_lo, s4
	s_and_saveexec_b32 s4, s56
	s_delay_alu instid0(SALU_CYCLE_1)
	s_xor_b32 s4, exec_lo, s4
	s_cbranch_execz .LBB39_120
.LBB39_119:
	global_store_b8 v[6:7], v11, off
.LBB39_120:
	s_or_b32 exec_lo, exec_lo, s4
	s_and_saveexec_b32 s4, s23
	s_delay_alu instid0(SALU_CYCLE_1)
	s_xor_b32 s4, exec_lo, s4
	s_cbranch_execz .LBB39_158
; %bb.121:
	v_cmp_gt_i16_e32 vcc_lo, 5, v17
	s_mov_b32 s5, -1
	s_cbranch_vccnz .LBB39_142
; %bb.122:
	v_cmp_gt_i16_e32 vcc_lo, 8, v17
	s_cbranch_vccnz .LBB39_132
; %bb.123:
	v_cmp_gt_i16_e32 vcc_lo, 9, v17
	s_cbranch_vccnz .LBB39_129
; %bb.124:
	v_cmp_lt_i16_e32 vcc_lo, 9, v17
	s_cbranch_vccz .LBB39_126
; %bb.125:
	v_mov_b32_e32 v2, 0
	s_mov_b32 s5, 0
	s_delay_alu instid0(VALU_DEP_1)
	v_mov_b32_e32 v3, v2
	global_store_b128 v[6:7], v[0:3], off
.LBB39_126:
	s_and_not1_b32 vcc_lo, exec_lo, s5
	s_cbranch_vccnz .LBB39_128
; %bb.127:
	v_mov_b32_e32 v5, 0
	global_store_b64 v[6:7], v[4:5], off
.LBB39_128:
	s_mov_b32 s5, 0
.LBB39_129:
	s_delay_alu instid0(SALU_CYCLE_1)
	s_and_not1_b32 vcc_lo, exec_lo, s5
	s_cbranch_vccnz .LBB39_131
; %bb.130:
	global_store_b32 v[6:7], v10, off
.LBB39_131:
	s_mov_b32 s5, 0
.LBB39_132:
	s_delay_alu instid0(SALU_CYCLE_1)
	s_and_not1_b32 vcc_lo, exec_lo, s5
	s_cbranch_vccnz .LBB39_141
; %bb.133:
	v_cmp_gt_i16_e32 vcc_lo, 6, v17
	s_mov_b32 s5, -1
	s_cbranch_vccnz .LBB39_139
; %bb.134:
	v_cmp_lt_i16_e32 vcc_lo, 6, v17
	s_cbranch_vccz .LBB39_136
; %bb.135:
	s_mov_b32 s5, 0
	global_store_b64 v[6:7], v[0:1], off
.LBB39_136:
	s_and_not1_b32 vcc_lo, exec_lo, s5
	s_cbranch_vccnz .LBB39_138
; %bb.137:
	global_store_b32 v[6:7], v4, off
.LBB39_138:
	s_mov_b32 s5, 0
.LBB39_139:
	s_delay_alu instid0(SALU_CYCLE_1)
	s_and_not1_b32 vcc_lo, exec_lo, s5
	s_cbranch_vccnz .LBB39_141
; %bb.140:
	global_store_b16 v[6:7], v8, off
.LBB39_141:
	s_mov_b32 s5, 0
.LBB39_142:
	s_delay_alu instid0(SALU_CYCLE_1)
	s_and_not1_b32 vcc_lo, exec_lo, s5
	s_cbranch_vccnz .LBB39_158
; %bb.143:
	v_cmp_gt_i16_e32 vcc_lo, 2, v17
	s_mov_b32 s5, -1
	s_cbranch_vccnz .LBB39_153
; %bb.144:
	v_cmp_gt_i16_e32 vcc_lo, 3, v17
	s_cbranch_vccnz .LBB39_150
; %bb.145:
	v_cmp_lt_i16_e32 vcc_lo, 3, v17
	s_cbranch_vccz .LBB39_147
; %bb.146:
	v_dual_mov_b32 v0, s12 :: v_dual_mov_b32 v1, s13
	s_mov_b32 s5, 0
	global_store_b64 v[6:7], v[0:1], off
.LBB39_147:
	s_and_not1_b32 vcc_lo, exec_lo, s5
	s_cbranch_vccnz .LBB39_149
; %bb.148:
	v_mov_b32_e32 v0, s29
	global_store_b32 v[6:7], v0, off
.LBB39_149:
	s_mov_b32 s5, 0
.LBB39_150:
	s_delay_alu instid0(SALU_CYCLE_1)
	s_and_not1_b32 vcc_lo, exec_lo, s5
	s_cbranch_vccnz .LBB39_152
; %bb.151:
	v_mov_b32_e32 v0, s10
	global_store_b16 v[6:7], v0, off
.LBB39_152:
	s_mov_b32 s5, 0
.LBB39_153:
	s_delay_alu instid0(SALU_CYCLE_1)
	s_and_not1_b32 vcc_lo, exec_lo, s5
	s_cbranch_vccnz .LBB39_158
; %bb.154:
	v_cmp_lt_i16_e32 vcc_lo, 0, v17
	s_mov_b32 s5, -1
	s_cbranch_vccz .LBB39_156
; %bb.155:
	v_mov_b32_e32 v0, s10
	s_mov_b32 s5, 0
	global_store_b8 v[6:7], v0, off
.LBB39_156:
	s_and_not1_b32 vcc_lo, exec_lo, s5
	s_cbranch_vccnz .LBB39_158
; %bb.157:
	v_mov_b32_e32 v0, s10
	global_store_b8 v[6:7], v0, off
.LBB39_158:
	s_or_b32 exec_lo, exec_lo, s4
	s_delay_alu instid0(SALU_CYCLE_1)
	s_and_b32 s6, s2, exec_lo
                                        ; implicit-def: $vgpr4
                                        ; implicit-def: $vgpr9
.LBB39_159:
	s_or_saveexec_b32 s7, s28
	s_mov_b32 s5, 0
                                        ; implicit-def: $vgpr5
                                        ; implicit-def: $vgpr0_vgpr1
                                        ; implicit-def: $sgpr2
	s_xor_b32 exec_lo, exec_lo, s7
	s_cbranch_execz .LBB39_925
; %bb.160:
	v_cndmask_b32_e64 v0, 0, 1, s27
	s_and_not1_b32 vcc_lo, exec_lo, s27
	s_cbranch_vccnz .LBB39_166
; %bb.161:
	v_mov_b32_e32 v3, 0
	s_cmp_eq_u32 s11, 0
	s_mov_b32 s10, 0
	s_cbranch_scc1 .LBB39_170
; %bb.162:
	s_min_u32 s12, s26, 15
	v_mov_b32_e32 v3, 0
	s_add_i32 s12, s12, 1
	s_cmp_eq_u32 s26, 2
	s_mov_b32 s13, 0
	s_cbranch_scc1 .LBB39_167
; %bb.163:
	v_mov_b32_e32 v3, 0
	v_mov_b32_e32 v1, v9
	s_add_u32 s2, s8, 0xc4
	s_addc_u32 s3, s9, 0
	s_and_b32 s13, s12, 28
	s_mov_b32 s14, 0
	s_mov_b64 s[4:5], s[8:9]
.LBB39_164:                             ; =>This Inner Loop Header: Depth=1
	s_clause 0x1
	s_load_b256 s[16:23], s[4:5], 0x4
	s_load_b128 s[28:31], s[4:5], 0x24
	s_load_b128 s[36:39], s[2:3], 0x0
	s_add_u32 s4, s4, 48
	s_addc_u32 s5, s5, 0
	s_add_i32 s14, s14, 4
	s_add_u32 s2, s2, 16
	s_addc_u32 s3, s3, 0
	s_cmp_lg_u32 s13, s14
	s_waitcnt lgkmcnt(0)
	v_mul_hi_u32 v2, s17, v1
	s_delay_alu instid0(VALU_DEP_1) | instskip(NEXT) | instid1(VALU_DEP_1)
	v_add_nc_u32_e32 v2, v1, v2
	v_lshrrev_b32_e32 v2, s18, v2
	s_delay_alu instid0(VALU_DEP_1) | instskip(SKIP_1) | instid1(VALU_DEP_2)
	v_mul_hi_u32 v5, s20, v2
	v_mul_lo_u32 v8, v2, s16
	v_add_nc_u32_e32 v5, v2, v5
	s_delay_alu instid0(VALU_DEP_2) | instskip(NEXT) | instid1(VALU_DEP_2)
	v_sub_nc_u32_e32 v8, v1, v8
	v_lshrrev_b32_e32 v5, s21, v5
	s_delay_alu instid0(VALU_DEP_2) | instskip(NEXT) | instid1(VALU_DEP_2)
	v_mul_lo_u32 v8, v8, s36
	v_mul_hi_u32 v6, s23, v5
	v_mul_lo_u32 v10, v5, s19
	s_delay_alu instid0(VALU_DEP_2) | instskip(NEXT) | instid1(VALU_DEP_2)
	v_add_nc_u32_e32 v6, v5, v6
	v_sub_nc_u32_e32 v2, v2, v10
	s_delay_alu instid0(VALU_DEP_2) | instskip(NEXT) | instid1(VALU_DEP_2)
	v_lshrrev_b32_e32 v6, s28, v6
	v_mul_lo_u32 v2, v2, s37
	s_delay_alu instid0(VALU_DEP_2) | instskip(NEXT) | instid1(VALU_DEP_2)
	v_mul_hi_u32 v7, s30, v6
	v_add3_u32 v2, v8, v3, v2
	s_delay_alu instid0(VALU_DEP_2) | instskip(NEXT) | instid1(VALU_DEP_1)
	v_add_nc_u32_e32 v7, v6, v7
	v_lshrrev_b32_e32 v1, s31, v7
	v_mul_lo_u32 v7, v6, s22
	s_delay_alu instid0(VALU_DEP_2) | instskip(NEXT) | instid1(VALU_DEP_2)
	v_mul_lo_u32 v11, v1, s29
	v_sub_nc_u32_e32 v5, v5, v7
	s_delay_alu instid0(VALU_DEP_2) | instskip(NEXT) | instid1(VALU_DEP_2)
	v_sub_nc_u32_e32 v6, v6, v11
	v_mul_lo_u32 v5, v5, s38
	s_delay_alu instid0(VALU_DEP_2) | instskip(NEXT) | instid1(VALU_DEP_1)
	v_mul_lo_u32 v6, v6, s39
	v_add3_u32 v3, v5, v2, v6
	s_cbranch_scc1 .LBB39_164
; %bb.165:
	s_and_b32 s12, s12, 3
	s_delay_alu instid0(SALU_CYCLE_1)
	s_cmp_eq_u32 s12, 0
	s_cbranch_scc0 .LBB39_168
	s_branch .LBB39_170
.LBB39_166:
	s_mov_b32 s10, -1
                                        ; implicit-def: $vgpr3
	s_branch .LBB39_170
.LBB39_167:
	v_mov_b32_e32 v1, v9
	s_and_b32 s12, s12, 3
	s_delay_alu instid0(SALU_CYCLE_1)
	s_cmp_eq_u32 s12, 0
	s_cbranch_scc1 .LBB39_170
.LBB39_168:
	s_lshl_b32 s2, s13, 2
	s_mul_i32 s4, s13, 12
	s_add_u32 s2, s2, s8
	s_addc_u32 s3, 0, s9
	s_add_u32 s2, s2, 0xc4
	s_addc_u32 s3, s3, 0
	;; [unrolled: 2-line block ×3, first 2 shown]
	.p2align	6
.LBB39_169:                             ; =>This Inner Loop Header: Depth=1
	s_clause 0x1
	s_load_b64 s[14:15], s[4:5], 0x4
	s_load_b32 s13, s[4:5], 0xc
	s_add_u32 s4, s4, 12
	s_addc_u32 s5, s5, 0
	s_waitcnt lgkmcnt(0)
	v_mul_hi_u32 v2, s15, v1
	s_load_b32 s15, s[2:3], 0x0
	s_add_u32 s2, s2, 4
	s_addc_u32 s3, s3, 0
	s_add_i32 s12, s12, -1
	s_delay_alu instid0(SALU_CYCLE_1) | instskip(NEXT) | instid1(VALU_DEP_1)
	s_cmp_lg_u32 s12, 0
	v_add_nc_u32_e32 v2, v1, v2
	s_delay_alu instid0(VALU_DEP_1) | instskip(NEXT) | instid1(VALU_DEP_1)
	v_lshrrev_b32_e32 v2, s13, v2
	v_mul_lo_u32 v5, v2, s14
	s_delay_alu instid0(VALU_DEP_1) | instskip(SKIP_1) | instid1(VALU_DEP_1)
	v_sub_nc_u32_e32 v1, v1, v5
	s_waitcnt lgkmcnt(0)
	v_mad_u64_u32 v[5:6], null, v1, s15, v[3:4]
	v_mov_b32_e32 v1, v2
	s_delay_alu instid0(VALU_DEP_2)
	v_mov_b32_e32 v3, v5
	s_cbranch_scc1 .LBB39_169
.LBB39_170:
	s_and_not1_b32 vcc_lo, exec_lo, s10
	s_cbranch_vccnz .LBB39_173
; %bb.171:
	s_clause 0x1
	s_load_b128 s[12:15], s[8:9], 0x4
	s_load_b32 s2, s[8:9], 0xc4
	s_cmp_lt_u32 s11, 2
	s_waitcnt lgkmcnt(0)
	v_mul_hi_u32 v1, s13, v9
	s_delay_alu instid0(VALU_DEP_1) | instskip(NEXT) | instid1(VALU_DEP_1)
	v_add_nc_u32_e32 v1, v9, v1
	v_lshrrev_b32_e32 v1, s14, v1
	s_delay_alu instid0(VALU_DEP_1) | instskip(NEXT) | instid1(VALU_DEP_1)
	v_mul_lo_u32 v2, v1, s12
	v_sub_nc_u32_e32 v2, v9, v2
	s_delay_alu instid0(VALU_DEP_1)
	v_mul_lo_u32 v3, v2, s2
	s_cbranch_scc1 .LBB39_173
; %bb.172:
	s_clause 0x1
	s_load_b128 s[12:15], s[8:9], 0x10
	s_load_b32 s2, s[8:9], 0xc8
	s_waitcnt lgkmcnt(0)
	v_mul_hi_u32 v2, s13, v1
	s_delay_alu instid0(VALU_DEP_1) | instskip(NEXT) | instid1(VALU_DEP_1)
	v_add_nc_u32_e32 v2, v1, v2
	v_lshrrev_b32_e32 v2, s14, v2
	s_delay_alu instid0(VALU_DEP_1) | instskip(NEXT) | instid1(VALU_DEP_1)
	v_mul_lo_u32 v2, v2, s12
	v_sub_nc_u32_e32 v5, v1, v2
	s_delay_alu instid0(VALU_DEP_1) | instskip(NEXT) | instid1(VALU_DEP_1)
	v_mad_u64_u32 v[1:2], null, v5, s2, v[3:4]
	v_mov_b32_e32 v3, v1
.LBB39_173:
	v_cmp_ne_u32_e32 vcc_lo, 1, v0
	v_add_nc_u32_e32 v1, 0x80, v9
	s_cbranch_vccnz .LBB39_179
; %bb.174:
	v_mov_b32_e32 v2, 0
	s_cmp_eq_u32 s11, 0
	s_mov_b32 s10, 0
	s_cbranch_scc1 .LBB39_183
; %bb.175:
	s_min_u32 s12, s26, 15
	v_mov_b32_e32 v2, 0
	s_add_i32 s12, s12, 1
	s_cmp_eq_u32 s26, 2
	s_mov_b32 s13, 0
	s_cbranch_scc1 .LBB39_180
; %bb.176:
	v_dual_mov_b32 v2, 0 :: v_dual_mov_b32 v5, v1
	s_add_u32 s2, s8, 0xc4
	s_addc_u32 s3, s9, 0
	s_and_b32 s13, s12, 28
	s_mov_b32 s14, 0
	s_mov_b64 s[4:5], s[8:9]
.LBB39_177:                             ; =>This Inner Loop Header: Depth=1
	s_clause 0x1
	s_load_b256 s[16:23], s[4:5], 0x4
	s_load_b128 s[28:31], s[4:5], 0x24
	s_load_b128 s[36:39], s[2:3], 0x0
	s_add_u32 s4, s4, 48
	s_addc_u32 s5, s5, 0
	s_add_i32 s14, s14, 4
	s_add_u32 s2, s2, 16
	s_addc_u32 s3, s3, 0
	s_cmp_lg_u32 s13, s14
	s_waitcnt lgkmcnt(0)
	v_mul_hi_u32 v6, s17, v5
	s_delay_alu instid0(VALU_DEP_1) | instskip(NEXT) | instid1(VALU_DEP_1)
	v_add_nc_u32_e32 v6, v5, v6
	v_lshrrev_b32_e32 v6, s18, v6
	s_delay_alu instid0(VALU_DEP_1) | instskip(SKIP_1) | instid1(VALU_DEP_2)
	v_mul_hi_u32 v7, s20, v6
	v_mul_lo_u32 v11, v6, s16
	v_add_nc_u32_e32 v7, v6, v7
	s_delay_alu instid0(VALU_DEP_2) | instskip(NEXT) | instid1(VALU_DEP_2)
	v_sub_nc_u32_e32 v11, v5, v11
	v_lshrrev_b32_e32 v7, s21, v7
	s_delay_alu instid0(VALU_DEP_2) | instskip(NEXT) | instid1(VALU_DEP_2)
	v_mul_lo_u32 v11, v11, s36
	v_mul_hi_u32 v8, s23, v7
	v_mul_lo_u32 v12, v7, s19
	s_delay_alu instid0(VALU_DEP_2) | instskip(NEXT) | instid1(VALU_DEP_2)
	v_add_nc_u32_e32 v8, v7, v8
	v_sub_nc_u32_e32 v6, v6, v12
	s_delay_alu instid0(VALU_DEP_2) | instskip(NEXT) | instid1(VALU_DEP_2)
	v_lshrrev_b32_e32 v8, s28, v8
	v_mul_lo_u32 v6, v6, s37
	s_delay_alu instid0(VALU_DEP_2) | instskip(NEXT) | instid1(VALU_DEP_2)
	v_mul_hi_u32 v10, s30, v8
	v_add3_u32 v2, v11, v2, v6
	s_delay_alu instid0(VALU_DEP_2) | instskip(NEXT) | instid1(VALU_DEP_1)
	v_add_nc_u32_e32 v10, v8, v10
	v_lshrrev_b32_e32 v5, s31, v10
	v_mul_lo_u32 v10, v8, s22
	s_delay_alu instid0(VALU_DEP_2) | instskip(NEXT) | instid1(VALU_DEP_2)
	v_mul_lo_u32 v13, v5, s29
	v_sub_nc_u32_e32 v7, v7, v10
	s_delay_alu instid0(VALU_DEP_2) | instskip(NEXT) | instid1(VALU_DEP_2)
	v_sub_nc_u32_e32 v8, v8, v13
	v_mul_lo_u32 v7, v7, s38
	s_delay_alu instid0(VALU_DEP_2) | instskip(NEXT) | instid1(VALU_DEP_1)
	v_mul_lo_u32 v8, v8, s39
	v_add3_u32 v2, v7, v2, v8
	s_cbranch_scc1 .LBB39_177
; %bb.178:
	s_and_b32 s12, s12, 3
	s_delay_alu instid0(SALU_CYCLE_1)
	s_cmp_eq_u32 s12, 0
	s_cbranch_scc0 .LBB39_181
	s_branch .LBB39_183
.LBB39_179:
	s_mov_b32 s10, -1
                                        ; implicit-def: $vgpr2
	s_branch .LBB39_183
.LBB39_180:
	v_mov_b32_e32 v5, v1
	s_and_b32 s12, s12, 3
	s_delay_alu instid0(SALU_CYCLE_1)
	s_cmp_eq_u32 s12, 0
	s_cbranch_scc1 .LBB39_183
.LBB39_181:
	s_lshl_b32 s2, s13, 2
	s_mul_i32 s4, s13, 12
	s_add_u32 s2, s2, s8
	s_addc_u32 s3, 0, s9
	s_add_u32 s2, s2, 0xc4
	s_addc_u32 s3, s3, 0
	s_add_u32 s4, s8, s4
	s_addc_u32 s5, 0, s9
	.p2align	6
.LBB39_182:                             ; =>This Inner Loop Header: Depth=1
	s_clause 0x1
	s_load_b64 s[14:15], s[4:5], 0x4
	s_load_b32 s13, s[4:5], 0xc
	s_add_u32 s4, s4, 12
	s_addc_u32 s5, s5, 0
	s_waitcnt lgkmcnt(0)
	v_mul_hi_u32 v6, s15, v5
	s_load_b32 s15, s[2:3], 0x0
	s_add_u32 s2, s2, 4
	s_addc_u32 s3, s3, 0
	s_add_i32 s12, s12, -1
	s_delay_alu instid0(SALU_CYCLE_1) | instskip(NEXT) | instid1(VALU_DEP_1)
	s_cmp_lg_u32 s12, 0
	v_add_nc_u32_e32 v6, v5, v6
	s_delay_alu instid0(VALU_DEP_1) | instskip(NEXT) | instid1(VALU_DEP_1)
	v_lshrrev_b32_e32 v8, s13, v6
	v_mul_lo_u32 v6, v8, s14
	s_delay_alu instid0(VALU_DEP_1) | instskip(SKIP_1) | instid1(VALU_DEP_1)
	v_sub_nc_u32_e32 v5, v5, v6
	s_waitcnt lgkmcnt(0)
	v_mad_u64_u32 v[6:7], null, v5, s15, v[2:3]
	s_delay_alu instid0(VALU_DEP_1)
	v_dual_mov_b32 v5, v8 :: v_dual_mov_b32 v2, v6
	s_cbranch_scc1 .LBB39_182
.LBB39_183:
	s_and_not1_b32 vcc_lo, exec_lo, s10
	s_cbranch_vccnz .LBB39_186
; %bb.184:
	s_clause 0x1
	s_load_b128 s[12:15], s[8:9], 0x4
	s_load_b32 s2, s[8:9], 0xc4
	s_cmp_lt_u32 s11, 2
	s_waitcnt lgkmcnt(0)
	v_mul_hi_u32 v2, s13, v1
	s_delay_alu instid0(VALU_DEP_1) | instskip(NEXT) | instid1(VALU_DEP_1)
	v_add_nc_u32_e32 v2, v1, v2
	v_lshrrev_b32_e32 v5, s14, v2
	s_delay_alu instid0(VALU_DEP_1) | instskip(NEXT) | instid1(VALU_DEP_1)
	v_mul_lo_u32 v2, v5, s12
	v_sub_nc_u32_e32 v1, v1, v2
	s_delay_alu instid0(VALU_DEP_1)
	v_mul_lo_u32 v2, v1, s2
	s_cbranch_scc1 .LBB39_186
; %bb.185:
	s_clause 0x1
	s_load_b128 s[12:15], s[8:9], 0x10
	s_load_b32 s2, s[8:9], 0xc8
	s_waitcnt lgkmcnt(0)
	v_mul_hi_u32 v1, s13, v5
	s_delay_alu instid0(VALU_DEP_1) | instskip(NEXT) | instid1(VALU_DEP_1)
	v_add_nc_u32_e32 v1, v5, v1
	v_lshrrev_b32_e32 v1, s14, v1
	s_delay_alu instid0(VALU_DEP_1) | instskip(NEXT) | instid1(VALU_DEP_1)
	v_mul_lo_u32 v1, v1, s12
	v_sub_nc_u32_e32 v1, v5, v1
	s_delay_alu instid0(VALU_DEP_1) | instskip(NEXT) | instid1(VALU_DEP_1)
	v_mad_u64_u32 v[5:6], null, v1, s2, v[2:3]
	v_mov_b32_e32 v2, v5
.LBB39_186:
	v_cmp_ne_u32_e32 vcc_lo, 1, v0
	v_add_nc_u32_e32 v5, 0x100, v9
	s_cbranch_vccnz .LBB39_192
; %bb.187:
	v_mov_b32_e32 v1, 0
	s_cmp_eq_u32 s11, 0
	s_mov_b32 s10, 0
	s_cbranch_scc1 .LBB39_196
; %bb.188:
	s_min_u32 s12, s26, 15
	v_mov_b32_e32 v1, 0
	s_add_i32 s12, s12, 1
	s_cmp_eq_u32 s26, 2
	s_mov_b32 s13, 0
	s_cbranch_scc1 .LBB39_193
; %bb.189:
	v_dual_mov_b32 v1, 0 :: v_dual_mov_b32 v6, v5
	s_add_u32 s2, s8, 0xc4
	s_addc_u32 s3, s9, 0
	s_and_b32 s13, s12, 28
	s_mov_b32 s14, 0
	s_mov_b64 s[4:5], s[8:9]
.LBB39_190:                             ; =>This Inner Loop Header: Depth=1
	s_clause 0x1
	s_load_b256 s[16:23], s[4:5], 0x4
	s_load_b128 s[28:31], s[4:5], 0x24
	s_load_b128 s[36:39], s[2:3], 0x0
	s_add_u32 s4, s4, 48
	s_addc_u32 s5, s5, 0
	s_add_i32 s14, s14, 4
	s_add_u32 s2, s2, 16
	s_addc_u32 s3, s3, 0
	s_cmp_lg_u32 s13, s14
	s_waitcnt lgkmcnt(0)
	v_mul_hi_u32 v7, s17, v6
	s_delay_alu instid0(VALU_DEP_1) | instskip(NEXT) | instid1(VALU_DEP_1)
	v_add_nc_u32_e32 v7, v6, v7
	v_lshrrev_b32_e32 v7, s18, v7
	s_delay_alu instid0(VALU_DEP_1) | instskip(SKIP_1) | instid1(VALU_DEP_2)
	v_mul_hi_u32 v8, s20, v7
	v_mul_lo_u32 v11, v7, s16
	v_add_nc_u32_e32 v8, v7, v8
	s_delay_alu instid0(VALU_DEP_2) | instskip(NEXT) | instid1(VALU_DEP_2)
	v_sub_nc_u32_e32 v11, v6, v11
	v_lshrrev_b32_e32 v8, s21, v8
	s_delay_alu instid0(VALU_DEP_2) | instskip(NEXT) | instid1(VALU_DEP_2)
	v_mul_lo_u32 v11, v11, s36
	v_mul_hi_u32 v9, s23, v8
	v_mul_lo_u32 v12, v8, s19
	s_delay_alu instid0(VALU_DEP_2) | instskip(NEXT) | instid1(VALU_DEP_2)
	v_add_nc_u32_e32 v9, v8, v9
	v_sub_nc_u32_e32 v7, v7, v12
	s_delay_alu instid0(VALU_DEP_2) | instskip(NEXT) | instid1(VALU_DEP_2)
	v_lshrrev_b32_e32 v9, s28, v9
	v_mul_lo_u32 v7, v7, s37
	s_delay_alu instid0(VALU_DEP_2) | instskip(NEXT) | instid1(VALU_DEP_2)
	v_mul_hi_u32 v10, s30, v9
	v_add3_u32 v1, v11, v1, v7
	s_delay_alu instid0(VALU_DEP_2) | instskip(NEXT) | instid1(VALU_DEP_1)
	v_add_nc_u32_e32 v10, v9, v10
	v_lshrrev_b32_e32 v6, s31, v10
	v_mul_lo_u32 v10, v9, s22
	s_delay_alu instid0(VALU_DEP_2) | instskip(NEXT) | instid1(VALU_DEP_2)
	v_mul_lo_u32 v13, v6, s29
	v_sub_nc_u32_e32 v8, v8, v10
	s_delay_alu instid0(VALU_DEP_2) | instskip(NEXT) | instid1(VALU_DEP_2)
	v_sub_nc_u32_e32 v9, v9, v13
	v_mul_lo_u32 v8, v8, s38
	s_delay_alu instid0(VALU_DEP_2) | instskip(NEXT) | instid1(VALU_DEP_1)
	v_mul_lo_u32 v9, v9, s39
	v_add3_u32 v1, v8, v1, v9
	s_cbranch_scc1 .LBB39_190
; %bb.191:
	s_and_b32 s12, s12, 3
	s_delay_alu instid0(SALU_CYCLE_1)
	s_cmp_eq_u32 s12, 0
	s_cbranch_scc0 .LBB39_194
	s_branch .LBB39_196
.LBB39_192:
	s_mov_b32 s10, -1
                                        ; implicit-def: $vgpr1
	s_branch .LBB39_196
.LBB39_193:
	v_mov_b32_e32 v6, v5
	s_and_b32 s12, s12, 3
	s_delay_alu instid0(SALU_CYCLE_1)
	s_cmp_eq_u32 s12, 0
	s_cbranch_scc1 .LBB39_196
.LBB39_194:
	s_lshl_b32 s2, s13, 2
	s_mul_i32 s4, s13, 12
	s_add_u32 s2, s2, s8
	s_addc_u32 s3, 0, s9
	s_add_u32 s2, s2, 0xc4
	s_addc_u32 s3, s3, 0
	;; [unrolled: 2-line block ×3, first 2 shown]
	.p2align	6
.LBB39_195:                             ; =>This Inner Loop Header: Depth=1
	s_clause 0x1
	s_load_b64 s[14:15], s[4:5], 0x4
	s_load_b32 s13, s[4:5], 0xc
	s_add_u32 s4, s4, 12
	s_addc_u32 s5, s5, 0
	s_waitcnt lgkmcnt(0)
	v_mul_hi_u32 v7, s15, v6
	s_load_b32 s15, s[2:3], 0x0
	s_add_u32 s2, s2, 4
	s_addc_u32 s3, s3, 0
	s_add_i32 s12, s12, -1
	s_delay_alu instid0(SALU_CYCLE_1) | instskip(NEXT) | instid1(VALU_DEP_1)
	s_cmp_lg_u32 s12, 0
	v_add_nc_u32_e32 v7, v6, v7
	s_delay_alu instid0(VALU_DEP_1) | instskip(NEXT) | instid1(VALU_DEP_1)
	v_lshrrev_b32_e32 v9, s13, v7
	v_mul_lo_u32 v7, v9, s14
	s_delay_alu instid0(VALU_DEP_1) | instskip(SKIP_1) | instid1(VALU_DEP_1)
	v_sub_nc_u32_e32 v6, v6, v7
	s_waitcnt lgkmcnt(0)
	v_mad_u64_u32 v[7:8], null, v6, s15, v[1:2]
	s_delay_alu instid0(VALU_DEP_1)
	v_dual_mov_b32 v6, v9 :: v_dual_mov_b32 v1, v7
	s_cbranch_scc1 .LBB39_195
.LBB39_196:
	s_and_not1_b32 vcc_lo, exec_lo, s10
	s_cbranch_vccnz .LBB39_199
; %bb.197:
	s_clause 0x1
	s_load_b128 s[12:15], s[8:9], 0x4
	s_load_b32 s2, s[8:9], 0xc4
	s_cmp_lt_u32 s11, 2
	s_waitcnt lgkmcnt(0)
	v_mul_hi_u32 v1, s13, v5
	s_delay_alu instid0(VALU_DEP_1) | instskip(NEXT) | instid1(VALU_DEP_1)
	v_add_nc_u32_e32 v1, v5, v1
	v_lshrrev_b32_e32 v6, s14, v1
	s_delay_alu instid0(VALU_DEP_1) | instskip(NEXT) | instid1(VALU_DEP_1)
	v_mul_lo_u32 v1, v6, s12
	v_sub_nc_u32_e32 v1, v5, v1
	s_delay_alu instid0(VALU_DEP_1)
	v_mul_lo_u32 v1, v1, s2
	s_cbranch_scc1 .LBB39_199
; %bb.198:
	s_clause 0x1
	s_load_b128 s[12:15], s[8:9], 0x10
	s_load_b32 s2, s[8:9], 0xc8
	s_waitcnt lgkmcnt(0)
	v_mul_hi_u32 v5, s13, v6
	s_delay_alu instid0(VALU_DEP_1) | instskip(NEXT) | instid1(VALU_DEP_1)
	v_add_nc_u32_e32 v5, v6, v5
	v_lshrrev_b32_e32 v5, s14, v5
	s_delay_alu instid0(VALU_DEP_1) | instskip(NEXT) | instid1(VALU_DEP_1)
	v_mul_lo_u32 v5, v5, s12
	v_sub_nc_u32_e32 v7, v6, v5
	s_delay_alu instid0(VALU_DEP_1) | instskip(NEXT) | instid1(VALU_DEP_1)
	v_mad_u64_u32 v[5:6], null, v7, s2, v[1:2]
	v_mov_b32_e32 v1, v5
.LBB39_199:
	v_cmp_ne_u32_e32 vcc_lo, 1, v0
	s_cbranch_vccnz .LBB39_205
; %bb.200:
	v_mov_b32_e32 v0, 0
	s_cmp_eq_u32 s11, 0
	s_mov_b32 s10, 0
	s_cbranch_scc1 .LBB39_209
; %bb.201:
	s_min_u32 s12, s26, 15
	v_mov_b32_e32 v0, 0
	s_add_i32 s12, s12, 1
	s_cmp_eq_u32 s26, 2
	s_mov_b32 s13, 0
	s_cbranch_scc1 .LBB39_206
; %bb.202:
	v_dual_mov_b32 v0, 0 :: v_dual_mov_b32 v5, v4
	s_add_u32 s2, s8, 0xc4
	s_addc_u32 s3, s9, 0
	s_and_b32 s13, s12, 28
	s_mov_b32 s14, 0
	s_mov_b64 s[4:5], s[8:9]
.LBB39_203:                             ; =>This Inner Loop Header: Depth=1
	s_clause 0x1
	s_load_b256 s[16:23], s[4:5], 0x4
	s_load_b128 s[24:27], s[4:5], 0x24
	s_load_b128 s[28:31], s[2:3], 0x0
	s_add_u32 s4, s4, 48
	s_addc_u32 s5, s5, 0
	s_add_i32 s14, s14, 4
	s_add_u32 s2, s2, 16
	s_addc_u32 s3, s3, 0
	s_cmp_lg_u32 s13, s14
	s_waitcnt lgkmcnt(0)
	v_mul_hi_u32 v6, s17, v5
	s_delay_alu instid0(VALU_DEP_1) | instskip(NEXT) | instid1(VALU_DEP_1)
	v_add_nc_u32_e32 v6, v5, v6
	v_lshrrev_b32_e32 v6, s18, v6
	s_delay_alu instid0(VALU_DEP_1) | instskip(SKIP_1) | instid1(VALU_DEP_2)
	v_mul_hi_u32 v7, s20, v6
	v_mul_lo_u32 v10, v6, s16
	v_add_nc_u32_e32 v7, v6, v7
	s_delay_alu instid0(VALU_DEP_2) | instskip(NEXT) | instid1(VALU_DEP_2)
	v_sub_nc_u32_e32 v10, v5, v10
	v_lshrrev_b32_e32 v7, s21, v7
	s_delay_alu instid0(VALU_DEP_2) | instskip(NEXT) | instid1(VALU_DEP_2)
	v_mul_lo_u32 v10, v10, s28
	v_mul_hi_u32 v8, s23, v7
	v_mul_lo_u32 v11, v7, s19
	s_delay_alu instid0(VALU_DEP_2) | instskip(NEXT) | instid1(VALU_DEP_2)
	v_add_nc_u32_e32 v8, v7, v8
	v_sub_nc_u32_e32 v6, v6, v11
	s_delay_alu instid0(VALU_DEP_2) | instskip(NEXT) | instid1(VALU_DEP_2)
	v_lshrrev_b32_e32 v8, s24, v8
	v_mul_lo_u32 v6, v6, s29
	s_delay_alu instid0(VALU_DEP_2) | instskip(NEXT) | instid1(VALU_DEP_2)
	v_mul_hi_u32 v9, s26, v8
	v_add3_u32 v0, v10, v0, v6
	s_delay_alu instid0(VALU_DEP_2) | instskip(NEXT) | instid1(VALU_DEP_1)
	v_add_nc_u32_e32 v9, v8, v9
	v_lshrrev_b32_e32 v5, s27, v9
	v_mul_lo_u32 v9, v8, s22
	s_delay_alu instid0(VALU_DEP_2) | instskip(NEXT) | instid1(VALU_DEP_2)
	v_mul_lo_u32 v12, v5, s25
	v_sub_nc_u32_e32 v7, v7, v9
	s_delay_alu instid0(VALU_DEP_2) | instskip(NEXT) | instid1(VALU_DEP_2)
	v_sub_nc_u32_e32 v8, v8, v12
	v_mul_lo_u32 v7, v7, s30
	s_delay_alu instid0(VALU_DEP_2) | instskip(NEXT) | instid1(VALU_DEP_1)
	v_mul_lo_u32 v8, v8, s31
	v_add3_u32 v0, v7, v0, v8
	s_cbranch_scc1 .LBB39_203
; %bb.204:
	s_and_b32 s12, s12, 3
	s_delay_alu instid0(SALU_CYCLE_1)
	s_cmp_eq_u32 s12, 0
	s_cbranch_scc0 .LBB39_207
	s_branch .LBB39_209
.LBB39_205:
	s_mov_b32 s10, -1
                                        ; implicit-def: $vgpr0
	s_branch .LBB39_209
.LBB39_206:
	v_mov_b32_e32 v5, v4
	s_and_b32 s12, s12, 3
	s_delay_alu instid0(SALU_CYCLE_1)
	s_cmp_eq_u32 s12, 0
	s_cbranch_scc1 .LBB39_209
.LBB39_207:
	s_lshl_b32 s2, s13, 2
	s_mul_i32 s4, s13, 12
	s_add_u32 s2, s2, s8
	s_addc_u32 s3, 0, s9
	s_add_u32 s2, s2, 0xc4
	s_addc_u32 s3, s3, 0
	s_add_u32 s4, s8, s4
	s_addc_u32 s5, 0, s9
	.p2align	6
.LBB39_208:                             ; =>This Inner Loop Header: Depth=1
	s_clause 0x1
	s_load_b64 s[14:15], s[4:5], 0x4
	s_load_b32 s13, s[4:5], 0xc
	s_add_u32 s4, s4, 12
	s_addc_u32 s5, s5, 0
	s_waitcnt lgkmcnt(0)
	v_mul_hi_u32 v6, s15, v5
	s_load_b32 s15, s[2:3], 0x0
	s_add_u32 s2, s2, 4
	s_addc_u32 s3, s3, 0
	s_add_i32 s12, s12, -1
	s_delay_alu instid0(SALU_CYCLE_1) | instskip(NEXT) | instid1(VALU_DEP_1)
	s_cmp_lg_u32 s12, 0
	v_add_nc_u32_e32 v6, v5, v6
	s_delay_alu instid0(VALU_DEP_1) | instskip(NEXT) | instid1(VALU_DEP_1)
	v_lshrrev_b32_e32 v8, s13, v6
	v_mul_lo_u32 v6, v8, s14
	s_delay_alu instid0(VALU_DEP_1) | instskip(SKIP_1) | instid1(VALU_DEP_1)
	v_sub_nc_u32_e32 v5, v5, v6
	s_waitcnt lgkmcnt(0)
	v_mad_u64_u32 v[6:7], null, v5, s15, v[0:1]
	s_delay_alu instid0(VALU_DEP_1)
	v_dual_mov_b32 v5, v8 :: v_dual_mov_b32 v0, v6
	s_cbranch_scc1 .LBB39_208
.LBB39_209:
	s_and_not1_b32 vcc_lo, exec_lo, s10
	s_cbranch_vccnz .LBB39_212
; %bb.210:
	s_clause 0x1
	s_load_b128 s[12:15], s[8:9], 0x4
	s_load_b32 s2, s[8:9], 0xc4
	s_cmp_lt_u32 s11, 2
	s_waitcnt lgkmcnt(0)
	v_mul_hi_u32 v0, s13, v4
	s_delay_alu instid0(VALU_DEP_1) | instskip(NEXT) | instid1(VALU_DEP_1)
	v_add_nc_u32_e32 v0, v4, v0
	v_lshrrev_b32_e32 v5, s14, v0
	s_delay_alu instid0(VALU_DEP_1) | instskip(NEXT) | instid1(VALU_DEP_1)
	v_mul_lo_u32 v0, v5, s12
	v_sub_nc_u32_e32 v0, v4, v0
	s_delay_alu instid0(VALU_DEP_1)
	v_mul_lo_u32 v0, v0, s2
	s_cbranch_scc1 .LBB39_212
; %bb.211:
	s_clause 0x1
	s_load_b128 s[12:15], s[8:9], 0x10
	s_load_b32 s2, s[8:9], 0xc8
	s_waitcnt lgkmcnt(0)
	v_mul_hi_u32 v4, s13, v5
	s_delay_alu instid0(VALU_DEP_1) | instskip(NEXT) | instid1(VALU_DEP_1)
	v_add_nc_u32_e32 v4, v5, v4
	v_lshrrev_b32_e32 v4, s14, v4
	s_delay_alu instid0(VALU_DEP_1) | instskip(NEXT) | instid1(VALU_DEP_1)
	v_mul_lo_u32 v4, v4, s12
	v_sub_nc_u32_e32 v6, v5, v4
	s_delay_alu instid0(VALU_DEP_1) | instskip(NEXT) | instid1(VALU_DEP_1)
	v_mad_u64_u32 v[4:5], null, v6, s2, v[0:1]
	v_mov_b32_e32 v0, v4
.LBB39_212:
	s_clause 0x2
	s_load_b32 s3, s[0:1], 0x118
	s_load_b64 s[0:1], s[8:9], 0x108
	s_load_b32 s2, s[8:9], 0x110
	s_mov_b32 s5, 0
	s_mov_b32 s4, -1
	s_waitcnt lgkmcnt(0)
	s_lshr_b32 s3, s3, 16
	s_delay_alu instid0(SALU_CYCLE_1) | instskip(SKIP_1) | instid1(VALU_DEP_1)
	v_and_b32_e64 v5, 0xff, s3
	v_add_co_u32 v3, s3, s0, v3
	v_add_co_ci_u32_e64 v4, null, s1, 0, s3
	s_delay_alu instid0(VALU_DEP_3)
	v_cmp_gt_i16_e32 vcc_lo, 11, v5
	s_mov_b32 s3, s6
	s_cbranch_vccnz .LBB39_471
; %bb.213:
	v_cmp_lt_i16_e32 vcc_lo, 25, v5
	s_mov_b32 s8, -1
	s_mov_b32 s4, 0
	s_mov_b32 s3, 0
	s_cbranch_vccz .LBB39_306
; %bb.214:
	v_cmp_lt_i16_e32 vcc_lo, 28, v5
	s_cbranch_vccz .LBB39_229
; %bb.215:
	v_cmp_lt_i16_e32 vcc_lo, 43, v5
	;; [unrolled: 3-line block ×3, first 2 shown]
	s_cbranch_vccz .LBB39_219
; %bb.217:
	v_cmp_eq_u16_e32 vcc_lo, 46, v5
	s_mov_b32 s3, -1
	s_mov_b32 s8, 0
	s_cbranch_vccz .LBB39_219
; %bb.218:
	s_sext_i32_i16 s3, s2
	s_mov_b32 s5, -1
	v_cvt_f32_i32_e32 v6, s3
	s_mov_b32 s3, 0
	s_delay_alu instid0(VALU_DEP_1) | instskip(NEXT) | instid1(VALU_DEP_1)
	v_bfe_u32 v7, v6, 16, 1
	v_add_nc_u32_e32 v6, v6, v7
	s_delay_alu instid0(VALU_DEP_1) | instskip(NEXT) | instid1(VALU_DEP_1)
	v_add_nc_u32_e32 v6, 0x7fff, v6
	v_lshrrev_b32_e32 v6, 16, v6
	global_store_b32 v[3:4], v6, off
.LBB39_219:
	s_and_b32 vcc_lo, exec_lo, s8
	s_cbranch_vccz .LBB39_224
; %bb.220:
	v_cmp_eq_u16_e32 vcc_lo, 44, v5
	s_mov_b32 s3, -1
	s_cbranch_vccz .LBB39_224
; %bb.221:
	s_sext_i32_i16 s3, s2
	v_mov_b32_e32 v7, 0xff
	v_cvt_f32_i32_e32 v6, s3
	s_delay_alu instid0(VALU_DEP_1) | instskip(NEXT) | instid1(VALU_DEP_1)
	v_readfirstlane_b32 s3, v6
	s_bfe_u32 s5, s3, 0x80017
	s_delay_alu instid0(SALU_CYCLE_1)
	s_cmpk_eq_i32 s5, 0xff
	s_cbranch_scc1 .LBB39_223
; %bb.222:
	s_bitcmp1_b32 s3, 22
	v_lshrrev_b32_e32 v6, 23, v6
	s_cselect_b32 s8, -1, 0
	s_and_b32 s3, s3, 0x3fffff
	s_delay_alu instid0(SALU_CYCLE_1) | instskip(NEXT) | instid1(SALU_CYCLE_1)
	s_or_b32 s3, s5, s3
	s_cmp_lg_u32 s3, 0
	s_cselect_b32 s3, -1, 0
	s_delay_alu instid0(SALU_CYCLE_1) | instskip(NEXT) | instid1(SALU_CYCLE_1)
	s_and_b32 s3, s8, s3
	v_cndmask_b32_e64 v7, 0, 1, s3
	s_delay_alu instid0(VALU_DEP_1)
	v_add_nc_u32_e32 v7, v6, v7
.LBB39_223:
	s_mov_b32 s3, 0
	s_mov_b32 s5, -1
	global_store_b8 v[3:4], v7, off
.LBB39_224:
	s_mov_b32 s8, 0
.LBB39_225:
	s_delay_alu instid0(SALU_CYCLE_1)
	s_and_b32 vcc_lo, exec_lo, s8
	s_cbranch_vccz .LBB39_228
; %bb.226:
	v_cmp_eq_u16_e32 vcc_lo, 29, v5
	s_mov_b32 s3, -1
	s_cbranch_vccz .LBB39_228
; %bb.227:
	s_sext_i32_i16 s3, s2
	s_delay_alu instid0(SALU_CYCLE_1) | instskip(NEXT) | instid1(SALU_CYCLE_1)
	s_ashr_i32 s5, s3, 31
	v_dual_mov_b32 v6, s3 :: v_dual_mov_b32 v7, s5
	s_mov_b32 s3, 0
	s_mov_b32 s5, -1
	global_store_b64 v[3:4], v[6:7], off
.LBB39_228:
	s_mov_b32 s8, 0
.LBB39_229:
	s_delay_alu instid0(SALU_CYCLE_1)
	s_and_b32 vcc_lo, exec_lo, s8
	s_cbranch_vccz .LBB39_305
; %bb.230:
	v_cmp_gt_i16_e32 vcc_lo, 27, v5
	s_mov_b32 s5, -1
	s_cbranch_vccnz .LBB39_236
; %bb.231:
	v_cmp_lt_i16_e32 vcc_lo, 27, v5
	s_cbranch_vccz .LBB39_233
; %bb.232:
	s_sext_i32_i16 s5, s2
	s_delay_alu instid0(SALU_CYCLE_1)
	v_mov_b32_e32 v6, s5
	s_mov_b32 s5, 0
	global_store_b32 v[3:4], v6, off
.LBB39_233:
	s_and_not1_b32 vcc_lo, exec_lo, s5
	s_cbranch_vccnz .LBB39_235
; %bb.234:
	v_mov_b32_e32 v6, s2
	global_store_b16 v[3:4], v6, off
.LBB39_235:
	s_mov_b32 s5, 0
.LBB39_236:
	s_delay_alu instid0(SALU_CYCLE_1)
	s_and_not1_b32 vcc_lo, exec_lo, s5
	s_cbranch_vccnz .LBB39_304
; %bb.237:
	s_sext_i32_i16 s5, s2
	v_mov_b32_e32 v7, 0x80
	v_cvt_f32_i32_e32 v6, s5
	s_delay_alu instid0(VALU_DEP_1) | instskip(NEXT) | instid1(VALU_DEP_1)
	v_readfirstlane_b32 s5, v6
	s_and_b32 s8, s5, 0x7fffffff
	s_delay_alu instid0(SALU_CYCLE_1)
	s_cmp_gt_u32 s8, 0x437fffff
	s_cbranch_scc1 .LBB39_303
; %bb.238:
	s_cmp_gt_u32 s8, 0x3bffffff
	s_cbranch_scc0 .LBB39_298
; %bb.239:
	s_bfe_u32 s8, s5, 0x10014
	s_mov_b32 s9, 0
	s_add_i32 s8, s5, s8
	s_delay_alu instid0(SALU_CYCLE_1) | instskip(NEXT) | instid1(SALU_CYCLE_1)
	s_add_i32 s8, s8, 0x487ffff
	s_lshr_b32 s10, s8, 20
	s_mov_b32 s8, -1
	s_branch .LBB39_299
.LBB39_240:
                                        ; implicit-def: $vgpr2
	s_branch .LBB39_246
.LBB39_241:
	v_mov_b32_e32 v3, v9
.LBB39_242:
	s_and_b32 s58, s58, 3
	s_delay_alu instid0(SALU_CYCLE_1)
	s_cmp_eq_u32 s58, 0
	s_cbranch_scc1 .LBB39_245
; %bb.243:
	s_lshl_b32 s22, s56, 2
	s_mul_i32 s24, s56, 12
	s_add_u32 s22, s22, s8
	s_addc_u32 s23, s9, 0
	s_add_u32 s22, s22, 0xc4
	s_addc_u32 s23, s23, 0
	;; [unrolled: 2-line block ×3, first 2 shown]
	.p2align	6
.LBB39_244:                             ; =>This Inner Loop Header: Depth=1
	s_clause 0x1
	s_load_b64 s[60:61], s[24:25], 0x4
	s_load_b32 s56, s[24:25], 0xc
	s_load_b32 s59, s[22:23], 0x0
	s_add_u32 s24, s24, 12
	s_addc_u32 s25, s25, 0
	s_add_u32 s22, s22, 4
	s_addc_u32 s23, s23, 0
	s_add_i32 s58, s58, -1
	s_delay_alu instid0(SALU_CYCLE_1) | instskip(SKIP_2) | instid1(VALU_DEP_1)
	s_cmp_lg_u32 s58, 0
	s_waitcnt lgkmcnt(0)
	v_mul_hi_u32 v5, s61, v3
	v_add_nc_u32_e32 v5, v3, v5
	s_delay_alu instid0(VALU_DEP_1) | instskip(NEXT) | instid1(VALU_DEP_1)
	v_lshrrev_b32_e32 v7, s56, v5
	v_mul_lo_u32 v5, v7, s60
	s_delay_alu instid0(VALU_DEP_1) | instskip(NEXT) | instid1(VALU_DEP_1)
	v_sub_nc_u32_e32 v3, v3, v5
	v_mad_u64_u32 v[5:6], null, v3, s59, v[2:3]
	s_delay_alu instid0(VALU_DEP_1)
	v_dual_mov_b32 v3, v7 :: v_dual_mov_b32 v2, v5
	s_cbranch_scc1 .LBB39_244
.LBB39_245:
	s_cbranch_execnz .LBB39_248
.LBB39_246:
	s_waitcnt lgkmcnt(0)
	v_mul_hi_u32 v2, s5, v9
	s_and_not1_b32 vcc_lo, exec_lo, s49
	s_delay_alu instid0(VALU_DEP_1) | instskip(NEXT) | instid1(VALU_DEP_1)
	v_add_nc_u32_e32 v2, v9, v2
	v_lshrrev_b32_e32 v3, s6, v2
	s_delay_alu instid0(VALU_DEP_1) | instskip(NEXT) | instid1(VALU_DEP_1)
	v_mul_lo_u32 v2, v3, s4
	v_sub_nc_u32_e32 v2, v9, v2
	s_delay_alu instid0(VALU_DEP_1)
	v_mul_lo_u32 v2, v2, s16
	s_cbranch_vccnz .LBB39_248
; %bb.247:
	v_mul_hi_u32 v5, s18, v3
	s_delay_alu instid0(VALU_DEP_1) | instskip(NEXT) | instid1(VALU_DEP_1)
	v_add_nc_u32_e32 v5, v3, v5
	v_lshrrev_b32_e32 v5, s19, v5
	s_delay_alu instid0(VALU_DEP_1) | instskip(NEXT) | instid1(VALU_DEP_1)
	v_mul_lo_u32 v5, v5, s7
	v_sub_nc_u32_e32 v3, v3, v5
	s_delay_alu instid0(VALU_DEP_1) | instskip(NEXT) | instid1(VALU_DEP_1)
	v_mad_u64_u32 v[5:6], null, v3, s17, v[2:3]
	v_mov_b32_e32 v2, v5
.LBB39_248:
	v_and_b32_e64 v17, 0xff, s50
	s_delay_alu instid0(VALU_DEP_2) | instskip(NEXT) | instid1(VALU_DEP_1)
	v_add_co_u32 v6, s22, s14, v2
	v_add_co_ci_u32_e64 v7, null, s15, 0, s22
	s_delay_alu instid0(VALU_DEP_3)
	v_cmp_gt_i16_e32 vcc_lo, 11, v17
	s_mov_b32 s23, 0
	s_mov_b32 s24, -1
	s_mov_b32 s22, s54
	s_cbranch_vccnz .LBB39_255
; %bb.249:
	v_cmp_lt_i16_e32 vcc_lo, 25, v17
	s_cbranch_vccz .LBB39_295
; %bb.250:
	v_cmp_lt_i16_e32 vcc_lo, 28, v17
	s_cbranch_vccz .LBB39_296
	;; [unrolled: 3-line block ×4, first 2 shown]
; %bb.253:
	v_cmp_eq_u16_e32 vcc_lo, 46, v17
	s_mov_b32 s24, 0
	s_mov_b32 s22, -1
	s_cbranch_vccz .LBB39_314
; %bb.254:
	s_mov_b32 s23, -1
	s_mov_b32 s22, 0
	global_store_b32 v[6:7], v12, off
	s_branch .LBB39_314
.LBB39_255:
	s_and_b32 vcc_lo, exec_lo, s24
	s_cbranch_vccz .LBB39_359
; %bb.256:
	v_cmp_gt_i16_e32 vcc_lo, 5, v17
	s_mov_b32 s23, -1
	s_cbranch_vccnz .LBB39_277
; %bb.257:
	v_cmp_gt_i16_e32 vcc_lo, 8, v17
	s_cbranch_vccnz .LBB39_267
; %bb.258:
	v_cmp_gt_i16_e32 vcc_lo, 9, v17
	s_cbranch_vccnz .LBB39_264
; %bb.259:
	v_cmp_lt_i16_e32 vcc_lo, 9, v17
	s_cbranch_vccz .LBB39_261
; %bb.260:
	v_mov_b32_e32 v2, 0
	s_mov_b32 s23, 0
	s_delay_alu instid0(VALU_DEP_1)
	v_mov_b32_e32 v3, v2
	global_store_b128 v[6:7], v[0:3], off
.LBB39_261:
	s_and_not1_b32 vcc_lo, exec_lo, s23
	s_cbranch_vccnz .LBB39_263
; %bb.262:
	v_mov_b32_e32 v5, 0
	global_store_b64 v[6:7], v[4:5], off
.LBB39_263:
	s_mov_b32 s23, 0
.LBB39_264:
	s_delay_alu instid0(SALU_CYCLE_1)
	s_and_not1_b32 vcc_lo, exec_lo, s23
	s_cbranch_vccnz .LBB39_266
; %bb.265:
	global_store_b32 v[6:7], v10, off
.LBB39_266:
	s_mov_b32 s23, 0
.LBB39_267:
	s_delay_alu instid0(SALU_CYCLE_1)
	s_and_not1_b32 vcc_lo, exec_lo, s23
	s_cbranch_vccnz .LBB39_276
; %bb.268:
	v_cmp_gt_i16_e32 vcc_lo, 6, v17
	s_mov_b32 s23, -1
	s_cbranch_vccnz .LBB39_274
; %bb.269:
	v_cmp_lt_i16_e32 vcc_lo, 6, v17
	s_cbranch_vccz .LBB39_271
; %bb.270:
	s_mov_b32 s23, 0
	global_store_b64 v[6:7], v[0:1], off
.LBB39_271:
	s_and_not1_b32 vcc_lo, exec_lo, s23
	s_cbranch_vccnz .LBB39_273
; %bb.272:
	global_store_b32 v[6:7], v4, off
.LBB39_273:
	s_mov_b32 s23, 0
.LBB39_274:
	s_delay_alu instid0(SALU_CYCLE_1)
	s_and_not1_b32 vcc_lo, exec_lo, s23
	s_cbranch_vccnz .LBB39_276
; %bb.275:
	global_store_b16 v[6:7], v8, off
.LBB39_276:
	s_mov_b32 s23, 0
.LBB39_277:
	s_delay_alu instid0(SALU_CYCLE_1)
	s_and_not1_b32 vcc_lo, exec_lo, s23
	s_cbranch_vccnz .LBB39_293
; %bb.278:
	v_cmp_gt_i16_e32 vcc_lo, 2, v17
	s_mov_b32 s23, -1
	s_cbranch_vccnz .LBB39_288
; %bb.279:
	v_cmp_gt_i16_e32 vcc_lo, 3, v17
	s_cbranch_vccnz .LBB39_285
; %bb.280:
	v_cmp_lt_i16_e32 vcc_lo, 3, v17
	s_cbranch_vccz .LBB39_282
; %bb.281:
	v_dual_mov_b32 v2, s12 :: v_dual_mov_b32 v3, s13
	s_mov_b32 s23, 0
	global_store_b64 v[6:7], v[2:3], off
.LBB39_282:
	s_and_not1_b32 vcc_lo, exec_lo, s23
	s_cbranch_vccnz .LBB39_284
; %bb.283:
	v_mov_b32_e32 v2, s29
	global_store_b32 v[6:7], v2, off
.LBB39_284:
	s_mov_b32 s23, 0
.LBB39_285:
	s_delay_alu instid0(SALU_CYCLE_1)
	s_and_not1_b32 vcc_lo, exec_lo, s23
	s_cbranch_vccnz .LBB39_287
; %bb.286:
	v_mov_b32_e32 v2, s10
	global_store_b16 v[6:7], v2, off
.LBB39_287:
	s_mov_b32 s23, 0
.LBB39_288:
	s_delay_alu instid0(SALU_CYCLE_1)
	s_and_not1_b32 vcc_lo, exec_lo, s23
	s_cbranch_vccnz .LBB39_293
; %bb.289:
	v_cmp_lt_i16_e32 vcc_lo, 0, v17
	s_mov_b32 s23, -1
	s_cbranch_vccz .LBB39_291
; %bb.290:
	v_mov_b32_e32 v2, s10
	s_mov_b32 s23, 0
	global_store_b8 v[6:7], v2, off
.LBB39_291:
	s_and_not1_b32 vcc_lo, exec_lo, s23
	s_cbranch_vccnz .LBB39_293
; %bb.292:
	v_mov_b32_e32 v2, s10
	global_store_b8 v[6:7], v2, off
.LBB39_293:
	s_branch .LBB39_360
.LBB39_294:
	s_mov_b32 s23, 0
                                        ; implicit-def: $vgpr9
	s_branch .LBB39_361
.LBB39_295:
	s_mov_b32 s22, s54
	s_branch .LBB39_336
.LBB39_296:
	s_mov_b32 s22, s54
	s_branch .LBB39_322
.LBB39_297:
	s_mov_b32 s22, s54
	s_branch .LBB39_318
.LBB39_298:
	s_mov_b32 s9, -1
	s_mov_b32 s8, 0
                                        ; implicit-def: $sgpr10
.LBB39_299:
	v_mov_b32_e32 v6, s10
	s_and_not1_b32 vcc_lo, exec_lo, s9
                                        ; implicit-def: $sgpr9
	s_cbranch_vccnz .LBB39_301
; %bb.300:
	v_add_f32_e64 v6, 0x46000000, |s5|
	s_mov_b32 s9, 0
	s_delay_alu instid0(VALU_DEP_1) | instskip(NEXT) | instid1(VALU_DEP_1)
	v_and_b32_e32 v6, 0xff, v6
	v_cmp_ne_u32_e64 s8, 0, v6
.LBB39_301:
	v_mov_b32_e32 v7, s9
	s_delay_alu instid0(VALU_DEP_2)
	s_and_not1_b32 vcc_lo, exec_lo, s8
	s_cbranch_vccnz .LBB39_303
; %bb.302:
	s_lshr_b32 s5, s5, 24
	s_delay_alu instid0(SALU_CYCLE_1) | instskip(NEXT) | instid1(SALU_CYCLE_1)
	s_and_b32 s5, s5, 0x80
	v_or_b32_e32 v7, s5, v6
.LBB39_303:
	global_store_b8 v[3:4], v7, off
.LBB39_304:
	s_mov_b32 s5, -1
.LBB39_305:
	s_mov_b32 s8, 0
.LBB39_306:
	s_delay_alu instid0(SALU_CYCLE_1)
	s_and_b32 vcc_lo, exec_lo, s8
	s_cbranch_vccz .LBB39_467
; %bb.307:
	v_cmp_lt_i16_e32 vcc_lo, 22, v5
	s_mov_b32 s4, -1
	s_cbranch_vccz .LBB39_460
; %bb.308:
	v_cmp_gt_i16_e32 vcc_lo, 24, v5
	s_cbranch_vccnz .LBB39_447
; %bb.309:
	v_cmp_lt_i16_e32 vcc_lo, 24, v5
	s_cbranch_vccz .LBB39_434
; %bb.310:
	s_sext_i32_i16 s4, s2
	v_mov_b32_e32 v7, 0x80
	v_cvt_f32_i32_e32 v6, s4
	s_delay_alu instid0(VALU_DEP_1) | instskip(NEXT) | instid1(VALU_DEP_1)
	v_readfirstlane_b32 s4, v6
	s_and_b32 s5, s4, 0x7fffffff
	s_delay_alu instid0(SALU_CYCLE_1)
	s_cmp_gt_u32 s5, 0x477fffff
	s_cbranch_scc1 .LBB39_433
; %bb.311:
	s_cmp_gt_u32 s5, 0x37ffffff
	s_cbranch_scc0 .LBB39_428
; %bb.312:
	s_bfe_u32 s5, s4, 0x10015
	s_mov_b32 s8, 0
	s_add_i32 s5, s4, s5
	s_delay_alu instid0(SALU_CYCLE_1) | instskip(NEXT) | instid1(SALU_CYCLE_1)
	s_add_i32 s5, s5, 0x88fffff
	s_lshr_b32 s9, s5, 21
	s_mov_b32 s5, -1
	s_branch .LBB39_429
.LBB39_313:
	s_mov_b32 s22, s54
.LBB39_314:
	s_and_b32 vcc_lo, exec_lo, s24
	s_cbranch_vccz .LBB39_317
; %bb.315:
	v_cmp_eq_u16_e32 vcc_lo, 44, v17
	s_mov_b32 s22, -1
	s_cbranch_vccz .LBB39_317
; %bb.316:
	v_cndmask_b32_e64 v2, v16, 0xff, s2
	s_mov_b32 s23, -1
	s_mov_b32 s22, 0
	global_store_b8 v[6:7], v2, off
.LBB39_317:
	s_mov_b32 s24, 0
.LBB39_318:
	s_delay_alu instid0(SALU_CYCLE_1)
	s_and_b32 vcc_lo, exec_lo, s24
	s_cbranch_vccz .LBB39_321
; %bb.319:
	v_cmp_eq_u16_e32 vcc_lo, 29, v17
	s_mov_b32 s22, -1
	s_cbranch_vccz .LBB39_321
; %bb.320:
	v_dual_mov_b32 v2, s12 :: v_dual_mov_b32 v3, s13
	s_mov_b32 s23, -1
	s_mov_b32 s22, 0
	s_mov_b32 s24, 0
	global_store_b64 v[6:7], v[2:3], off
	s_branch .LBB39_322
.LBB39_321:
	s_mov_b32 s24, 0
.LBB39_322:
	s_delay_alu instid0(SALU_CYCLE_1)
	s_and_b32 vcc_lo, exec_lo, s24
	s_cbranch_vccz .LBB39_335
; %bb.323:
	v_cmp_gt_i16_e32 vcc_lo, 27, v17
	s_mov_b32 s23, -1
	s_cbranch_vccnz .LBB39_329
; %bb.324:
	v_cmp_lt_i16_e32 vcc_lo, 27, v17
	s_cbranch_vccz .LBB39_326
; %bb.325:
	v_mov_b32_e32 v2, s29
	s_mov_b32 s23, 0
	global_store_b32 v[6:7], v2, off
.LBB39_326:
	s_and_not1_b32 vcc_lo, exec_lo, s23
	s_cbranch_vccnz .LBB39_328
; %bb.327:
	v_mov_b32_e32 v2, s10
	global_store_b16 v[6:7], v2, off
.LBB39_328:
	s_mov_b32 s23, 0
.LBB39_329:
	s_delay_alu instid0(SALU_CYCLE_1)
	s_and_not1_b32 vcc_lo, exec_lo, s23
	s_cbranch_vccnz .LBB39_334
; %bb.330:
	v_mov_b32_e32 v2, 0x80
	s_and_not1_b32 vcc_lo, exec_lo, s47
	s_cbranch_vccnz .LBB39_333
; %bb.331:
	v_mov_b32_e32 v2, 0
	s_or_b32 s23, s45, s48
	s_delay_alu instid0(SALU_CYCLE_1)
	s_and_not1_b32 vcc_lo, exec_lo, s23
	s_cbranch_vccnz .LBB39_333
; %bb.332:
	v_cndmask_b32_e64 v2, v15, s46, s45
	s_delay_alu instid0(VALU_DEP_1)
	v_or_b32_e32 v2, v2, v13
.LBB39_333:
	global_store_b8 v[6:7], v2, off
.LBB39_334:
	s_mov_b32 s23, -1
.LBB39_335:
	s_mov_b32 s24, 0
.LBB39_336:
	s_delay_alu instid0(SALU_CYCLE_1)
	s_and_b32 vcc_lo, exec_lo, s24
	s_cbranch_vccz .LBB39_358
; %bb.337:
	v_cmp_lt_i16_e32 vcc_lo, 22, v17
	s_mov_b32 s24, -1
	s_cbranch_vccz .LBB39_350
; %bb.338:
	v_cmp_gt_i16_e32 vcc_lo, 24, v17
	s_mov_b32 s23, -1
	s_cbranch_vccnz .LBB39_347
; %bb.339:
	v_cmp_lt_i16_e32 vcc_lo, 24, v17
	s_cbranch_vccz .LBB39_344
; %bb.340:
	v_mov_b32_e32 v2, 0x80
	s_and_not1_b32 vcc_lo, exec_lo, s43
	s_cbranch_vccnz .LBB39_343
; %bb.341:
	v_mov_b32_e32 v2, 0
	s_or_b32 s23, s39, s44
	s_delay_alu instid0(SALU_CYCLE_1)
	s_and_not1_b32 vcc_lo, exec_lo, s23
	s_cbranch_vccnz .LBB39_343
; %bb.342:
	v_cndmask_b32_e64 v2, v14, s41, s39
	s_delay_alu instid0(VALU_DEP_1)
	v_or_b32_e32 v2, v2, v13
.LBB39_343:
	s_mov_b32 s23, 0
	global_store_b8 v[6:7], v2, off
.LBB39_344:
	s_and_b32 vcc_lo, exec_lo, s23
	s_cbranch_vccz .LBB39_346
; %bb.345:
	s_and_b32 s23, s38, exec_lo
	s_cselect_b32 s23, s34, s40
	s_and_b32 s24, s36, exec_lo
	s_cselect_b32 s23, s42, s23
	s_delay_alu instid0(SALU_CYCLE_1)
	v_or_b32_e32 v2, s23, v13
	global_store_b8 v[6:7], v2, off
.LBB39_346:
	s_mov_b32 s23, 0
.LBB39_347:
	s_delay_alu instid0(SALU_CYCLE_1)
	s_and_not1_b32 vcc_lo, exec_lo, s23
	s_cbranch_vccnz .LBB39_349
; %bb.348:
	s_and_b32 s23, s33, exec_lo
	s_cselect_b32 s23, s31, s35
	s_and_b32 s24, s30, exec_lo
	s_cselect_b32 s23, s37, s23
	s_delay_alu instid0(SALU_CYCLE_1)
	v_or_b32_e32 v2, s23, v13
	global_store_b8 v[6:7], v2, off
.LBB39_349:
	s_mov_b32 s24, 0
	s_mov_b32 s23, -1
.LBB39_350:
	s_and_not1_b32 vcc_lo, exec_lo, s24
	s_cbranch_vccnz .LBB39_358
; %bb.351:
	v_cmp_lt_i16_e32 vcc_lo, 14, v17
	s_mov_b32 s24, -1
	s_cbranch_vccz .LBB39_355
; %bb.352:
	v_cmp_eq_u16_e32 vcc_lo, 15, v17
	s_mov_b32 s22, -1
	s_cbranch_vccz .LBB39_354
; %bb.353:
	s_mov_b32 s23, -1
	s_mov_b32 s22, 0
	global_store_b16 v[6:7], v12, off
.LBB39_354:
	s_mov_b32 s24, 0
.LBB39_355:
	s_delay_alu instid0(SALU_CYCLE_1)
	s_and_b32 vcc_lo, exec_lo, s24
	s_cbranch_vccz .LBB39_358
; %bb.356:
	v_cmp_eq_u16_e32 vcc_lo, 11, v17
	s_mov_b32 s22, -1
	s_cbranch_vccz .LBB39_358
; %bb.357:
	s_mov_b32 s23, -1
	s_mov_b32 s22, 0
	global_store_b8 v[6:7], v11, off
.LBB39_358:
.LBB39_359:
	s_and_not1_b32 vcc_lo, exec_lo, s23
	s_cbranch_vccnz .LBB39_294
.LBB39_360:
	v_add_nc_u32_e32 v9, 0x80, v9
	s_mov_b32 s23, -1
.LBB39_361:
	s_and_not1_b32 s24, s54, exec_lo
	s_and_b32 s22, s22, exec_lo
	s_delay_alu instid0(SALU_CYCLE_1)
	s_or_b32 s56, s24, s22
	s_or_not1_b32 s24, s23, exec_lo
.LBB39_362:
	s_or_b32 exec_lo, exec_lo, s57
	s_mov_b32 s22, 0
	s_mov_b32 s23, 0
                                        ; implicit-def: $vgpr17
                                        ; implicit-def: $vgpr6_vgpr7
	s_and_saveexec_b32 s57, s24
	s_cbranch_execz .LBB39_676
; %bb.363:
	s_mov_b32 s59, -1
	s_mov_b32 s24, s56
	s_mov_b32 s58, exec_lo
	v_cmpx_gt_i32_e64 s51, v9
	s_cbranch_execz .LBB39_607
; %bb.364:
	s_and_not1_b32 vcc_lo, exec_lo, s27
	s_cbranch_vccnz .LBB39_369
; %bb.365:
	v_mov_b32_e32 v2, 0
	s_and_not1_b32 vcc_lo, exec_lo, s53
	s_cbranch_vccnz .LBB39_374
; %bb.366:
	s_add_i32 s60, s52, 1
	s_cmp_eq_u32 s26, 2
	s_mov_b32 s59, 0
	s_cbranch_scc1 .LBB39_370
; %bb.367:
	v_dual_mov_b32 v2, 0 :: v_dual_mov_b32 v3, v9
	s_and_b32 s59, s60, 28
	s_mov_b32 s61, 0
	s_mov_b64 s[22:23], s[8:9]
	s_mov_b64 s[24:25], s[20:21]
.LBB39_368:                             ; =>This Inner Loop Header: Depth=1
	s_clause 0x1
	s_load_b256 s[64:71], s[22:23], 0x4
	s_load_b128 s[72:75], s[22:23], 0x24
	s_load_b128 s[76:79], s[24:25], 0x0
	s_add_u32 s22, s22, 48
	s_addc_u32 s23, s23, 0
	s_add_i32 s61, s61, 4
	s_add_u32 s24, s24, 16
	s_addc_u32 s25, s25, 0
	s_cmp_eq_u32 s59, s61
	s_waitcnt lgkmcnt(0)
	v_mul_hi_u32 v5, s65, v3
	s_delay_alu instid0(VALU_DEP_1) | instskip(NEXT) | instid1(VALU_DEP_1)
	v_add_nc_u32_e32 v5, v3, v5
	v_lshrrev_b32_e32 v5, s66, v5
	s_delay_alu instid0(VALU_DEP_1) | instskip(SKIP_1) | instid1(VALU_DEP_2)
	v_mul_hi_u32 v6, s68, v5
	v_mul_lo_u32 v18, v5, s64
	v_add_nc_u32_e32 v6, v5, v6
	s_delay_alu instid0(VALU_DEP_2) | instskip(NEXT) | instid1(VALU_DEP_2)
	v_sub_nc_u32_e32 v18, v3, v18
	v_lshrrev_b32_e32 v6, s69, v6
	s_delay_alu instid0(VALU_DEP_2) | instskip(NEXT) | instid1(VALU_DEP_2)
	v_mul_lo_u32 v18, v18, s76
	v_mul_hi_u32 v7, s71, v6
	v_mul_lo_u32 v19, v6, s67
	s_delay_alu instid0(VALU_DEP_2) | instskip(NEXT) | instid1(VALU_DEP_2)
	v_add_nc_u32_e32 v7, v6, v7
	v_sub_nc_u32_e32 v5, v5, v19
	s_delay_alu instid0(VALU_DEP_2) | instskip(NEXT) | instid1(VALU_DEP_2)
	v_lshrrev_b32_e32 v7, s72, v7
	v_mul_lo_u32 v5, v5, s77
	s_delay_alu instid0(VALU_DEP_2) | instskip(NEXT) | instid1(VALU_DEP_2)
	v_mul_hi_u32 v17, s74, v7
	v_add3_u32 v2, v18, v2, v5
	s_delay_alu instid0(VALU_DEP_2) | instskip(NEXT) | instid1(VALU_DEP_1)
	v_add_nc_u32_e32 v17, v7, v17
	v_lshrrev_b32_e32 v3, s75, v17
	v_mul_lo_u32 v17, v7, s70
	s_delay_alu instid0(VALU_DEP_2) | instskip(NEXT) | instid1(VALU_DEP_2)
	v_mul_lo_u32 v20, v3, s73
	v_sub_nc_u32_e32 v6, v6, v17
	s_delay_alu instid0(VALU_DEP_2) | instskip(NEXT) | instid1(VALU_DEP_2)
	v_sub_nc_u32_e32 v7, v7, v20
	v_mul_lo_u32 v6, v6, s78
	s_delay_alu instid0(VALU_DEP_2) | instskip(NEXT) | instid1(VALU_DEP_1)
	v_mul_lo_u32 v7, v7, s79
	v_add3_u32 v2, v6, v2, v7
	s_cbranch_scc0 .LBB39_368
	s_branch .LBB39_371
.LBB39_369:
	s_mov_b32 s22, -1
                                        ; implicit-def: $vgpr2
	s_branch .LBB39_375
.LBB39_370:
	v_mov_b32_e32 v3, v9
.LBB39_371:
	s_and_b32 s60, s60, 3
	s_delay_alu instid0(SALU_CYCLE_1)
	s_cmp_eq_u32 s60, 0
	s_cbranch_scc1 .LBB39_374
; %bb.372:
	s_lshl_b32 s22, s59, 2
	s_mul_i32 s24, s59, 12
	s_add_u32 s22, s22, s8
	s_addc_u32 s23, s9, 0
	s_add_u32 s22, s22, 0xc4
	s_addc_u32 s23, s23, 0
	;; [unrolled: 2-line block ×3, first 2 shown]
	.p2align	6
.LBB39_373:                             ; =>This Inner Loop Header: Depth=1
	s_clause 0x1
	s_load_b64 s[62:63], s[24:25], 0x4
	s_load_b32 s59, s[24:25], 0xc
	s_load_b32 s61, s[22:23], 0x0
	s_add_u32 s24, s24, 12
	s_addc_u32 s25, s25, 0
	s_add_u32 s22, s22, 4
	s_addc_u32 s23, s23, 0
	s_add_i32 s60, s60, -1
	s_delay_alu instid0(SALU_CYCLE_1) | instskip(SKIP_2) | instid1(VALU_DEP_1)
	s_cmp_lg_u32 s60, 0
	s_waitcnt lgkmcnt(0)
	v_mul_hi_u32 v5, s63, v3
	v_add_nc_u32_e32 v5, v3, v5
	s_delay_alu instid0(VALU_DEP_1) | instskip(NEXT) | instid1(VALU_DEP_1)
	v_lshrrev_b32_e32 v7, s59, v5
	v_mul_lo_u32 v5, v7, s62
	s_delay_alu instid0(VALU_DEP_1) | instskip(NEXT) | instid1(VALU_DEP_1)
	v_sub_nc_u32_e32 v3, v3, v5
	v_mad_u64_u32 v[5:6], null, v3, s61, v[2:3]
	s_delay_alu instid0(VALU_DEP_1)
	v_dual_mov_b32 v3, v7 :: v_dual_mov_b32 v2, v5
	s_cbranch_scc1 .LBB39_373
.LBB39_374:
	s_mov_b32 s22, 0
.LBB39_375:
	s_delay_alu instid0(SALU_CYCLE_1)
	s_and_not1_b32 vcc_lo, exec_lo, s22
	s_cbranch_vccnz .LBB39_378
; %bb.376:
	s_waitcnt lgkmcnt(0)
	v_mul_hi_u32 v2, s5, v9
	s_and_not1_b32 vcc_lo, exec_lo, s49
	s_delay_alu instid0(VALU_DEP_1) | instskip(NEXT) | instid1(VALU_DEP_1)
	v_add_nc_u32_e32 v2, v9, v2
	v_lshrrev_b32_e32 v3, s6, v2
	s_delay_alu instid0(VALU_DEP_1) | instskip(NEXT) | instid1(VALU_DEP_1)
	v_mul_lo_u32 v2, v3, s4
	v_sub_nc_u32_e32 v2, v9, v2
	s_delay_alu instid0(VALU_DEP_1)
	v_mul_lo_u32 v2, v2, s16
	s_cbranch_vccnz .LBB39_378
; %bb.377:
	v_mul_hi_u32 v5, s18, v3
	s_delay_alu instid0(VALU_DEP_1) | instskip(NEXT) | instid1(VALU_DEP_1)
	v_add_nc_u32_e32 v5, v3, v5
	v_lshrrev_b32_e32 v5, s19, v5
	s_delay_alu instid0(VALU_DEP_1) | instskip(NEXT) | instid1(VALU_DEP_1)
	v_mul_lo_u32 v5, v5, s7
	v_sub_nc_u32_e32 v3, v3, v5
	s_delay_alu instid0(VALU_DEP_1) | instskip(NEXT) | instid1(VALU_DEP_1)
	v_mad_u64_u32 v[5:6], null, v3, s17, v[2:3]
	v_mov_b32_e32 v2, v5
.LBB39_378:
	v_and_b32_e64 v17, 0xff, s50
	s_delay_alu instid0(VALU_DEP_2) | instskip(NEXT) | instid1(VALU_DEP_1)
	v_add_co_u32 v6, s22, s14, v2
	v_add_co_ci_u32_e64 v7, null, s15, 0, s22
	s_delay_alu instid0(VALU_DEP_3)
	v_cmp_gt_i16_e32 vcc_lo, 11, v17
	s_mov_b32 s23, 0
	s_mov_b32 s24, -1
	s_mov_b32 s22, s56
	s_cbranch_vccnz .LBB39_385
; %bb.379:
	v_cmp_lt_i16_e32 vcc_lo, 25, v17
	s_cbranch_vccz .LBB39_425
; %bb.380:
	v_cmp_lt_i16_e32 vcc_lo, 28, v17
	s_cbranch_vccz .LBB39_426
	;; [unrolled: 3-line block ×4, first 2 shown]
; %bb.383:
	v_cmp_eq_u16_e32 vcc_lo, 46, v17
	s_mov_b32 s24, 0
	s_mov_b32 s22, -1
	s_cbranch_vccz .LBB39_559
; %bb.384:
	s_mov_b32 s23, -1
	s_mov_b32 s22, 0
	global_store_b32 v[6:7], v12, off
	s_branch .LBB39_559
.LBB39_385:
	s_and_b32 vcc_lo, exec_lo, s24
	s_cbranch_vccz .LBB39_604
; %bb.386:
	v_cmp_gt_i16_e32 vcc_lo, 5, v17
	s_mov_b32 s23, -1
	s_cbranch_vccnz .LBB39_407
; %bb.387:
	v_cmp_gt_i16_e32 vcc_lo, 8, v17
	s_cbranch_vccnz .LBB39_397
; %bb.388:
	v_cmp_gt_i16_e32 vcc_lo, 9, v17
	s_cbranch_vccnz .LBB39_394
; %bb.389:
	v_cmp_lt_i16_e32 vcc_lo, 9, v17
	s_cbranch_vccz .LBB39_391
; %bb.390:
	v_mov_b32_e32 v2, 0
	s_mov_b32 s23, 0
	s_delay_alu instid0(VALU_DEP_1)
	v_mov_b32_e32 v3, v2
	global_store_b128 v[6:7], v[0:3], off
.LBB39_391:
	s_and_not1_b32 vcc_lo, exec_lo, s23
	s_cbranch_vccnz .LBB39_393
; %bb.392:
	v_mov_b32_e32 v5, 0
	global_store_b64 v[6:7], v[4:5], off
.LBB39_393:
	s_mov_b32 s23, 0
.LBB39_394:
	s_delay_alu instid0(SALU_CYCLE_1)
	s_and_not1_b32 vcc_lo, exec_lo, s23
	s_cbranch_vccnz .LBB39_396
; %bb.395:
	global_store_b32 v[6:7], v10, off
.LBB39_396:
	s_mov_b32 s23, 0
.LBB39_397:
	s_delay_alu instid0(SALU_CYCLE_1)
	s_and_not1_b32 vcc_lo, exec_lo, s23
	s_cbranch_vccnz .LBB39_406
; %bb.398:
	v_cmp_gt_i16_e32 vcc_lo, 6, v17
	s_mov_b32 s23, -1
	s_cbranch_vccnz .LBB39_404
; %bb.399:
	v_cmp_lt_i16_e32 vcc_lo, 6, v17
	s_cbranch_vccz .LBB39_401
; %bb.400:
	s_mov_b32 s23, 0
	global_store_b64 v[6:7], v[0:1], off
.LBB39_401:
	s_and_not1_b32 vcc_lo, exec_lo, s23
	s_cbranch_vccnz .LBB39_403
; %bb.402:
	global_store_b32 v[6:7], v4, off
.LBB39_403:
	s_mov_b32 s23, 0
.LBB39_404:
	s_delay_alu instid0(SALU_CYCLE_1)
	s_and_not1_b32 vcc_lo, exec_lo, s23
	s_cbranch_vccnz .LBB39_406
; %bb.405:
	global_store_b16 v[6:7], v8, off
.LBB39_406:
	s_mov_b32 s23, 0
.LBB39_407:
	s_delay_alu instid0(SALU_CYCLE_1)
	s_and_not1_b32 vcc_lo, exec_lo, s23
	s_cbranch_vccnz .LBB39_423
; %bb.408:
	v_cmp_gt_i16_e32 vcc_lo, 2, v17
	s_mov_b32 s23, -1
	s_cbranch_vccnz .LBB39_418
; %bb.409:
	v_cmp_gt_i16_e32 vcc_lo, 3, v17
	s_cbranch_vccnz .LBB39_415
; %bb.410:
	v_cmp_lt_i16_e32 vcc_lo, 3, v17
	s_cbranch_vccz .LBB39_412
; %bb.411:
	v_dual_mov_b32 v2, s12 :: v_dual_mov_b32 v3, s13
	s_mov_b32 s23, 0
	global_store_b64 v[6:7], v[2:3], off
.LBB39_412:
	s_and_not1_b32 vcc_lo, exec_lo, s23
	s_cbranch_vccnz .LBB39_414
; %bb.413:
	v_mov_b32_e32 v2, s29
	global_store_b32 v[6:7], v2, off
.LBB39_414:
	s_mov_b32 s23, 0
.LBB39_415:
	s_delay_alu instid0(SALU_CYCLE_1)
	s_and_not1_b32 vcc_lo, exec_lo, s23
	s_cbranch_vccnz .LBB39_417
; %bb.416:
	v_mov_b32_e32 v2, s10
	global_store_b16 v[6:7], v2, off
.LBB39_417:
	s_mov_b32 s23, 0
.LBB39_418:
	s_delay_alu instid0(SALU_CYCLE_1)
	s_and_not1_b32 vcc_lo, exec_lo, s23
	s_cbranch_vccnz .LBB39_423
; %bb.419:
	v_cmp_lt_i16_e32 vcc_lo, 0, v17
	s_mov_b32 s23, -1
	s_cbranch_vccz .LBB39_421
; %bb.420:
	v_mov_b32_e32 v2, s10
	s_mov_b32 s23, 0
	global_store_b8 v[6:7], v2, off
.LBB39_421:
	s_and_not1_b32 vcc_lo, exec_lo, s23
	s_cbranch_vccnz .LBB39_423
; %bb.422:
	v_mov_b32_e32 v2, s10
	global_store_b8 v[6:7], v2, off
.LBB39_423:
	s_branch .LBB39_605
.LBB39_424:
	s_mov_b32 s23, 0
                                        ; implicit-def: $vgpr9
	s_branch .LBB39_606
.LBB39_425:
	s_mov_b32 s22, s56
	s_branch .LBB39_581
.LBB39_426:
	s_mov_b32 s22, s56
	s_branch .LBB39_567
.LBB39_427:
	s_mov_b32 s22, s56
	s_branch .LBB39_563
.LBB39_428:
	s_mov_b32 s8, -1
	s_mov_b32 s5, 0
                                        ; implicit-def: $sgpr9
.LBB39_429:
	v_mov_b32_e32 v6, s9
	s_and_not1_b32 vcc_lo, exec_lo, s8
                                        ; implicit-def: $sgpr8
	s_cbranch_vccnz .LBB39_431
; %bb.430:
	v_add_f32_e64 v6, 0x42800000, |s4|
	s_mov_b32 s8, 0
	s_delay_alu instid0(VALU_DEP_1) | instskip(NEXT) | instid1(VALU_DEP_1)
	v_and_b32_e32 v6, 0xff, v6
	v_cmp_ne_u32_e64 s5, 0, v6
.LBB39_431:
	v_mov_b32_e32 v7, s8
	s_delay_alu instid0(VALU_DEP_2)
	s_and_not1_b32 vcc_lo, exec_lo, s5
	s_cbranch_vccnz .LBB39_433
; %bb.432:
	s_lshr_b32 s4, s4, 24
	s_delay_alu instid0(SALU_CYCLE_1) | instskip(NEXT) | instid1(SALU_CYCLE_1)
	s_and_b32 s4, s4, 0x80
	v_or_b32_e32 v7, s4, v6
.LBB39_433:
	s_mov_b32 s4, 0
	global_store_b8 v[3:4], v7, off
.LBB39_434:
	s_and_b32 vcc_lo, exec_lo, s4
	s_cbranch_vccz .LBB39_446
; %bb.435:
	s_sext_i32_i16 s4, s2
	s_delay_alu instid0(SALU_CYCLE_1) | instskip(NEXT) | instid1(VALU_DEP_1)
	v_cvt_f32_i32_e32 v6, s4
	v_readfirstlane_b32 s4, v6
	s_delay_alu instid0(VALU_DEP_1) | instskip(NEXT) | instid1(SALU_CYCLE_1)
	s_and_b32 s5, s4, 0x7fffffff
	s_cmp_lt_u32 s5, 0x43f00000
	s_cbranch_scc0 .LBB39_438
; %bb.436:
	s_cmp_gt_u32 s5, 0x3c7fffff
	s_cbranch_scc0 .LBB39_439
; %bb.437:
	s_bfe_u32 s8, s4, 0x10014
	s_delay_alu instid0(SALU_CYCLE_1) | instskip(NEXT) | instid1(SALU_CYCLE_1)
	s_add_i32 s8, s4, s8
	s_add_i32 s8, s8, 0x407ffff
	s_delay_alu instid0(SALU_CYCLE_1)
	s_and_b32 s9, s8, 0xff00000
	s_lshr_b32 s8, s8, 20
	s_cmp_lg_u32 s9, 0x7f00000
	s_cselect_b32 s9, s8, 0x7e
	s_mov_b32 s8, 0
	s_branch .LBB39_440
.LBB39_438:
	s_mov_b32 s8, -1
                                        ; implicit-def: $vgpr7
	s_branch .LBB39_443
.LBB39_439:
	s_mov_b32 s8, -1
                                        ; implicit-def: $sgpr9
.LBB39_440:
	v_mov_b32_e32 v7, s9
	s_and_not1_b32 vcc_lo, exec_lo, s8
	s_cbranch_vccnz .LBB39_442
; %bb.441:
	v_add_f32_e64 v7, 0x46800000, |v6|
.LBB39_442:
	s_mov_b32 s8, 0
.LBB39_443:
	s_delay_alu instid0(SALU_CYCLE_1)
	s_and_not1_b32 vcc_lo, exec_lo, s8
	s_cbranch_vccnz .LBB39_445
; %bb.444:
	s_cmp_gt_u32 s5, 0x7f800000
	s_movk_i32 s5, 0x7f
	s_delay_alu instid0(SALU_CYCLE_1) | instskip(NEXT) | instid1(SALU_CYCLE_1)
	s_cselect_b32 s5, s5, 0x7e
	v_mov_b32_e32 v7, s5
.LBB39_445:
	s_lshr_b32 s4, s4, 24
	s_delay_alu instid0(SALU_CYCLE_1)
	s_and_b32 s4, s4, 0x80
	s_delay_alu instid0(VALU_DEP_1) | instid1(SALU_CYCLE_1)
	v_or_b32_e32 v6, s4, v7
	global_store_b8 v[3:4], v6, off
.LBB39_446:
	s_mov_b32 s4, 0
.LBB39_447:
	s_delay_alu instid0(SALU_CYCLE_1)
	s_and_not1_b32 vcc_lo, exec_lo, s4
	s_cbranch_vccnz .LBB39_459
; %bb.448:
	s_sext_i32_i16 s4, s2
	s_delay_alu instid0(SALU_CYCLE_1) | instskip(NEXT) | instid1(VALU_DEP_1)
	v_cvt_f32_i32_e32 v6, s4
	v_readfirstlane_b32 s4, v6
	s_delay_alu instid0(VALU_DEP_1) | instskip(NEXT) | instid1(SALU_CYCLE_1)
	s_and_b32 s5, s4, 0x7fffffff
	s_cmp_lt_u32 s5, 0x47800000
	s_cbranch_scc0 .LBB39_451
; %bb.449:
	s_cmp_gt_u32 s5, 0x387fffff
	s_cbranch_scc0 .LBB39_452
; %bb.450:
	s_bfe_u32 s8, s4, 0x10015
	s_delay_alu instid0(SALU_CYCLE_1) | instskip(NEXT) | instid1(SALU_CYCLE_1)
	s_add_i32 s8, s4, s8
	s_add_i32 s8, s8, 0x80fffff
	s_delay_alu instid0(SALU_CYCLE_1)
	s_lshr_b32 s9, s8, 21
	s_mov_b32 s8, 0
	s_branch .LBB39_453
.LBB39_451:
	s_mov_b32 s8, -1
                                        ; implicit-def: $vgpr7
	s_branch .LBB39_456
.LBB39_452:
	s_mov_b32 s8, -1
                                        ; implicit-def: $sgpr9
.LBB39_453:
	v_mov_b32_e32 v7, s9
	s_and_not1_b32 vcc_lo, exec_lo, s8
	s_cbranch_vccnz .LBB39_455
; %bb.454:
	v_add_f32_e64 v7, 0x43000000, |v6|
.LBB39_455:
	s_mov_b32 s8, 0
.LBB39_456:
	s_delay_alu instid0(SALU_CYCLE_1)
	s_and_not1_b32 vcc_lo, exec_lo, s8
	s_cbranch_vccnz .LBB39_458
; %bb.457:
	s_cmp_gt_u32 s5, 0x7f800000
	s_movk_i32 s5, 0x7f
	s_delay_alu instid0(SALU_CYCLE_1) | instskip(NEXT) | instid1(SALU_CYCLE_1)
	s_cselect_b32 s5, s5, 0x7c
	v_mov_b32_e32 v7, s5
.LBB39_458:
	s_lshr_b32 s4, s4, 24
	s_delay_alu instid0(SALU_CYCLE_1)
	s_and_b32 s4, s4, 0x80
	s_delay_alu instid0(VALU_DEP_1) | instid1(SALU_CYCLE_1)
	v_or_b32_e32 v6, s4, v7
	global_store_b8 v[3:4], v6, off
.LBB39_459:
	s_mov_b32 s4, 0
	s_mov_b32 s5, -1
.LBB39_460:
	s_and_not1_b32 vcc_lo, exec_lo, s4
	s_mov_b32 s4, 0
	s_cbranch_vccnz .LBB39_467
; %bb.461:
	v_cmp_lt_i16_e32 vcc_lo, 14, v5
	s_mov_b32 s4, -1
	s_cbranch_vccz .LBB39_465
; %bb.462:
	v_cmp_eq_u16_e32 vcc_lo, 15, v5
	s_mov_b32 s3, -1
	s_cbranch_vccz .LBB39_464
; %bb.463:
	s_sext_i32_i16 s3, s2
	s_mov_b32 s5, -1
	v_cvt_f32_i32_e32 v6, s3
	s_mov_b32 s3, 0
	s_delay_alu instid0(VALU_DEP_1) | instskip(NEXT) | instid1(VALU_DEP_1)
	v_bfe_u32 v7, v6, 16, 1
	v_add_nc_u32_e32 v6, v6, v7
	s_delay_alu instid0(VALU_DEP_1)
	v_add_nc_u32_e32 v6, 0x7fff, v6
	global_store_d16_hi_b16 v[3:4], v6, off
.LBB39_464:
	s_mov_b32 s4, 0
.LBB39_465:
	s_delay_alu instid0(SALU_CYCLE_1)
	s_and_b32 vcc_lo, exec_lo, s4
	s_mov_b32 s4, 0
	s_cbranch_vccz .LBB39_467
; %bb.466:
	v_cmp_ne_u16_e64 s3, 11, v5
	s_mov_b32 s4, -1
.LBB39_467:
	s_delay_alu instid0(VALU_DEP_1)
	s_and_b32 vcc_lo, exec_lo, s3
	s_mov_b32 s3, s6
	s_cbranch_vccnz .LBB39_539
; %bb.468:
	s_and_not1_b32 vcc_lo, exec_lo, s4
	s_cbranch_vccnz .LBB39_470
.LBB39_469:
	v_cmp_ne_u16_e64 s4, s2, 0
	s_mov_b32 s5, -1
	s_delay_alu instid0(VALU_DEP_1)
	v_cndmask_b32_e64 v6, 0, 1, s4
	global_store_b8 v[3:4], v6, off
.LBB39_470:
	s_mov_b32 s4, 0
.LBB39_471:
	s_delay_alu instid0(SALU_CYCLE_1)
	s_and_b32 vcc_lo, exec_lo, s4
	s_cbranch_vccz .LBB39_510
; %bb.472:
	v_cmp_gt_i16_e32 vcc_lo, 5, v5
	s_mov_b32 s4, -1
	s_cbranch_vccnz .LBB39_493
; %bb.473:
	v_cmp_gt_i16_e32 vcc_lo, 8, v5
	s_cbranch_vccnz .LBB39_483
; %bb.474:
	v_cmp_gt_i16_e32 vcc_lo, 9, v5
	s_cbranch_vccnz .LBB39_480
; %bb.475:
	v_cmp_lt_i16_e32 vcc_lo, 9, v5
	s_cbranch_vccz .LBB39_477
; %bb.476:
	s_sext_i32_i16 s4, s2
	v_mov_b32_e32 v8, 0
	v_cvt_f64_i32_e32 v[6:7], s4
	s_mov_b32 s4, 0
	s_delay_alu instid0(VALU_DEP_2)
	v_mov_b32_e32 v9, v8
	global_store_b128 v[3:4], v[6:9], off
.LBB39_477:
	s_and_not1_b32 vcc_lo, exec_lo, s4
	s_cbranch_vccnz .LBB39_479
; %bb.478:
	s_sext_i32_i16 s4, s2
	v_mov_b32_e32 v7, 0
	v_cvt_f32_i32_e32 v6, s4
	global_store_b64 v[3:4], v[6:7], off
.LBB39_479:
	s_mov_b32 s4, 0
.LBB39_480:
	s_delay_alu instid0(SALU_CYCLE_1)
	s_and_not1_b32 vcc_lo, exec_lo, s4
	s_cbranch_vccnz .LBB39_482
; %bb.481:
	v_cvt_f16_i16_e32 v6, s2
	s_delay_alu instid0(VALU_DEP_1)
	v_and_b32_e32 v6, 0xffff, v6
	global_store_b32 v[3:4], v6, off
.LBB39_482:
	s_mov_b32 s4, 0
.LBB39_483:
	s_delay_alu instid0(SALU_CYCLE_1)
	s_and_not1_b32 vcc_lo, exec_lo, s4
	s_cbranch_vccnz .LBB39_492
; %bb.484:
	v_cmp_gt_i16_e32 vcc_lo, 6, v5
	s_mov_b32 s4, -1
	s_cbranch_vccnz .LBB39_490
; %bb.485:
	v_cmp_lt_i16_e32 vcc_lo, 6, v5
	s_cbranch_vccz .LBB39_487
; %bb.486:
	s_sext_i32_i16 s4, s2
	s_delay_alu instid0(SALU_CYCLE_1)
	v_cvt_f64_i32_e32 v[6:7], s4
	s_mov_b32 s4, 0
	global_store_b64 v[3:4], v[6:7], off
.LBB39_487:
	s_and_not1_b32 vcc_lo, exec_lo, s4
	s_cbranch_vccnz .LBB39_489
; %bb.488:
	s_sext_i32_i16 s4, s2
	s_delay_alu instid0(SALU_CYCLE_1)
	v_cvt_f32_i32_e32 v6, s4
	global_store_b32 v[3:4], v6, off
.LBB39_489:
	s_mov_b32 s4, 0
.LBB39_490:
	s_delay_alu instid0(SALU_CYCLE_1)
	s_and_not1_b32 vcc_lo, exec_lo, s4
	s_cbranch_vccnz .LBB39_492
; %bb.491:
	v_cvt_f16_i16_e32 v6, s2
	global_store_b16 v[3:4], v6, off
.LBB39_492:
	s_mov_b32 s4, 0
.LBB39_493:
	s_delay_alu instid0(SALU_CYCLE_1)
	s_and_not1_b32 vcc_lo, exec_lo, s4
	s_cbranch_vccnz .LBB39_509
; %bb.494:
	v_cmp_gt_i16_e32 vcc_lo, 2, v5
	s_mov_b32 s4, -1
	s_cbranch_vccnz .LBB39_504
; %bb.495:
	v_cmp_gt_i16_e32 vcc_lo, 3, v5
	s_cbranch_vccnz .LBB39_501
; %bb.496:
	v_cmp_lt_i16_e32 vcc_lo, 3, v5
	s_cbranch_vccz .LBB39_498
; %bb.497:
	s_sext_i32_i16 s4, s2
	s_delay_alu instid0(SALU_CYCLE_1) | instskip(NEXT) | instid1(SALU_CYCLE_1)
	s_ashr_i32 s5, s4, 31
	v_dual_mov_b32 v6, s4 :: v_dual_mov_b32 v7, s5
	s_mov_b32 s4, 0
	global_store_b64 v[3:4], v[6:7], off
.LBB39_498:
	s_and_not1_b32 vcc_lo, exec_lo, s4
	s_cbranch_vccnz .LBB39_500
; %bb.499:
	s_sext_i32_i16 s4, s2
	s_delay_alu instid0(SALU_CYCLE_1)
	v_mov_b32_e32 v6, s4
	global_store_b32 v[3:4], v6, off
.LBB39_500:
	s_mov_b32 s4, 0
.LBB39_501:
	s_delay_alu instid0(SALU_CYCLE_1)
	s_and_not1_b32 vcc_lo, exec_lo, s4
	s_cbranch_vccnz .LBB39_503
; %bb.502:
	v_mov_b32_e32 v6, s2
	global_store_b16 v[3:4], v6, off
.LBB39_503:
	s_mov_b32 s4, 0
.LBB39_504:
	s_delay_alu instid0(SALU_CYCLE_1)
	s_and_not1_b32 vcc_lo, exec_lo, s4
	s_cbranch_vccnz .LBB39_509
; %bb.505:
	v_cmp_lt_i16_e32 vcc_lo, 0, v5
	s_mov_b32 s4, -1
	s_cbranch_vccz .LBB39_507
; %bb.506:
	v_mov_b32_e32 v6, s2
	s_mov_b32 s4, 0
	global_store_b8 v[3:4], v6, off
.LBB39_507:
	s_and_not1_b32 vcc_lo, exec_lo, s4
	s_cbranch_vccnz .LBB39_509
; %bb.508:
	v_mov_b32_e32 v6, s2
	global_store_b8 v[3:4], v6, off
.LBB39_509:
	s_mov_b32 s5, -1
.LBB39_510:
	s_delay_alu instid0(SALU_CYCLE_1)
	s_and_not1_b32 vcc_lo, exec_lo, s5
	s_cbranch_vccnz .LBB39_923
; %bb.511:
	v_cmp_gt_i16_e32 vcc_lo, 11, v5
	v_add_co_u32 v2, s4, s0, v2
	s_delay_alu instid0(VALU_DEP_1)
	v_add_co_ci_u32_e64 v3, null, s1, 0, s4
	s_mov_b32 s8, 0
	s_mov_b32 s4, -1
	s_cbranch_vccnz .LBB39_724
; %bb.512:
	v_cmp_lt_i16_e32 vcc_lo, 25, v5
	s_mov_b32 s9, -1
	s_mov_b32 s5, 0
	s_mov_b32 s4, 0
	s_cbranch_vccz .LBB39_551
; %bb.513:
	v_cmp_lt_i16_e32 vcc_lo, 28, v5
	s_cbranch_vccz .LBB39_528
; %bb.514:
	v_cmp_lt_i16_e32 vcc_lo, 43, v5
	;; [unrolled: 3-line block ×3, first 2 shown]
	s_cbranch_vccz .LBB39_518
; %bb.516:
	v_cmp_eq_u16_e32 vcc_lo, 46, v5
	s_mov_b32 s4, -1
	s_mov_b32 s9, 0
	s_cbranch_vccz .LBB39_518
; %bb.517:
	s_sext_i32_i16 s4, s2
	s_mov_b32 s8, -1
	v_cvt_f32_i32_e32 v4, s4
	s_mov_b32 s4, 0
	s_delay_alu instid0(VALU_DEP_1) | instskip(NEXT) | instid1(VALU_DEP_1)
	v_bfe_u32 v6, v4, 16, 1
	v_add_nc_u32_e32 v4, v4, v6
	s_delay_alu instid0(VALU_DEP_1) | instskip(NEXT) | instid1(VALU_DEP_1)
	v_add_nc_u32_e32 v4, 0x7fff, v4
	v_lshrrev_b32_e32 v4, 16, v4
	global_store_b32 v[2:3], v4, off
.LBB39_518:
	s_and_b32 vcc_lo, exec_lo, s9
	s_cbranch_vccz .LBB39_523
; %bb.519:
	v_cmp_eq_u16_e32 vcc_lo, 44, v5
	s_mov_b32 s4, -1
	s_cbranch_vccz .LBB39_523
; %bb.520:
	s_sext_i32_i16 s4, s2
	v_mov_b32_e32 v6, 0xff
	v_cvt_f32_i32_e32 v4, s4
	s_delay_alu instid0(VALU_DEP_1) | instskip(NEXT) | instid1(VALU_DEP_1)
	v_readfirstlane_b32 s4, v4
	s_bfe_u32 s8, s4, 0x80017
	s_delay_alu instid0(SALU_CYCLE_1)
	s_cmpk_eq_i32 s8, 0xff
	s_cbranch_scc1 .LBB39_522
; %bb.521:
	s_bitcmp1_b32 s4, 22
	v_lshrrev_b32_e32 v4, 23, v4
	s_cselect_b32 s9, -1, 0
	s_and_b32 s4, s4, 0x3fffff
	s_delay_alu instid0(SALU_CYCLE_1) | instskip(NEXT) | instid1(SALU_CYCLE_1)
	s_or_b32 s4, s8, s4
	s_cmp_lg_u32 s4, 0
	s_cselect_b32 s4, -1, 0
	s_delay_alu instid0(SALU_CYCLE_1) | instskip(NEXT) | instid1(SALU_CYCLE_1)
	s_and_b32 s4, s9, s4
	v_cndmask_b32_e64 v6, 0, 1, s4
	s_delay_alu instid0(VALU_DEP_1)
	v_add_nc_u32_e32 v6, v4, v6
.LBB39_522:
	s_mov_b32 s4, 0
	s_mov_b32 s8, -1
	global_store_b8 v[2:3], v6, off
.LBB39_523:
	s_mov_b32 s9, 0
.LBB39_524:
	s_delay_alu instid0(SALU_CYCLE_1)
	s_and_b32 vcc_lo, exec_lo, s9
	s_cbranch_vccz .LBB39_527
; %bb.525:
	v_cmp_eq_u16_e32 vcc_lo, 29, v5
	s_mov_b32 s4, -1
	s_cbranch_vccz .LBB39_527
; %bb.526:
	s_sext_i32_i16 s4, s2
	s_delay_alu instid0(SALU_CYCLE_1) | instskip(NEXT) | instid1(SALU_CYCLE_1)
	s_ashr_i32 s8, s4, 31
	v_dual_mov_b32 v6, s4 :: v_dual_mov_b32 v7, s8
	s_mov_b32 s4, 0
	s_mov_b32 s8, -1
	global_store_b64 v[2:3], v[6:7], off
.LBB39_527:
	s_mov_b32 s9, 0
.LBB39_528:
	s_delay_alu instid0(SALU_CYCLE_1)
	s_and_b32 vcc_lo, exec_lo, s9
	s_cbranch_vccz .LBB39_550
; %bb.529:
	v_cmp_gt_i16_e32 vcc_lo, 27, v5
	s_mov_b32 s8, -1
	s_cbranch_vccnz .LBB39_535
; %bb.530:
	v_cmp_lt_i16_e32 vcc_lo, 27, v5
	s_cbranch_vccz .LBB39_532
; %bb.531:
	s_sext_i32_i16 s8, s2
	s_delay_alu instid0(SALU_CYCLE_1)
	v_mov_b32_e32 v4, s8
	s_mov_b32 s8, 0
	global_store_b32 v[2:3], v4, off
.LBB39_532:
	s_and_not1_b32 vcc_lo, exec_lo, s8
	s_cbranch_vccnz .LBB39_534
; %bb.533:
	v_mov_b32_e32 v4, s2
	global_store_b16 v[2:3], v4, off
.LBB39_534:
	s_mov_b32 s8, 0
.LBB39_535:
	s_delay_alu instid0(SALU_CYCLE_1)
	s_and_not1_b32 vcc_lo, exec_lo, s8
	s_cbranch_vccnz .LBB39_549
; %bb.536:
	s_sext_i32_i16 s8, s2
	v_mov_b32_e32 v6, 0x80
	v_cvt_f32_i32_e32 v4, s8
	s_delay_alu instid0(VALU_DEP_1) | instskip(NEXT) | instid1(VALU_DEP_1)
	v_readfirstlane_b32 s8, v4
	s_and_b32 s9, s8, 0x7fffffff
	s_delay_alu instid0(SALU_CYCLE_1)
	s_cmp_gt_u32 s9, 0x437fffff
	s_cbranch_scc1 .LBB39_548
; %bb.537:
	s_cmp_gt_u32 s9, 0x3bffffff
	s_cbranch_scc0 .LBB39_543
; %bb.538:
	s_bfe_u32 s9, s8, 0x10014
	s_mov_b32 s10, 0
	s_add_i32 s9, s8, s9
	s_delay_alu instid0(SALU_CYCLE_1) | instskip(NEXT) | instid1(SALU_CYCLE_1)
	s_add_i32 s9, s9, 0x487ffff
	s_lshr_b32 s11, s9, 20
	s_mov_b32 s9, -1
	s_branch .LBB39_544
.LBB39_539:
	s_cbranch_execnz .LBB39_541
; %bb.540:
	s_or_b32 s3, s6, exec_lo
	s_cbranch_execz .LBB39_469
	s_branch .LBB39_470
.LBB39_541:
	s_trap 2
	s_sendmsg_rtn_b32 s0, sendmsg(MSG_RTN_GET_DOORBELL)
	s_mov_b32 ttmp2, m0
	s_waitcnt lgkmcnt(0)
	s_and_b32 s0, s0, 0x3ff
	s_delay_alu instid0(SALU_CYCLE_1) | instskip(NEXT) | instid1(SALU_CYCLE_1)
	s_bitset1_b32 s0, 10
	s_mov_b32 m0, s0
	s_sendmsg sendmsg(MSG_INTERRUPT)
	s_mov_b32 m0, ttmp2
.LBB39_542:                             ; =>This Inner Loop Header: Depth=1
	s_sethalt 5
	s_branch .LBB39_542
.LBB39_543:
	s_mov_b32 s10, -1
	s_mov_b32 s9, 0
                                        ; implicit-def: $sgpr11
.LBB39_544:
	v_mov_b32_e32 v4, s11
	s_and_not1_b32 vcc_lo, exec_lo, s10
                                        ; implicit-def: $sgpr10
	s_cbranch_vccnz .LBB39_546
; %bb.545:
	v_add_f32_e64 v4, 0x46000000, |s8|
	s_mov_b32 s10, 0
	s_delay_alu instid0(VALU_DEP_1) | instskip(NEXT) | instid1(VALU_DEP_1)
	v_and_b32_e32 v4, 0xff, v4
	v_cmp_ne_u32_e64 s9, 0, v4
.LBB39_546:
	v_mov_b32_e32 v6, s10
	s_delay_alu instid0(VALU_DEP_2)
	s_and_not1_b32 vcc_lo, exec_lo, s9
	s_cbranch_vccnz .LBB39_548
; %bb.547:
	s_lshr_b32 s8, s8, 24
	s_delay_alu instid0(SALU_CYCLE_1) | instskip(NEXT) | instid1(SALU_CYCLE_1)
	s_and_b32 s8, s8, 0x80
	v_or_b32_e32 v6, s8, v4
.LBB39_548:
	global_store_b8 v[2:3], v6, off
.LBB39_549:
	s_mov_b32 s8, -1
.LBB39_550:
	s_mov_b32 s9, 0
.LBB39_551:
	s_delay_alu instid0(SALU_CYCLE_1)
	s_and_b32 vcc_lo, exec_lo, s9
	s_cbranch_vccz .LBB39_720
; %bb.552:
	v_cmp_lt_i16_e32 vcc_lo, 22, v5
	s_mov_b32 s5, -1
	s_cbranch_vccz .LBB39_713
; %bb.553:
	v_cmp_gt_i16_e32 vcc_lo, 24, v5
	s_cbranch_vccnz .LBB39_700
; %bb.554:
	v_cmp_lt_i16_e32 vcc_lo, 24, v5
	s_cbranch_vccz .LBB39_687
; %bb.555:
	s_sext_i32_i16 s5, s2
	v_mov_b32_e32 v6, 0x80
	v_cvt_f32_i32_e32 v4, s5
	s_delay_alu instid0(VALU_DEP_1) | instskip(NEXT) | instid1(VALU_DEP_1)
	v_readfirstlane_b32 s5, v4
	s_and_b32 s8, s5, 0x7fffffff
	s_delay_alu instid0(SALU_CYCLE_1)
	s_cmp_gt_u32 s8, 0x477fffff
	s_cbranch_scc1 .LBB39_686
; %bb.556:
	s_cmp_gt_u32 s8, 0x37ffffff
	s_cbranch_scc0 .LBB39_681
; %bb.557:
	s_bfe_u32 s8, s5, 0x10015
	s_mov_b32 s9, 0
	s_add_i32 s8, s5, s8
	s_delay_alu instid0(SALU_CYCLE_1) | instskip(NEXT) | instid1(SALU_CYCLE_1)
	s_add_i32 s8, s8, 0x88fffff
	s_lshr_b32 s10, s8, 21
	s_mov_b32 s8, -1
	s_branch .LBB39_682
.LBB39_558:
	s_mov_b32 s22, s56
.LBB39_559:
	s_and_b32 vcc_lo, exec_lo, s24
	s_cbranch_vccz .LBB39_562
; %bb.560:
	v_cmp_eq_u16_e32 vcc_lo, 44, v17
	s_mov_b32 s22, -1
	s_cbranch_vccz .LBB39_562
; %bb.561:
	v_cndmask_b32_e64 v2, v16, 0xff, s2
	s_mov_b32 s23, -1
	s_mov_b32 s22, 0
	global_store_b8 v[6:7], v2, off
.LBB39_562:
	s_mov_b32 s24, 0
.LBB39_563:
	s_delay_alu instid0(SALU_CYCLE_1)
	s_and_b32 vcc_lo, exec_lo, s24
	s_cbranch_vccz .LBB39_566
; %bb.564:
	v_cmp_eq_u16_e32 vcc_lo, 29, v17
	s_mov_b32 s22, -1
	s_cbranch_vccz .LBB39_566
; %bb.565:
	v_dual_mov_b32 v2, s12 :: v_dual_mov_b32 v3, s13
	s_mov_b32 s23, -1
	s_mov_b32 s22, 0
	s_mov_b32 s24, 0
	global_store_b64 v[6:7], v[2:3], off
	s_branch .LBB39_567
.LBB39_566:
	s_mov_b32 s24, 0
.LBB39_567:
	s_delay_alu instid0(SALU_CYCLE_1)
	s_and_b32 vcc_lo, exec_lo, s24
	s_cbranch_vccz .LBB39_580
; %bb.568:
	v_cmp_gt_i16_e32 vcc_lo, 27, v17
	s_mov_b32 s23, -1
	s_cbranch_vccnz .LBB39_574
; %bb.569:
	v_cmp_lt_i16_e32 vcc_lo, 27, v17
	s_cbranch_vccz .LBB39_571
; %bb.570:
	v_mov_b32_e32 v2, s29
	s_mov_b32 s23, 0
	global_store_b32 v[6:7], v2, off
.LBB39_571:
	s_and_not1_b32 vcc_lo, exec_lo, s23
	s_cbranch_vccnz .LBB39_573
; %bb.572:
	v_mov_b32_e32 v2, s10
	global_store_b16 v[6:7], v2, off
.LBB39_573:
	s_mov_b32 s23, 0
.LBB39_574:
	s_delay_alu instid0(SALU_CYCLE_1)
	s_and_not1_b32 vcc_lo, exec_lo, s23
	s_cbranch_vccnz .LBB39_579
; %bb.575:
	v_mov_b32_e32 v2, 0x80
	s_and_not1_b32 vcc_lo, exec_lo, s47
	s_cbranch_vccnz .LBB39_578
; %bb.576:
	v_mov_b32_e32 v2, 0
	s_or_b32 s23, s45, s48
	s_delay_alu instid0(SALU_CYCLE_1)
	s_and_not1_b32 vcc_lo, exec_lo, s23
	s_cbranch_vccnz .LBB39_578
; %bb.577:
	v_cndmask_b32_e64 v2, v15, s46, s45
	s_delay_alu instid0(VALU_DEP_1)
	v_or_b32_e32 v2, v2, v13
.LBB39_578:
	global_store_b8 v[6:7], v2, off
.LBB39_579:
	s_mov_b32 s23, -1
.LBB39_580:
	s_mov_b32 s24, 0
.LBB39_581:
	s_delay_alu instid0(SALU_CYCLE_1)
	s_and_b32 vcc_lo, exec_lo, s24
	s_cbranch_vccz .LBB39_603
; %bb.582:
	v_cmp_lt_i16_e32 vcc_lo, 22, v17
	s_mov_b32 s24, -1
	s_cbranch_vccz .LBB39_595
; %bb.583:
	v_cmp_gt_i16_e32 vcc_lo, 24, v17
	s_mov_b32 s23, -1
	s_cbranch_vccnz .LBB39_592
; %bb.584:
	v_cmp_lt_i16_e32 vcc_lo, 24, v17
	s_cbranch_vccz .LBB39_589
; %bb.585:
	v_mov_b32_e32 v2, 0x80
	s_and_not1_b32 vcc_lo, exec_lo, s43
	s_cbranch_vccnz .LBB39_588
; %bb.586:
	v_mov_b32_e32 v2, 0
	s_or_b32 s23, s39, s44
	s_delay_alu instid0(SALU_CYCLE_1)
	s_and_not1_b32 vcc_lo, exec_lo, s23
	s_cbranch_vccnz .LBB39_588
; %bb.587:
	v_cndmask_b32_e64 v2, v14, s41, s39
	s_delay_alu instid0(VALU_DEP_1)
	v_or_b32_e32 v2, v2, v13
.LBB39_588:
	s_mov_b32 s23, 0
	global_store_b8 v[6:7], v2, off
.LBB39_589:
	s_and_b32 vcc_lo, exec_lo, s23
	s_cbranch_vccz .LBB39_591
; %bb.590:
	s_and_b32 s23, s38, exec_lo
	s_cselect_b32 s23, s34, s40
	s_and_b32 s24, s36, exec_lo
	s_cselect_b32 s23, s42, s23
	s_delay_alu instid0(SALU_CYCLE_1)
	v_or_b32_e32 v2, s23, v13
	global_store_b8 v[6:7], v2, off
.LBB39_591:
	s_mov_b32 s23, 0
.LBB39_592:
	s_delay_alu instid0(SALU_CYCLE_1)
	s_and_not1_b32 vcc_lo, exec_lo, s23
	s_cbranch_vccnz .LBB39_594
; %bb.593:
	s_and_b32 s23, s33, exec_lo
	s_cselect_b32 s23, s31, s35
	s_and_b32 s24, s30, exec_lo
	s_cselect_b32 s23, s37, s23
	s_delay_alu instid0(SALU_CYCLE_1)
	v_or_b32_e32 v2, s23, v13
	global_store_b8 v[6:7], v2, off
.LBB39_594:
	s_mov_b32 s24, 0
	s_mov_b32 s23, -1
.LBB39_595:
	s_and_not1_b32 vcc_lo, exec_lo, s24
	s_cbranch_vccnz .LBB39_603
; %bb.596:
	v_cmp_lt_i16_e32 vcc_lo, 14, v17
	s_mov_b32 s24, -1
	s_cbranch_vccz .LBB39_600
; %bb.597:
	v_cmp_eq_u16_e32 vcc_lo, 15, v17
	s_mov_b32 s22, -1
	s_cbranch_vccz .LBB39_599
; %bb.598:
	s_mov_b32 s23, -1
	s_mov_b32 s22, 0
	global_store_b16 v[6:7], v12, off
.LBB39_599:
	s_mov_b32 s24, 0
.LBB39_600:
	s_delay_alu instid0(SALU_CYCLE_1)
	s_and_b32 vcc_lo, exec_lo, s24
	s_cbranch_vccz .LBB39_603
; %bb.601:
	v_cmp_eq_u16_e32 vcc_lo, 11, v17
	s_mov_b32 s22, -1
	s_cbranch_vccz .LBB39_603
; %bb.602:
	s_mov_b32 s23, -1
	s_mov_b32 s22, 0
	global_store_b8 v[6:7], v11, off
.LBB39_603:
.LBB39_604:
	s_and_not1_b32 vcc_lo, exec_lo, s23
	s_cbranch_vccnz .LBB39_424
.LBB39_605:
	v_add_nc_u32_e32 v9, 0x80, v9
	s_mov_b32 s23, -1
.LBB39_606:
	s_and_not1_b32 s24, s56, exec_lo
	s_and_b32 s22, s22, exec_lo
	s_or_not1_b32 s59, s23, exec_lo
	s_or_b32 s24, s24, s22
.LBB39_607:
	s_or_b32 exec_lo, exec_lo, s58
	s_mov_b32 s22, 0
	s_mov_b32 s23, 0
                                        ; implicit-def: $vgpr17
                                        ; implicit-def: $vgpr6_vgpr7
	s_and_saveexec_b32 s25, s59
	s_cbranch_execz .LBB39_675
; %bb.608:
	v_cmp_gt_i32_e32 vcc_lo, s51, v9
	s_mov_b32 s58, s24
                                        ; implicit-def: $vgpr17
                                        ; implicit-def: $vgpr6_vgpr7
	s_and_saveexec_b32 s51, vcc_lo
	s_cbranch_execz .LBB39_674
; %bb.609:
	s_and_not1_b32 vcc_lo, exec_lo, s27
	s_cbranch_vccnz .LBB39_614
; %bb.610:
	v_mov_b32_e32 v2, 0
	s_and_not1_b32 vcc_lo, exec_lo, s53
	s_cbranch_vccnz .LBB39_619
; %bb.611:
	s_add_i32 s53, s52, 1
	s_cmp_eq_u32 s26, 2
	s_mov_b32 s52, 0
	s_cbranch_scc1 .LBB39_615
; %bb.612:
	v_dual_mov_b32 v2, 0 :: v_dual_mov_b32 v3, v9
	s_and_b32 s52, s53, 28
	s_mov_b32 s58, 0
	s_mov_b64 s[22:23], s[8:9]
.LBB39_613:                             ; =>This Inner Loop Header: Depth=1
	s_clause 0x1
	s_load_b256 s[60:67], s[22:23], 0x4
	s_load_b128 s[68:71], s[22:23], 0x24
	s_load_b128 s[72:75], s[20:21], 0x0
	s_add_u32 s22, s22, 48
	s_addc_u32 s23, s23, 0
	s_add_i32 s58, s58, 4
	s_add_u32 s20, s20, 16
	s_addc_u32 s21, s21, 0
	s_cmp_eq_u32 s52, s58
	s_waitcnt lgkmcnt(0)
	v_mul_hi_u32 v5, s61, v3
	s_delay_alu instid0(VALU_DEP_1) | instskip(NEXT) | instid1(VALU_DEP_1)
	v_add_nc_u32_e32 v5, v3, v5
	v_lshrrev_b32_e32 v5, s62, v5
	s_delay_alu instid0(VALU_DEP_1) | instskip(SKIP_1) | instid1(VALU_DEP_2)
	v_mul_hi_u32 v6, s64, v5
	v_mul_lo_u32 v18, v5, s60
	v_add_nc_u32_e32 v6, v5, v6
	s_delay_alu instid0(VALU_DEP_2) | instskip(NEXT) | instid1(VALU_DEP_2)
	v_sub_nc_u32_e32 v18, v3, v18
	v_lshrrev_b32_e32 v6, s65, v6
	s_delay_alu instid0(VALU_DEP_2) | instskip(NEXT) | instid1(VALU_DEP_2)
	v_mul_lo_u32 v18, v18, s72
	v_mul_hi_u32 v7, s67, v6
	v_mul_lo_u32 v19, v6, s63
	s_delay_alu instid0(VALU_DEP_2) | instskip(NEXT) | instid1(VALU_DEP_2)
	v_add_nc_u32_e32 v7, v6, v7
	v_sub_nc_u32_e32 v5, v5, v19
	s_delay_alu instid0(VALU_DEP_2) | instskip(NEXT) | instid1(VALU_DEP_2)
	v_lshrrev_b32_e32 v7, s68, v7
	v_mul_lo_u32 v5, v5, s73
	s_delay_alu instid0(VALU_DEP_2) | instskip(NEXT) | instid1(VALU_DEP_2)
	v_mul_hi_u32 v17, s70, v7
	v_add3_u32 v2, v18, v2, v5
	s_delay_alu instid0(VALU_DEP_2) | instskip(NEXT) | instid1(VALU_DEP_1)
	v_add_nc_u32_e32 v17, v7, v17
	v_lshrrev_b32_e32 v3, s71, v17
	v_mul_lo_u32 v17, v7, s66
	s_delay_alu instid0(VALU_DEP_2) | instskip(NEXT) | instid1(VALU_DEP_2)
	v_mul_lo_u32 v20, v3, s69
	v_sub_nc_u32_e32 v6, v6, v17
	s_delay_alu instid0(VALU_DEP_2) | instskip(NEXT) | instid1(VALU_DEP_2)
	v_sub_nc_u32_e32 v7, v7, v20
	v_mul_lo_u32 v6, v6, s74
	s_delay_alu instid0(VALU_DEP_2) | instskip(NEXT) | instid1(VALU_DEP_1)
	v_mul_lo_u32 v7, v7, s75
	v_add3_u32 v2, v6, v2, v7
	s_cbranch_scc0 .LBB39_613
	s_branch .LBB39_616
.LBB39_614:
	s_mov_b32 s20, -1
                                        ; implicit-def: $vgpr2
	s_branch .LBB39_620
.LBB39_615:
	v_mov_b32_e32 v3, v9
.LBB39_616:
	s_and_b32 s53, s53, 3
	s_delay_alu instid0(SALU_CYCLE_1)
	s_cmp_eq_u32 s53, 0
	s_cbranch_scc1 .LBB39_619
; %bb.617:
	s_lshl_b32 s20, s52, 2
	s_mul_i32 s22, s52, 12
	s_add_u32 s20, s20, s8
	s_addc_u32 s21, s9, 0
	s_add_u32 s20, s20, 0xc4
	s_addc_u32 s21, s21, 0
	;; [unrolled: 2-line block ×3, first 2 shown]
.LBB39_618:                             ; =>This Inner Loop Header: Depth=1
	s_clause 0x1
	s_load_b64 s[58:59], s[22:23], 0x4
	s_load_b32 s52, s[22:23], 0xc
	s_add_u32 s22, s22, 12
	s_addc_u32 s23, s23, 0
	s_waitcnt lgkmcnt(0)
	v_mul_hi_u32 v5, s59, v3
	s_load_b32 s59, s[20:21], 0x0
	s_add_u32 s20, s20, 4
	s_addc_u32 s21, s21, 0
	s_add_i32 s53, s53, -1
	s_delay_alu instid0(SALU_CYCLE_1) | instskip(NEXT) | instid1(VALU_DEP_1)
	s_cmp_lg_u32 s53, 0
	v_add_nc_u32_e32 v5, v3, v5
	s_delay_alu instid0(VALU_DEP_1) | instskip(NEXT) | instid1(VALU_DEP_1)
	v_lshrrev_b32_e32 v7, s52, v5
	v_mul_lo_u32 v5, v7, s58
	s_delay_alu instid0(VALU_DEP_1) | instskip(SKIP_1) | instid1(VALU_DEP_1)
	v_sub_nc_u32_e32 v3, v3, v5
	s_waitcnt lgkmcnt(0)
	v_mad_u64_u32 v[5:6], null, v3, s59, v[2:3]
	s_delay_alu instid0(VALU_DEP_1)
	v_dual_mov_b32 v3, v7 :: v_dual_mov_b32 v2, v5
	s_cbranch_scc1 .LBB39_618
.LBB39_619:
	s_mov_b32 s20, 0
.LBB39_620:
	s_delay_alu instid0(SALU_CYCLE_1)
	s_and_not1_b32 vcc_lo, exec_lo, s20
	s_cbranch_vccnz .LBB39_623
; %bb.621:
	s_waitcnt lgkmcnt(0)
	v_mul_hi_u32 v2, s5, v9
	s_and_not1_b32 vcc_lo, exec_lo, s49
	s_delay_alu instid0(VALU_DEP_1) | instskip(NEXT) | instid1(VALU_DEP_1)
	v_add_nc_u32_e32 v2, v9, v2
	v_lshrrev_b32_e32 v3, s6, v2
	s_delay_alu instid0(VALU_DEP_1) | instskip(NEXT) | instid1(VALU_DEP_1)
	v_mul_lo_u32 v2, v3, s4
	v_sub_nc_u32_e32 v2, v9, v2
	s_delay_alu instid0(VALU_DEP_1)
	v_mul_lo_u32 v2, v2, s16
	s_cbranch_vccnz .LBB39_623
; %bb.622:
	v_mul_hi_u32 v5, s18, v3
	s_delay_alu instid0(VALU_DEP_1) | instskip(NEXT) | instid1(VALU_DEP_1)
	v_add_nc_u32_e32 v5, v3, v5
	v_lshrrev_b32_e32 v5, s19, v5
	s_delay_alu instid0(VALU_DEP_1) | instskip(NEXT) | instid1(VALU_DEP_1)
	v_mul_lo_u32 v5, v5, s7
	v_sub_nc_u32_e32 v3, v3, v5
	s_delay_alu instid0(VALU_DEP_1) | instskip(NEXT) | instid1(VALU_DEP_1)
	v_mad_u64_u32 v[5:6], null, v3, s17, v[2:3]
	v_mov_b32_e32 v2, v5
.LBB39_623:
	v_and_b32_e64 v17, 0xff, s50
	s_waitcnt lgkmcnt(0)
	s_delay_alu instid0(VALU_DEP_2) | instskip(NEXT) | instid1(VALU_DEP_1)
	v_add_co_u32 v6, s4, s14, v2
	v_add_co_ci_u32_e64 v7, null, s15, 0, s4
	s_delay_alu instid0(VALU_DEP_3)
	v_cmp_gt_i16_e32 vcc_lo, 11, v17
	s_mov_b32 s6, 0
	s_mov_b32 s5, -1
	s_mov_b32 s4, s24
	s_cbranch_vccnz .LBB39_673
; %bb.624:
	v_cmp_lt_i16_e32 vcc_lo, 25, v17
	s_mov_b32 s4, s24
	s_cbranch_vccz .LBB39_652
; %bb.625:
	v_cmp_lt_i16_e32 vcc_lo, 28, v17
	s_mov_b32 s4, s24
	s_cbranch_vccz .LBB39_639
	;; [unrolled: 4-line block ×4, first 2 shown]
; %bb.628:
	v_cmp_eq_u16_e32 vcc_lo, 46, v17
	s_mov_b32 s4, -1
	s_cbranch_vccz .LBB39_630
; %bb.629:
	s_mov_b32 s4, 0
	global_store_b32 v[6:7], v12, off
.LBB39_630:
	s_mov_b32 s5, 0
.LBB39_631:
	s_delay_alu instid0(SALU_CYCLE_1)
	s_and_b32 vcc_lo, exec_lo, s5
	s_cbranch_vccz .LBB39_634
; %bb.632:
	v_cmp_eq_u16_e32 vcc_lo, 44, v17
	s_mov_b32 s4, -1
	s_cbranch_vccz .LBB39_634
; %bb.633:
	v_cndmask_b32_e64 v2, v16, 0xff, s2
	s_mov_b32 s4, 0
	global_store_b8 v[6:7], v2, off
.LBB39_634:
	s_mov_b32 s5, 0
.LBB39_635:
	s_delay_alu instid0(SALU_CYCLE_1)
	s_and_b32 vcc_lo, exec_lo, s5
	s_cbranch_vccz .LBB39_638
; %bb.636:
	v_cmp_eq_u16_e32 vcc_lo, 29, v17
	s_mov_b32 s4, -1
	s_cbranch_vccz .LBB39_638
; %bb.637:
	v_dual_mov_b32 v2, s12 :: v_dual_mov_b32 v3, s13
	s_mov_b32 s4, 0
	global_store_b64 v[6:7], v[2:3], off
.LBB39_638:
	s_mov_b32 s5, 0
.LBB39_639:
	s_delay_alu instid0(SALU_CYCLE_1)
	s_and_b32 vcc_lo, exec_lo, s5
	s_cbranch_vccz .LBB39_651
; %bb.640:
	v_cmp_gt_i16_e32 vcc_lo, 27, v17
	s_mov_b32 s2, -1
	s_cbranch_vccnz .LBB39_646
; %bb.641:
	v_cmp_lt_i16_e32 vcc_lo, 27, v17
	s_cbranch_vccz .LBB39_643
; %bb.642:
	v_mov_b32_e32 v2, s29
	s_mov_b32 s2, 0
	global_store_b32 v[6:7], v2, off
.LBB39_643:
	s_and_not1_b32 vcc_lo, exec_lo, s2
	s_cbranch_vccnz .LBB39_645
; %bb.644:
	v_mov_b32_e32 v2, s10
	global_store_b16 v[6:7], v2, off
.LBB39_645:
	s_mov_b32 s2, 0
.LBB39_646:
	s_delay_alu instid0(SALU_CYCLE_1)
	s_and_not1_b32 vcc_lo, exec_lo, s2
	s_cbranch_vccnz .LBB39_651
; %bb.647:
	v_mov_b32_e32 v2, 0x80
	s_and_not1_b32 vcc_lo, exec_lo, s47
	s_cbranch_vccnz .LBB39_650
; %bb.648:
	v_mov_b32_e32 v2, 0
	s_or_b32 s2, s45, s48
	s_delay_alu instid0(SALU_CYCLE_1)
	s_and_not1_b32 vcc_lo, exec_lo, s2
	s_cbranch_vccnz .LBB39_650
; %bb.649:
	v_cndmask_b32_e64 v2, v15, s46, s45
	s_delay_alu instid0(VALU_DEP_1)
	v_or_b32_e32 v2, v2, v13
.LBB39_650:
	global_store_b8 v[6:7], v2, off
.LBB39_651:
	s_mov_b32 s5, 0
.LBB39_652:
	s_delay_alu instid0(SALU_CYCLE_1)
	s_and_b32 vcc_lo, exec_lo, s5
	s_mov_b32 s5, 0
	s_cbranch_vccz .LBB39_673
; %bb.653:
	v_cmp_lt_i16_e32 vcc_lo, 22, v17
	s_mov_b32 s2, -1
	s_cbranch_vccz .LBB39_666
; %bb.654:
	v_cmp_gt_i16_e32 vcc_lo, 24, v17
	s_cbranch_vccnz .LBB39_663
; %bb.655:
	v_cmp_lt_i16_e32 vcc_lo, 24, v17
	s_cbranch_vccz .LBB39_660
; %bb.656:
	v_mov_b32_e32 v2, 0x80
	s_and_not1_b32 vcc_lo, exec_lo, s43
	s_cbranch_vccnz .LBB39_659
; %bb.657:
	v_mov_b32_e32 v2, 0
	s_or_b32 s2, s39, s44
	s_delay_alu instid0(SALU_CYCLE_1)
	s_and_not1_b32 vcc_lo, exec_lo, s2
	s_cbranch_vccnz .LBB39_659
; %bb.658:
	v_cndmask_b32_e64 v2, v14, s41, s39
	s_delay_alu instid0(VALU_DEP_1)
	v_or_b32_e32 v2, v2, v13
.LBB39_659:
	s_mov_b32 s2, 0
	global_store_b8 v[6:7], v2, off
.LBB39_660:
	s_and_b32 vcc_lo, exec_lo, s2
	s_cbranch_vccz .LBB39_662
; %bb.661:
	s_and_b32 s2, s38, exec_lo
	s_cselect_b32 s2, s34, s40
	s_and_b32 s6, s36, exec_lo
	s_cselect_b32 s2, s42, s2
	s_delay_alu instid0(SALU_CYCLE_1)
	v_or_b32_e32 v2, s2, v13
	global_store_b8 v[6:7], v2, off
.LBB39_662:
	s_mov_b32 s2, 0
.LBB39_663:
	s_delay_alu instid0(SALU_CYCLE_1)
	s_and_not1_b32 vcc_lo, exec_lo, s2
	s_cbranch_vccnz .LBB39_665
; %bb.664:
	s_and_b32 s2, s33, exec_lo
	s_cselect_b32 s2, s31, s35
	s_and_b32 s6, s30, exec_lo
	s_cselect_b32 s2, s37, s2
	s_delay_alu instid0(SALU_CYCLE_1)
	v_or_b32_e32 v2, s2, v13
	global_store_b8 v[6:7], v2, off
.LBB39_665:
	s_mov_b32 s2, 0
.LBB39_666:
	s_delay_alu instid0(SALU_CYCLE_1)
	s_and_not1_b32 vcc_lo, exec_lo, s2
	s_mov_b32 s6, 0
	s_cbranch_vccnz .LBB39_673
; %bb.667:
	v_cmp_lt_i16_e32 vcc_lo, 14, v17
	s_mov_b32 s2, -1
	s_cbranch_vccz .LBB39_671
; %bb.668:
	v_cmp_eq_u16_e32 vcc_lo, 15, v17
	s_mov_b32 s4, -1
	s_cbranch_vccz .LBB39_670
; %bb.669:
	s_mov_b32 s4, 0
	global_store_b16 v[6:7], v12, off
.LBB39_670:
	s_mov_b32 s2, 0
.LBB39_671:
	s_delay_alu instid0(SALU_CYCLE_1)
	s_and_b32 vcc_lo, exec_lo, s2
	s_cbranch_vccz .LBB39_673
; %bb.672:
	v_cmp_ne_u16_e32 vcc_lo, 11, v17
	s_and_not1_b32 s2, s4, exec_lo
	s_mov_b32 s6, -1
	s_and_b32 s4, vcc_lo, exec_lo
	s_delay_alu instid0(SALU_CYCLE_1)
	s_or_b32 s4, s2, s4
.LBB39_673:
	s_and_not1_b32 s2, s24, exec_lo
	s_and_b32 s4, s4, exec_lo
	s_and_b32 s23, s5, exec_lo
	s_and_b32 s22, s6, exec_lo
	s_or_b32 s58, s2, s4
.LBB39_674:
	s_or_b32 exec_lo, exec_lo, s51
	s_delay_alu instid0(SALU_CYCLE_1)
	s_and_not1_b32 s2, s24, exec_lo
	s_waitcnt lgkmcnt(0)
	s_and_b32 s4, s58, exec_lo
	s_and_b32 s23, s23, exec_lo
	;; [unrolled: 1-line block ×3, first 2 shown]
	s_or_b32 s24, s2, s4
.LBB39_675:
	s_or_b32 exec_lo, exec_lo, s25
	s_delay_alu instid0(SALU_CYCLE_1)
	s_and_not1_b32 s2, s56, exec_lo
	s_waitcnt lgkmcnt(0)
	s_and_b32 s4, s24, exec_lo
	s_and_b32 s23, s23, exec_lo
	;; [unrolled: 1-line block ×3, first 2 shown]
	s_or_b32 s56, s2, s4
.LBB39_676:
	s_or_b32 exec_lo, exec_lo, s57
	s_delay_alu instid0(SALU_CYCLE_1)
	s_and_not1_b32 s2, s54, exec_lo
	s_waitcnt lgkmcnt(0)
	s_and_b32 s4, s56, exec_lo
	s_and_b32 s23, s23, exec_lo
	;; [unrolled: 1-line block ×3, first 2 shown]
	s_or_b32 s54, s2, s4
	s_or_b32 exec_lo, exec_lo, s55
	s_mov_b32 s2, 0
	s_and_saveexec_b32 s4, s54
	s_cbranch_execz .LBB39_118
.LBB39_677:
	s_cbranch_execnz .LBB39_679
; %bb.678:
	s_mov_b32 s2, exec_lo
	s_and_not1_b32 s56, s56, exec_lo
	s_or_b32 exec_lo, exec_lo, s4
	s_and_saveexec_b32 s4, s56
	s_delay_alu instid0(SALU_CYCLE_1)
	s_xor_b32 s4, exec_lo, s4
	s_cbranch_execnz .LBB39_119
	s_branch .LBB39_120
.LBB39_679:
	s_trap 2
	s_sendmsg_rtn_b32 s0, sendmsg(MSG_RTN_GET_DOORBELL)
	s_mov_b32 ttmp2, m0
	s_waitcnt lgkmcnt(0)
	s_and_b32 s0, s0, 0x3ff
	s_delay_alu instid0(SALU_CYCLE_1) | instskip(NEXT) | instid1(SALU_CYCLE_1)
	s_bitset1_b32 s0, 10
	s_mov_b32 m0, s0
	s_sendmsg sendmsg(MSG_INTERRUPT)
	s_mov_b32 m0, ttmp2
.LBB39_680:                             ; =>This Inner Loop Header: Depth=1
	s_sethalt 5
	s_branch .LBB39_680
.LBB39_681:
	s_mov_b32 s9, -1
	s_mov_b32 s8, 0
                                        ; implicit-def: $sgpr10
.LBB39_682:
	v_mov_b32_e32 v4, s10
	s_and_not1_b32 vcc_lo, exec_lo, s9
                                        ; implicit-def: $sgpr9
	s_cbranch_vccnz .LBB39_684
; %bb.683:
	v_add_f32_e64 v4, 0x42800000, |s5|
	s_mov_b32 s9, 0
	s_delay_alu instid0(VALU_DEP_1) | instskip(NEXT) | instid1(VALU_DEP_1)
	v_and_b32_e32 v4, 0xff, v4
	v_cmp_ne_u32_e64 s8, 0, v4
.LBB39_684:
	v_mov_b32_e32 v6, s9
	s_delay_alu instid0(VALU_DEP_2)
	s_and_not1_b32 vcc_lo, exec_lo, s8
	s_cbranch_vccnz .LBB39_686
; %bb.685:
	s_lshr_b32 s5, s5, 24
	s_delay_alu instid0(SALU_CYCLE_1) | instskip(NEXT) | instid1(SALU_CYCLE_1)
	s_and_b32 s5, s5, 0x80
	v_or_b32_e32 v6, s5, v4
.LBB39_686:
	s_mov_b32 s5, 0
	global_store_b8 v[2:3], v6, off
.LBB39_687:
	s_and_b32 vcc_lo, exec_lo, s5
	s_cbranch_vccz .LBB39_699
; %bb.688:
	s_sext_i32_i16 s5, s2
	s_delay_alu instid0(SALU_CYCLE_1) | instskip(NEXT) | instid1(VALU_DEP_1)
	v_cvt_f32_i32_e32 v4, s5
	v_readfirstlane_b32 s5, v4
	s_delay_alu instid0(VALU_DEP_1) | instskip(NEXT) | instid1(SALU_CYCLE_1)
	s_and_b32 s8, s5, 0x7fffffff
	s_cmp_lt_u32 s8, 0x43f00000
	s_cbranch_scc0 .LBB39_691
; %bb.689:
	s_cmp_gt_u32 s8, 0x3c7fffff
	s_cbranch_scc0 .LBB39_692
; %bb.690:
	s_bfe_u32 s9, s5, 0x10014
	s_delay_alu instid0(SALU_CYCLE_1) | instskip(NEXT) | instid1(SALU_CYCLE_1)
	s_add_i32 s9, s5, s9
	s_add_i32 s9, s9, 0x407ffff
	s_delay_alu instid0(SALU_CYCLE_1)
	s_and_b32 s10, s9, 0xff00000
	s_lshr_b32 s9, s9, 20
	s_cmp_lg_u32 s10, 0x7f00000
	s_cselect_b32 s10, s9, 0x7e
	s_mov_b32 s9, 0
	s_branch .LBB39_693
.LBB39_691:
	s_mov_b32 s9, -1
                                        ; implicit-def: $vgpr6
	s_branch .LBB39_696
.LBB39_692:
	s_mov_b32 s9, -1
                                        ; implicit-def: $sgpr10
.LBB39_693:
	v_mov_b32_e32 v6, s10
	s_and_not1_b32 vcc_lo, exec_lo, s9
	s_cbranch_vccnz .LBB39_695
; %bb.694:
	v_add_f32_e64 v6, 0x46800000, |v4|
.LBB39_695:
	s_mov_b32 s9, 0
.LBB39_696:
	s_delay_alu instid0(SALU_CYCLE_1)
	s_and_not1_b32 vcc_lo, exec_lo, s9
	s_cbranch_vccnz .LBB39_698
; %bb.697:
	s_cmp_gt_u32 s8, 0x7f800000
	s_movk_i32 s8, 0x7f
	s_delay_alu instid0(SALU_CYCLE_1) | instskip(NEXT) | instid1(SALU_CYCLE_1)
	s_cselect_b32 s8, s8, 0x7e
	v_mov_b32_e32 v6, s8
.LBB39_698:
	s_lshr_b32 s5, s5, 24
	s_delay_alu instid0(SALU_CYCLE_1)
	s_and_b32 s5, s5, 0x80
	s_delay_alu instid0(VALU_DEP_1) | instid1(SALU_CYCLE_1)
	v_or_b32_e32 v4, s5, v6
	global_store_b8 v[2:3], v4, off
.LBB39_699:
	s_mov_b32 s5, 0
.LBB39_700:
	s_delay_alu instid0(SALU_CYCLE_1)
	s_and_not1_b32 vcc_lo, exec_lo, s5
	s_cbranch_vccnz .LBB39_712
; %bb.701:
	s_sext_i32_i16 s5, s2
	s_delay_alu instid0(SALU_CYCLE_1) | instskip(NEXT) | instid1(VALU_DEP_1)
	v_cvt_f32_i32_e32 v4, s5
	v_readfirstlane_b32 s5, v4
	s_delay_alu instid0(VALU_DEP_1) | instskip(NEXT) | instid1(SALU_CYCLE_1)
	s_and_b32 s8, s5, 0x7fffffff
	s_cmp_lt_u32 s8, 0x47800000
	s_cbranch_scc0 .LBB39_704
; %bb.702:
	s_cmp_gt_u32 s8, 0x387fffff
	s_cbranch_scc0 .LBB39_705
; %bb.703:
	s_bfe_u32 s9, s5, 0x10015
	s_delay_alu instid0(SALU_CYCLE_1) | instskip(NEXT) | instid1(SALU_CYCLE_1)
	s_add_i32 s9, s5, s9
	s_add_i32 s9, s9, 0x80fffff
	s_delay_alu instid0(SALU_CYCLE_1)
	s_lshr_b32 s10, s9, 21
	s_mov_b32 s9, 0
	s_branch .LBB39_706
.LBB39_704:
	s_mov_b32 s9, -1
                                        ; implicit-def: $vgpr6
	s_branch .LBB39_709
.LBB39_705:
	s_mov_b32 s9, -1
                                        ; implicit-def: $sgpr10
.LBB39_706:
	v_mov_b32_e32 v6, s10
	s_and_not1_b32 vcc_lo, exec_lo, s9
	s_cbranch_vccnz .LBB39_708
; %bb.707:
	v_add_f32_e64 v6, 0x43000000, |v4|
.LBB39_708:
	s_mov_b32 s9, 0
.LBB39_709:
	s_delay_alu instid0(SALU_CYCLE_1)
	s_and_not1_b32 vcc_lo, exec_lo, s9
	s_cbranch_vccnz .LBB39_711
; %bb.710:
	s_cmp_gt_u32 s8, 0x7f800000
	s_movk_i32 s8, 0x7f
	s_delay_alu instid0(SALU_CYCLE_1) | instskip(NEXT) | instid1(SALU_CYCLE_1)
	s_cselect_b32 s8, s8, 0x7c
	v_mov_b32_e32 v6, s8
.LBB39_711:
	s_lshr_b32 s5, s5, 24
	s_delay_alu instid0(SALU_CYCLE_1)
	s_and_b32 s5, s5, 0x80
	s_delay_alu instid0(VALU_DEP_1) | instid1(SALU_CYCLE_1)
	v_or_b32_e32 v4, s5, v6
	global_store_b8 v[2:3], v4, off
.LBB39_712:
	s_mov_b32 s5, 0
	s_mov_b32 s8, -1
.LBB39_713:
	s_and_not1_b32 vcc_lo, exec_lo, s5
	s_mov_b32 s5, 0
	s_cbranch_vccnz .LBB39_720
; %bb.714:
	v_cmp_lt_i16_e32 vcc_lo, 14, v5
	s_mov_b32 s5, -1
	s_cbranch_vccz .LBB39_718
; %bb.715:
	v_cmp_eq_u16_e32 vcc_lo, 15, v5
	s_mov_b32 s4, -1
	s_cbranch_vccz .LBB39_717
; %bb.716:
	s_sext_i32_i16 s4, s2
	s_mov_b32 s8, -1
	v_cvt_f32_i32_e32 v4, s4
	s_mov_b32 s4, 0
	s_delay_alu instid0(VALU_DEP_1) | instskip(NEXT) | instid1(VALU_DEP_1)
	v_bfe_u32 v6, v4, 16, 1
	v_add_nc_u32_e32 v4, v4, v6
	s_delay_alu instid0(VALU_DEP_1)
	v_add_nc_u32_e32 v4, 0x7fff, v4
	global_store_d16_hi_b16 v[2:3], v4, off
.LBB39_717:
	s_mov_b32 s5, 0
.LBB39_718:
	s_delay_alu instid0(SALU_CYCLE_1)
	s_and_b32 vcc_lo, exec_lo, s5
	s_mov_b32 s5, 0
	s_cbranch_vccz .LBB39_720
; %bb.719:
	v_cmp_ne_u16_e64 s4, 11, v5
	s_mov_b32 s5, -1
.LBB39_720:
	s_delay_alu instid0(VALU_DEP_1)
	s_and_b32 vcc_lo, exec_lo, s4
	s_cbranch_vccnz .LBB39_792
; %bb.721:
	s_and_not1_b32 vcc_lo, exec_lo, s5
	s_cbranch_vccnz .LBB39_723
.LBB39_722:
	v_cmp_ne_u16_e64 s4, s2, 0
	s_mov_b32 s8, -1
	s_delay_alu instid0(VALU_DEP_1)
	v_cndmask_b32_e64 v4, 0, 1, s4
	global_store_b8 v[2:3], v4, off
.LBB39_723:
	s_mov_b32 s4, 0
.LBB39_724:
	s_delay_alu instid0(SALU_CYCLE_1)
	s_and_b32 vcc_lo, exec_lo, s4
	s_cbranch_vccz .LBB39_763
; %bb.725:
	v_cmp_gt_i16_e32 vcc_lo, 5, v5
	s_mov_b32 s4, -1
	s_cbranch_vccnz .LBB39_746
; %bb.726:
	v_cmp_gt_i16_e32 vcc_lo, 8, v5
	s_cbranch_vccnz .LBB39_736
; %bb.727:
	v_cmp_gt_i16_e32 vcc_lo, 9, v5
	s_cbranch_vccnz .LBB39_733
; %bb.728:
	v_cmp_lt_i16_e32 vcc_lo, 9, v5
	s_cbranch_vccz .LBB39_730
; %bb.729:
	s_sext_i32_i16 s4, s2
	v_mov_b32_e32 v8, 0
	v_cvt_f64_i32_e32 v[6:7], s4
	s_mov_b32 s4, 0
	s_delay_alu instid0(VALU_DEP_2)
	v_mov_b32_e32 v9, v8
	global_store_b128 v[2:3], v[6:9], off
.LBB39_730:
	s_and_not1_b32 vcc_lo, exec_lo, s4
	s_cbranch_vccnz .LBB39_732
; %bb.731:
	s_sext_i32_i16 s4, s2
	v_mov_b32_e32 v7, 0
	v_cvt_f32_i32_e32 v6, s4
	global_store_b64 v[2:3], v[6:7], off
.LBB39_732:
	s_mov_b32 s4, 0
.LBB39_733:
	s_delay_alu instid0(SALU_CYCLE_1)
	s_and_not1_b32 vcc_lo, exec_lo, s4
	s_cbranch_vccnz .LBB39_735
; %bb.734:
	v_cvt_f16_i16_e32 v4, s2
	s_delay_alu instid0(VALU_DEP_1)
	v_and_b32_e32 v4, 0xffff, v4
	global_store_b32 v[2:3], v4, off
.LBB39_735:
	s_mov_b32 s4, 0
.LBB39_736:
	s_delay_alu instid0(SALU_CYCLE_1)
	s_and_not1_b32 vcc_lo, exec_lo, s4
	s_cbranch_vccnz .LBB39_745
; %bb.737:
	v_cmp_gt_i16_e32 vcc_lo, 6, v5
	s_mov_b32 s4, -1
	s_cbranch_vccnz .LBB39_743
; %bb.738:
	v_cmp_lt_i16_e32 vcc_lo, 6, v5
	s_cbranch_vccz .LBB39_740
; %bb.739:
	s_sext_i32_i16 s4, s2
	s_delay_alu instid0(SALU_CYCLE_1)
	v_cvt_f64_i32_e32 v[6:7], s4
	s_mov_b32 s4, 0
	global_store_b64 v[2:3], v[6:7], off
.LBB39_740:
	s_and_not1_b32 vcc_lo, exec_lo, s4
	s_cbranch_vccnz .LBB39_742
; %bb.741:
	s_sext_i32_i16 s4, s2
	s_delay_alu instid0(SALU_CYCLE_1)
	v_cvt_f32_i32_e32 v4, s4
	global_store_b32 v[2:3], v4, off
.LBB39_742:
	s_mov_b32 s4, 0
.LBB39_743:
	s_delay_alu instid0(SALU_CYCLE_1)
	s_and_not1_b32 vcc_lo, exec_lo, s4
	s_cbranch_vccnz .LBB39_745
; %bb.744:
	v_cvt_f16_i16_e32 v4, s2
	global_store_b16 v[2:3], v4, off
.LBB39_745:
	s_mov_b32 s4, 0
.LBB39_746:
	s_delay_alu instid0(SALU_CYCLE_1)
	s_and_not1_b32 vcc_lo, exec_lo, s4
	s_cbranch_vccnz .LBB39_762
; %bb.747:
	v_cmp_gt_i16_e32 vcc_lo, 2, v5
	s_mov_b32 s4, -1
	s_cbranch_vccnz .LBB39_757
; %bb.748:
	v_cmp_gt_i16_e32 vcc_lo, 3, v5
	s_cbranch_vccnz .LBB39_754
; %bb.749:
	v_cmp_lt_i16_e32 vcc_lo, 3, v5
	s_cbranch_vccz .LBB39_751
; %bb.750:
	s_sext_i32_i16 s4, s2
	s_delay_alu instid0(SALU_CYCLE_1) | instskip(NEXT) | instid1(SALU_CYCLE_1)
	s_ashr_i32 s5, s4, 31
	v_dual_mov_b32 v6, s4 :: v_dual_mov_b32 v7, s5
	s_mov_b32 s4, 0
	global_store_b64 v[2:3], v[6:7], off
.LBB39_751:
	s_and_not1_b32 vcc_lo, exec_lo, s4
	s_cbranch_vccnz .LBB39_753
; %bb.752:
	s_sext_i32_i16 s4, s2
	s_delay_alu instid0(SALU_CYCLE_1)
	v_mov_b32_e32 v4, s4
	global_store_b32 v[2:3], v4, off
.LBB39_753:
	s_mov_b32 s4, 0
.LBB39_754:
	s_delay_alu instid0(SALU_CYCLE_1)
	s_and_not1_b32 vcc_lo, exec_lo, s4
	s_cbranch_vccnz .LBB39_756
; %bb.755:
	v_mov_b32_e32 v4, s2
	global_store_b16 v[2:3], v4, off
.LBB39_756:
	s_mov_b32 s4, 0
.LBB39_757:
	s_delay_alu instid0(SALU_CYCLE_1)
	s_and_not1_b32 vcc_lo, exec_lo, s4
	s_cbranch_vccnz .LBB39_762
; %bb.758:
	v_cmp_lt_i16_e32 vcc_lo, 0, v5
	s_mov_b32 s4, -1
	s_cbranch_vccz .LBB39_760
; %bb.759:
	v_mov_b32_e32 v4, s2
	s_mov_b32 s4, 0
	global_store_b8 v[2:3], v4, off
.LBB39_760:
	s_and_not1_b32 vcc_lo, exec_lo, s4
	s_cbranch_vccnz .LBB39_762
; %bb.761:
	v_mov_b32_e32 v4, s2
	global_store_b8 v[2:3], v4, off
.LBB39_762:
	s_mov_b32 s8, -1
.LBB39_763:
	s_delay_alu instid0(SALU_CYCLE_1)
	s_and_not1_b32 vcc_lo, exec_lo, s8
	s_cbranch_vccnz .LBB39_923
; %bb.764:
	v_cmp_gt_i16_e32 vcc_lo, 11, v5
	v_add_co_u32 v1, s4, s0, v1
	s_delay_alu instid0(VALU_DEP_1)
	v_add_co_ci_u32_e64 v2, null, s1, 0, s4
	s_mov_b32 s8, 0
	s_mov_b32 s4, -1
	s_cbranch_vccnz .LBB39_854
; %bb.765:
	v_cmp_lt_i16_e32 vcc_lo, 25, v5
	s_mov_b32 s9, -1
	s_mov_b32 s5, 0
	s_mov_b32 s4, 0
	s_cbranch_vccz .LBB39_804
; %bb.766:
	v_cmp_lt_i16_e32 vcc_lo, 28, v5
	s_cbranch_vccz .LBB39_781
; %bb.767:
	v_cmp_lt_i16_e32 vcc_lo, 43, v5
	;; [unrolled: 3-line block ×3, first 2 shown]
	s_cbranch_vccz .LBB39_771
; %bb.769:
	v_cmp_eq_u16_e32 vcc_lo, 46, v5
	s_mov_b32 s4, -1
	s_mov_b32 s9, 0
	s_cbranch_vccz .LBB39_771
; %bb.770:
	s_sext_i32_i16 s4, s2
	s_mov_b32 s8, -1
	v_cvt_f32_i32_e32 v3, s4
	s_mov_b32 s4, 0
	s_delay_alu instid0(VALU_DEP_1) | instskip(NEXT) | instid1(VALU_DEP_1)
	v_bfe_u32 v4, v3, 16, 1
	v_add_nc_u32_e32 v3, v3, v4
	s_delay_alu instid0(VALU_DEP_1) | instskip(NEXT) | instid1(VALU_DEP_1)
	v_add_nc_u32_e32 v3, 0x7fff, v3
	v_lshrrev_b32_e32 v3, 16, v3
	global_store_b32 v[1:2], v3, off
.LBB39_771:
	s_and_b32 vcc_lo, exec_lo, s9
	s_cbranch_vccz .LBB39_776
; %bb.772:
	v_cmp_eq_u16_e32 vcc_lo, 44, v5
	s_mov_b32 s4, -1
	s_cbranch_vccz .LBB39_776
; %bb.773:
	s_sext_i32_i16 s4, s2
	v_mov_b32_e32 v4, 0xff
	v_cvt_f32_i32_e32 v3, s4
	s_delay_alu instid0(VALU_DEP_1) | instskip(NEXT) | instid1(VALU_DEP_1)
	v_readfirstlane_b32 s4, v3
	s_bfe_u32 s8, s4, 0x80017
	s_delay_alu instid0(SALU_CYCLE_1)
	s_cmpk_eq_i32 s8, 0xff
	s_cbranch_scc1 .LBB39_775
; %bb.774:
	s_bitcmp1_b32 s4, 22
	v_lshrrev_b32_e32 v3, 23, v3
	s_cselect_b32 s9, -1, 0
	s_and_b32 s4, s4, 0x3fffff
	s_delay_alu instid0(SALU_CYCLE_1) | instskip(NEXT) | instid1(SALU_CYCLE_1)
	s_or_b32 s4, s8, s4
	s_cmp_lg_u32 s4, 0
	s_cselect_b32 s4, -1, 0
	s_delay_alu instid0(SALU_CYCLE_1) | instskip(NEXT) | instid1(SALU_CYCLE_1)
	s_and_b32 s4, s9, s4
	v_cndmask_b32_e64 v4, 0, 1, s4
	s_delay_alu instid0(VALU_DEP_1)
	v_add_nc_u32_e32 v4, v3, v4
.LBB39_775:
	s_mov_b32 s4, 0
	s_mov_b32 s8, -1
	global_store_b8 v[1:2], v4, off
.LBB39_776:
	s_mov_b32 s9, 0
.LBB39_777:
	s_delay_alu instid0(SALU_CYCLE_1)
	s_and_b32 vcc_lo, exec_lo, s9
	s_cbranch_vccz .LBB39_780
; %bb.778:
	v_cmp_eq_u16_e32 vcc_lo, 29, v5
	s_mov_b32 s4, -1
	s_cbranch_vccz .LBB39_780
; %bb.779:
	s_sext_i32_i16 s4, s2
	s_delay_alu instid0(SALU_CYCLE_1) | instskip(NEXT) | instid1(SALU_CYCLE_1)
	s_ashr_i32 s8, s4, 31
	v_dual_mov_b32 v3, s4 :: v_dual_mov_b32 v4, s8
	s_mov_b32 s4, 0
	s_mov_b32 s8, -1
	global_store_b64 v[1:2], v[3:4], off
.LBB39_780:
	s_mov_b32 s9, 0
.LBB39_781:
	s_delay_alu instid0(SALU_CYCLE_1)
	s_and_b32 vcc_lo, exec_lo, s9
	s_cbranch_vccz .LBB39_803
; %bb.782:
	v_cmp_gt_i16_e32 vcc_lo, 27, v5
	s_mov_b32 s8, -1
	s_cbranch_vccnz .LBB39_788
; %bb.783:
	v_cmp_lt_i16_e32 vcc_lo, 27, v5
	s_cbranch_vccz .LBB39_785
; %bb.784:
	s_sext_i32_i16 s8, s2
	s_delay_alu instid0(SALU_CYCLE_1)
	v_mov_b32_e32 v3, s8
	s_mov_b32 s8, 0
	global_store_b32 v[1:2], v3, off
.LBB39_785:
	s_and_not1_b32 vcc_lo, exec_lo, s8
	s_cbranch_vccnz .LBB39_787
; %bb.786:
	v_mov_b32_e32 v3, s2
	global_store_b16 v[1:2], v3, off
.LBB39_787:
	s_mov_b32 s8, 0
.LBB39_788:
	s_delay_alu instid0(SALU_CYCLE_1)
	s_and_not1_b32 vcc_lo, exec_lo, s8
	s_cbranch_vccnz .LBB39_802
; %bb.789:
	s_sext_i32_i16 s8, s2
	v_mov_b32_e32 v4, 0x80
	v_cvt_f32_i32_e32 v3, s8
	s_delay_alu instid0(VALU_DEP_1) | instskip(NEXT) | instid1(VALU_DEP_1)
	v_readfirstlane_b32 s8, v3
	s_and_b32 s9, s8, 0x7fffffff
	s_delay_alu instid0(SALU_CYCLE_1)
	s_cmp_gt_u32 s9, 0x437fffff
	s_cbranch_scc1 .LBB39_801
; %bb.790:
	s_cmp_gt_u32 s9, 0x3bffffff
	s_cbranch_scc0 .LBB39_796
; %bb.791:
	s_bfe_u32 s9, s8, 0x10014
	s_mov_b32 s10, 0
	s_add_i32 s9, s8, s9
	s_delay_alu instid0(SALU_CYCLE_1) | instskip(NEXT) | instid1(SALU_CYCLE_1)
	s_add_i32 s9, s9, 0x487ffff
	s_lshr_b32 s11, s9, 20
	s_mov_b32 s9, -1
	s_branch .LBB39_797
.LBB39_792:
	s_cbranch_execnz .LBB39_794
; %bb.793:
	s_or_b32 s3, s3, exec_lo
	s_cbranch_execz .LBB39_722
	s_branch .LBB39_723
.LBB39_794:
	s_trap 2
	s_sendmsg_rtn_b32 s0, sendmsg(MSG_RTN_GET_DOORBELL)
	s_mov_b32 ttmp2, m0
	s_waitcnt lgkmcnt(0)
	s_and_b32 s0, s0, 0x3ff
	s_delay_alu instid0(SALU_CYCLE_1) | instskip(NEXT) | instid1(SALU_CYCLE_1)
	s_bitset1_b32 s0, 10
	s_mov_b32 m0, s0
	s_sendmsg sendmsg(MSG_INTERRUPT)
	s_mov_b32 m0, ttmp2
.LBB39_795:                             ; =>This Inner Loop Header: Depth=1
	s_sethalt 5
	s_branch .LBB39_795
.LBB39_796:
	s_mov_b32 s10, -1
	s_mov_b32 s9, 0
                                        ; implicit-def: $sgpr11
.LBB39_797:
	v_mov_b32_e32 v3, s11
	s_and_not1_b32 vcc_lo, exec_lo, s10
                                        ; implicit-def: $sgpr10
	s_cbranch_vccnz .LBB39_799
; %bb.798:
	v_add_f32_e64 v3, 0x46000000, |s8|
	s_mov_b32 s10, 0
	s_delay_alu instid0(VALU_DEP_1) | instskip(NEXT) | instid1(VALU_DEP_1)
	v_and_b32_e32 v3, 0xff, v3
	v_cmp_ne_u32_e64 s9, 0, v3
.LBB39_799:
	v_mov_b32_e32 v4, s10
	s_delay_alu instid0(VALU_DEP_2)
	s_and_not1_b32 vcc_lo, exec_lo, s9
	s_cbranch_vccnz .LBB39_801
; %bb.800:
	s_lshr_b32 s8, s8, 24
	s_delay_alu instid0(SALU_CYCLE_1) | instskip(NEXT) | instid1(SALU_CYCLE_1)
	s_and_b32 s8, s8, 0x80
	v_or_b32_e32 v4, s8, v3
.LBB39_801:
	global_store_b8 v[1:2], v4, off
.LBB39_802:
	s_mov_b32 s8, -1
.LBB39_803:
	s_mov_b32 s9, 0
.LBB39_804:
	s_delay_alu instid0(SALU_CYCLE_1)
	s_and_b32 vcc_lo, exec_lo, s9
	s_cbranch_vccz .LBB39_850
; %bb.805:
	v_cmp_lt_i16_e32 vcc_lo, 22, v5
	s_mov_b32 s5, -1
	s_cbranch_vccz .LBB39_843
; %bb.806:
	v_cmp_gt_i16_e32 vcc_lo, 24, v5
	s_cbranch_vccnz .LBB39_830
; %bb.807:
	v_cmp_lt_i16_e32 vcc_lo, 24, v5
	s_cbranch_vccz .LBB39_817
; %bb.808:
	s_sext_i32_i16 s5, s2
	v_mov_b32_e32 v4, 0x80
	v_cvt_f32_i32_e32 v3, s5
	s_delay_alu instid0(VALU_DEP_1) | instskip(NEXT) | instid1(VALU_DEP_1)
	v_readfirstlane_b32 s5, v3
	s_and_b32 s8, s5, 0x7fffffff
	s_delay_alu instid0(SALU_CYCLE_1)
	s_cmp_gt_u32 s8, 0x477fffff
	s_cbranch_scc1 .LBB39_816
; %bb.809:
	s_cmp_gt_u32 s8, 0x37ffffff
	s_cbranch_scc0 .LBB39_811
; %bb.810:
	s_bfe_u32 s8, s5, 0x10015
	s_mov_b32 s9, 0
	s_add_i32 s8, s5, s8
	s_delay_alu instid0(SALU_CYCLE_1) | instskip(NEXT) | instid1(SALU_CYCLE_1)
	s_add_i32 s8, s8, 0x88fffff
	s_lshr_b32 s10, s8, 21
	s_mov_b32 s8, -1
	s_branch .LBB39_812
.LBB39_811:
	s_mov_b32 s9, -1
	s_mov_b32 s8, 0
                                        ; implicit-def: $sgpr10
.LBB39_812:
	v_mov_b32_e32 v3, s10
	s_and_not1_b32 vcc_lo, exec_lo, s9
                                        ; implicit-def: $sgpr9
	s_cbranch_vccnz .LBB39_814
; %bb.813:
	v_add_f32_e64 v3, 0x42800000, |s5|
	s_mov_b32 s9, 0
	s_delay_alu instid0(VALU_DEP_1) | instskip(NEXT) | instid1(VALU_DEP_1)
	v_and_b32_e32 v3, 0xff, v3
	v_cmp_ne_u32_e64 s8, 0, v3
.LBB39_814:
	v_mov_b32_e32 v4, s9
	s_delay_alu instid0(VALU_DEP_2)
	s_and_not1_b32 vcc_lo, exec_lo, s8
	s_cbranch_vccnz .LBB39_816
; %bb.815:
	s_lshr_b32 s5, s5, 24
	s_delay_alu instid0(SALU_CYCLE_1) | instskip(NEXT) | instid1(SALU_CYCLE_1)
	s_and_b32 s5, s5, 0x80
	v_or_b32_e32 v4, s5, v3
.LBB39_816:
	s_mov_b32 s5, 0
	global_store_b8 v[1:2], v4, off
.LBB39_817:
	s_and_b32 vcc_lo, exec_lo, s5
	s_cbranch_vccz .LBB39_829
; %bb.818:
	s_sext_i32_i16 s5, s2
	s_delay_alu instid0(SALU_CYCLE_1) | instskip(NEXT) | instid1(VALU_DEP_1)
	v_cvt_f32_i32_e32 v3, s5
	v_readfirstlane_b32 s5, v3
	s_delay_alu instid0(VALU_DEP_1) | instskip(NEXT) | instid1(SALU_CYCLE_1)
	s_and_b32 s8, s5, 0x7fffffff
	s_cmp_lt_u32 s8, 0x43f00000
	s_cbranch_scc0 .LBB39_821
; %bb.819:
	s_cmp_gt_u32 s8, 0x3c7fffff
	s_cbranch_scc0 .LBB39_822
; %bb.820:
	s_bfe_u32 s9, s5, 0x10014
	s_delay_alu instid0(SALU_CYCLE_1) | instskip(NEXT) | instid1(SALU_CYCLE_1)
	s_add_i32 s9, s5, s9
	s_add_i32 s9, s9, 0x407ffff
	s_delay_alu instid0(SALU_CYCLE_1)
	s_and_b32 s10, s9, 0xff00000
	s_lshr_b32 s9, s9, 20
	s_cmp_lg_u32 s10, 0x7f00000
	s_cselect_b32 s10, s9, 0x7e
	s_mov_b32 s9, 0
	s_branch .LBB39_823
.LBB39_821:
	s_mov_b32 s9, -1
                                        ; implicit-def: $vgpr4
	s_branch .LBB39_826
.LBB39_822:
	s_mov_b32 s9, -1
                                        ; implicit-def: $sgpr10
.LBB39_823:
	v_mov_b32_e32 v4, s10
	s_and_not1_b32 vcc_lo, exec_lo, s9
	s_cbranch_vccnz .LBB39_825
; %bb.824:
	v_add_f32_e64 v4, 0x46800000, |v3|
.LBB39_825:
	s_mov_b32 s9, 0
.LBB39_826:
	s_delay_alu instid0(SALU_CYCLE_1)
	s_and_not1_b32 vcc_lo, exec_lo, s9
	s_cbranch_vccnz .LBB39_828
; %bb.827:
	s_cmp_gt_u32 s8, 0x7f800000
	s_movk_i32 s8, 0x7f
	s_delay_alu instid0(SALU_CYCLE_1) | instskip(NEXT) | instid1(SALU_CYCLE_1)
	s_cselect_b32 s8, s8, 0x7e
	v_mov_b32_e32 v4, s8
.LBB39_828:
	s_lshr_b32 s5, s5, 24
	s_delay_alu instid0(SALU_CYCLE_1)
	s_and_b32 s5, s5, 0x80
	s_delay_alu instid0(VALU_DEP_1) | instid1(SALU_CYCLE_1)
	v_or_b32_e32 v3, s5, v4
	global_store_b8 v[1:2], v3, off
.LBB39_829:
	s_mov_b32 s5, 0
.LBB39_830:
	s_delay_alu instid0(SALU_CYCLE_1)
	s_and_not1_b32 vcc_lo, exec_lo, s5
	s_cbranch_vccnz .LBB39_842
; %bb.831:
	s_sext_i32_i16 s5, s2
	s_delay_alu instid0(SALU_CYCLE_1) | instskip(NEXT) | instid1(VALU_DEP_1)
	v_cvt_f32_i32_e32 v3, s5
	v_readfirstlane_b32 s5, v3
	s_delay_alu instid0(VALU_DEP_1) | instskip(NEXT) | instid1(SALU_CYCLE_1)
	s_and_b32 s8, s5, 0x7fffffff
	s_cmp_lt_u32 s8, 0x47800000
	s_cbranch_scc0 .LBB39_834
; %bb.832:
	s_cmp_gt_u32 s8, 0x387fffff
	s_cbranch_scc0 .LBB39_835
; %bb.833:
	s_bfe_u32 s9, s5, 0x10015
	s_delay_alu instid0(SALU_CYCLE_1) | instskip(NEXT) | instid1(SALU_CYCLE_1)
	s_add_i32 s9, s5, s9
	s_add_i32 s9, s9, 0x80fffff
	s_delay_alu instid0(SALU_CYCLE_1)
	s_lshr_b32 s10, s9, 21
	s_mov_b32 s9, 0
	s_branch .LBB39_836
.LBB39_834:
	s_mov_b32 s9, -1
                                        ; implicit-def: $vgpr4
	s_branch .LBB39_839
.LBB39_835:
	s_mov_b32 s9, -1
                                        ; implicit-def: $sgpr10
.LBB39_836:
	v_mov_b32_e32 v4, s10
	s_and_not1_b32 vcc_lo, exec_lo, s9
	s_cbranch_vccnz .LBB39_838
; %bb.837:
	v_add_f32_e64 v4, 0x43000000, |v3|
.LBB39_838:
	s_mov_b32 s9, 0
.LBB39_839:
	s_delay_alu instid0(SALU_CYCLE_1)
	s_and_not1_b32 vcc_lo, exec_lo, s9
	s_cbranch_vccnz .LBB39_841
; %bb.840:
	s_cmp_gt_u32 s8, 0x7f800000
	s_movk_i32 s8, 0x7f
	s_delay_alu instid0(SALU_CYCLE_1) | instskip(NEXT) | instid1(SALU_CYCLE_1)
	s_cselect_b32 s8, s8, 0x7c
	v_mov_b32_e32 v4, s8
.LBB39_841:
	s_lshr_b32 s5, s5, 24
	s_delay_alu instid0(SALU_CYCLE_1)
	s_and_b32 s5, s5, 0x80
	s_delay_alu instid0(VALU_DEP_1) | instid1(SALU_CYCLE_1)
	v_or_b32_e32 v3, s5, v4
	global_store_b8 v[1:2], v3, off
.LBB39_842:
	s_mov_b32 s5, 0
	s_mov_b32 s8, -1
.LBB39_843:
	s_and_not1_b32 vcc_lo, exec_lo, s5
	s_mov_b32 s5, 0
	s_cbranch_vccnz .LBB39_850
; %bb.844:
	v_cmp_lt_i16_e32 vcc_lo, 14, v5
	s_mov_b32 s5, -1
	s_cbranch_vccz .LBB39_848
; %bb.845:
	v_cmp_eq_u16_e32 vcc_lo, 15, v5
	s_mov_b32 s4, -1
	s_cbranch_vccz .LBB39_847
; %bb.846:
	s_sext_i32_i16 s4, s2
	s_mov_b32 s8, -1
	v_cvt_f32_i32_e32 v3, s4
	s_mov_b32 s4, 0
	s_delay_alu instid0(VALU_DEP_1) | instskip(NEXT) | instid1(VALU_DEP_1)
	v_bfe_u32 v4, v3, 16, 1
	v_add_nc_u32_e32 v3, v3, v4
	s_delay_alu instid0(VALU_DEP_1)
	v_add_nc_u32_e32 v3, 0x7fff, v3
	global_store_d16_hi_b16 v[1:2], v3, off
.LBB39_847:
	s_mov_b32 s5, 0
.LBB39_848:
	s_delay_alu instid0(SALU_CYCLE_1)
	s_and_b32 vcc_lo, exec_lo, s5
	s_mov_b32 s5, 0
	s_cbranch_vccz .LBB39_850
; %bb.849:
	v_cmp_ne_u16_e64 s4, 11, v5
	s_mov_b32 s5, -1
.LBB39_850:
	s_delay_alu instid0(VALU_DEP_1)
	s_and_b32 vcc_lo, exec_lo, s4
	s_cbranch_vccnz .LBB39_968
; %bb.851:
	s_and_not1_b32 vcc_lo, exec_lo, s5
	s_cbranch_vccnz .LBB39_853
.LBB39_852:
	v_cmp_ne_u16_e64 s4, s2, 0
	s_mov_b32 s8, -1
	s_delay_alu instid0(VALU_DEP_1)
	v_cndmask_b32_e64 v3, 0, 1, s4
	global_store_b8 v[1:2], v3, off
.LBB39_853:
	s_mov_b32 s4, 0
.LBB39_854:
	s_delay_alu instid0(SALU_CYCLE_1)
	s_and_b32 vcc_lo, exec_lo, s4
	s_cbranch_vccz .LBB39_893
; %bb.855:
	v_cmp_gt_i16_e32 vcc_lo, 5, v5
	s_mov_b32 s4, -1
	s_cbranch_vccnz .LBB39_876
; %bb.856:
	v_cmp_gt_i16_e32 vcc_lo, 8, v5
	s_cbranch_vccnz .LBB39_866
; %bb.857:
	v_cmp_gt_i16_e32 vcc_lo, 9, v5
	s_cbranch_vccnz .LBB39_863
; %bb.858:
	v_cmp_lt_i16_e32 vcc_lo, 9, v5
	s_cbranch_vccz .LBB39_860
; %bb.859:
	s_sext_i32_i16 s4, s2
	v_mov_b32_e32 v8, 0
	v_cvt_f64_i32_e32 v[6:7], s4
	s_mov_b32 s4, 0
	s_delay_alu instid0(VALU_DEP_2)
	v_mov_b32_e32 v9, v8
	global_store_b128 v[1:2], v[6:9], off
.LBB39_860:
	s_and_not1_b32 vcc_lo, exec_lo, s4
	s_cbranch_vccnz .LBB39_862
; %bb.861:
	s_sext_i32_i16 s4, s2
	v_mov_b32_e32 v4, 0
	v_cvt_f32_i32_e32 v3, s4
	global_store_b64 v[1:2], v[3:4], off
.LBB39_862:
	s_mov_b32 s4, 0
.LBB39_863:
	s_delay_alu instid0(SALU_CYCLE_1)
	s_and_not1_b32 vcc_lo, exec_lo, s4
	s_cbranch_vccnz .LBB39_865
; %bb.864:
	v_cvt_f16_i16_e32 v3, s2
	s_delay_alu instid0(VALU_DEP_1)
	v_and_b32_e32 v3, 0xffff, v3
	global_store_b32 v[1:2], v3, off
.LBB39_865:
	s_mov_b32 s4, 0
.LBB39_866:
	s_delay_alu instid0(SALU_CYCLE_1)
	s_and_not1_b32 vcc_lo, exec_lo, s4
	s_cbranch_vccnz .LBB39_875
; %bb.867:
	v_cmp_gt_i16_e32 vcc_lo, 6, v5
	s_mov_b32 s4, -1
	s_cbranch_vccnz .LBB39_873
; %bb.868:
	v_cmp_lt_i16_e32 vcc_lo, 6, v5
	s_cbranch_vccz .LBB39_870
; %bb.869:
	s_sext_i32_i16 s4, s2
	s_delay_alu instid0(SALU_CYCLE_1)
	v_cvt_f64_i32_e32 v[3:4], s4
	s_mov_b32 s4, 0
	global_store_b64 v[1:2], v[3:4], off
.LBB39_870:
	s_and_not1_b32 vcc_lo, exec_lo, s4
	s_cbranch_vccnz .LBB39_872
; %bb.871:
	s_sext_i32_i16 s4, s2
	s_delay_alu instid0(SALU_CYCLE_1)
	v_cvt_f32_i32_e32 v3, s4
	global_store_b32 v[1:2], v3, off
.LBB39_872:
	s_mov_b32 s4, 0
.LBB39_873:
	s_delay_alu instid0(SALU_CYCLE_1)
	s_and_not1_b32 vcc_lo, exec_lo, s4
	s_cbranch_vccnz .LBB39_875
; %bb.874:
	v_cvt_f16_i16_e32 v3, s2
	global_store_b16 v[1:2], v3, off
.LBB39_875:
	s_mov_b32 s4, 0
.LBB39_876:
	s_delay_alu instid0(SALU_CYCLE_1)
	s_and_not1_b32 vcc_lo, exec_lo, s4
	s_cbranch_vccnz .LBB39_892
; %bb.877:
	v_cmp_gt_i16_e32 vcc_lo, 2, v5
	s_mov_b32 s4, -1
	s_cbranch_vccnz .LBB39_887
; %bb.878:
	v_cmp_gt_i16_e32 vcc_lo, 3, v5
	s_cbranch_vccnz .LBB39_884
; %bb.879:
	v_cmp_lt_i16_e32 vcc_lo, 3, v5
	s_cbranch_vccz .LBB39_881
; %bb.880:
	s_sext_i32_i16 s4, s2
	s_delay_alu instid0(SALU_CYCLE_1) | instskip(NEXT) | instid1(SALU_CYCLE_1)
	s_ashr_i32 s5, s4, 31
	v_dual_mov_b32 v3, s4 :: v_dual_mov_b32 v4, s5
	s_mov_b32 s4, 0
	global_store_b64 v[1:2], v[3:4], off
.LBB39_881:
	s_and_not1_b32 vcc_lo, exec_lo, s4
	s_cbranch_vccnz .LBB39_883
; %bb.882:
	s_sext_i32_i16 s4, s2
	s_delay_alu instid0(SALU_CYCLE_1)
	v_mov_b32_e32 v3, s4
	global_store_b32 v[1:2], v3, off
.LBB39_883:
	s_mov_b32 s4, 0
.LBB39_884:
	s_delay_alu instid0(SALU_CYCLE_1)
	s_and_not1_b32 vcc_lo, exec_lo, s4
	s_cbranch_vccnz .LBB39_886
; %bb.885:
	v_mov_b32_e32 v3, s2
	global_store_b16 v[1:2], v3, off
.LBB39_886:
	s_mov_b32 s4, 0
.LBB39_887:
	s_delay_alu instid0(SALU_CYCLE_1)
	s_and_not1_b32 vcc_lo, exec_lo, s4
	s_cbranch_vccnz .LBB39_892
; %bb.888:
	v_cmp_lt_i16_e32 vcc_lo, 0, v5
	s_mov_b32 s4, -1
	s_cbranch_vccz .LBB39_890
; %bb.889:
	v_mov_b32_e32 v3, s2
	s_mov_b32 s4, 0
	global_store_b8 v[1:2], v3, off
.LBB39_890:
	s_and_not1_b32 vcc_lo, exec_lo, s4
	s_cbranch_vccnz .LBB39_892
; %bb.891:
	v_mov_b32_e32 v3, s2
	global_store_b8 v[1:2], v3, off
.LBB39_892:
	s_mov_b32 s8, -1
.LBB39_893:
	s_delay_alu instid0(SALU_CYCLE_1)
	s_and_not1_b32 vcc_lo, exec_lo, s8
	s_cbranch_vccnz .LBB39_923
; %bb.894:
	v_cmp_gt_i16_e32 vcc_lo, 11, v5
	v_add_co_u32 v0, s0, s0, v0
	s_delay_alu instid0(VALU_DEP_1)
	v_add_co_ci_u32_e64 v1, null, s1, 0, s0
	s_mov_b32 s4, 0
	s_mov_b32 s0, -1
	s_cbranch_vccnz .LBB39_924
; %bb.895:
	v_cmp_lt_i16_e32 vcc_lo, 25, v5
	s_mov_b32 s1, -1
	s_mov_b32 s0, 0
	s_cbranch_vccz .LBB39_979
; %bb.896:
	v_cmp_lt_i16_e32 vcc_lo, 28, v5
	s_cbranch_vccz .LBB39_912
; %bb.897:
	v_cmp_lt_i16_e32 vcc_lo, 43, v5
	;; [unrolled: 3-line block ×3, first 2 shown]
	s_cbranch_vccz .LBB39_902
; %bb.899:
	v_cmp_eq_u16_e32 vcc_lo, 46, v5
	s_mov_b32 s0, -1
	s_cbranch_vccz .LBB39_901
; %bb.900:
	s_sext_i32_i16 s0, s2
	s_delay_alu instid0(SALU_CYCLE_1) | instskip(SKIP_1) | instid1(VALU_DEP_1)
	v_cvt_f32_i32_e32 v2, s0
	s_mov_b32 s0, 0
	v_bfe_u32 v3, v2, 16, 1
	s_delay_alu instid0(VALU_DEP_1) | instskip(NEXT) | instid1(VALU_DEP_1)
	v_add_nc_u32_e32 v2, v2, v3
	v_add_nc_u32_e32 v2, 0x7fff, v2
	s_delay_alu instid0(VALU_DEP_1)
	v_lshrrev_b32_e32 v2, 16, v2
	global_store_b32 v[0:1], v2, off
.LBB39_901:
	s_mov_b32 s1, 0
.LBB39_902:
	s_delay_alu instid0(SALU_CYCLE_1)
	s_and_b32 vcc_lo, exec_lo, s1
	s_cbranch_vccz .LBB39_907
; %bb.903:
	v_cmp_eq_u16_e32 vcc_lo, 44, v5
	s_mov_b32 s0, -1
	s_cbranch_vccz .LBB39_907
; %bb.904:
	s_sext_i32_i16 s0, s2
	v_mov_b32_e32 v3, 0xff
	v_cvt_f32_i32_e32 v2, s0
	s_delay_alu instid0(VALU_DEP_1) | instskip(NEXT) | instid1(VALU_DEP_1)
	v_readfirstlane_b32 s0, v2
	s_bfe_u32 s1, s0, 0x80017
	s_delay_alu instid0(SALU_CYCLE_1)
	s_cmpk_eq_i32 s1, 0xff
	s_cbranch_scc1 .LBB39_906
; %bb.905:
	s_bitcmp1_b32 s0, 22
	v_lshrrev_b32_e32 v2, 23, v2
	s_cselect_b32 s5, -1, 0
	s_and_b32 s0, s0, 0x3fffff
	s_delay_alu instid0(SALU_CYCLE_1) | instskip(NEXT) | instid1(SALU_CYCLE_1)
	s_or_b32 s0, s1, s0
	s_cmp_lg_u32 s0, 0
	s_cselect_b32 s0, -1, 0
	s_delay_alu instid0(SALU_CYCLE_1) | instskip(NEXT) | instid1(SALU_CYCLE_1)
	s_and_b32 s0, s5, s0
	v_cndmask_b32_e64 v3, 0, 1, s0
	s_delay_alu instid0(VALU_DEP_1)
	v_add_nc_u32_e32 v3, v2, v3
.LBB39_906:
	s_mov_b32 s0, 0
	global_store_b8 v[0:1], v3, off
.LBB39_907:
	s_mov_b32 s1, 0
.LBB39_908:
	s_delay_alu instid0(SALU_CYCLE_1)
	s_and_b32 vcc_lo, exec_lo, s1
	s_cbranch_vccz .LBB39_911
; %bb.909:
	v_cmp_eq_u16_e32 vcc_lo, 29, v5
	s_mov_b32 s0, -1
	s_cbranch_vccz .LBB39_911
; %bb.910:
	s_sext_i32_i16 s0, s2
	s_delay_alu instid0(SALU_CYCLE_1) | instskip(NEXT) | instid1(SALU_CYCLE_1)
	s_ashr_i32 s1, s0, 31
	v_dual_mov_b32 v2, s0 :: v_dual_mov_b32 v3, s1
	s_mov_b32 s0, 0
	global_store_b64 v[0:1], v[2:3], off
.LBB39_911:
	s_mov_b32 s1, 0
.LBB39_912:
	s_delay_alu instid0(SALU_CYCLE_1)
	s_and_b32 vcc_lo, exec_lo, s1
	s_cbranch_vccz .LBB39_978
; %bb.913:
	v_cmp_gt_i16_e32 vcc_lo, 27, v5
	s_mov_b32 s1, -1
	s_cbranch_vccnz .LBB39_919
; %bb.914:
	v_cmp_lt_i16_e32 vcc_lo, 27, v5
	s_cbranch_vccz .LBB39_916
; %bb.915:
	s_sext_i32_i16 s1, s2
	s_delay_alu instid0(SALU_CYCLE_1)
	v_mov_b32_e32 v2, s1
	s_mov_b32 s1, 0
	global_store_b32 v[0:1], v2, off
.LBB39_916:
	s_and_not1_b32 vcc_lo, exec_lo, s1
	s_cbranch_vccnz .LBB39_918
; %bb.917:
	v_mov_b32_e32 v2, s2
	global_store_b16 v[0:1], v2, off
.LBB39_918:
	s_mov_b32 s1, 0
.LBB39_919:
	s_delay_alu instid0(SALU_CYCLE_1)
	s_and_not1_b32 vcc_lo, exec_lo, s1
	s_cbranch_vccnz .LBB39_978
; %bb.920:
	s_sext_i32_i16 s1, s2
	v_mov_b32_e32 v3, 0x80
	v_cvt_f32_i32_e32 v2, s1
	s_delay_alu instid0(VALU_DEP_1) | instskip(NEXT) | instid1(VALU_DEP_1)
	v_readfirstlane_b32 s1, v2
	s_and_b32 s5, s1, 0x7fffffff
	s_delay_alu instid0(SALU_CYCLE_1)
	s_cmp_gt_u32 s5, 0x437fffff
	s_cbranch_scc1 .LBB39_977
; %bb.921:
	s_cmp_gt_u32 s5, 0x3bffffff
	s_cbranch_scc0 .LBB39_972
; %bb.922:
	s_bfe_u32 s5, s1, 0x10014
	s_mov_b32 s8, 0
	s_add_i32 s5, s1, s5
	s_delay_alu instid0(SALU_CYCLE_1) | instskip(NEXT) | instid1(SALU_CYCLE_1)
	s_add_i32 s5, s5, 0x487ffff
	s_lshr_b32 s9, s5, 20
	s_mov_b32 s5, -1
	s_branch .LBB39_973
.LBB39_923:
	s_mov_b32 s0, 0
	s_mov_b32 s4, 0
                                        ; implicit-def: $vgpr5
                                        ; implicit-def: $vgpr0_vgpr1
.LBB39_924:
	s_and_b32 s5, s0, exec_lo
	s_and_not1_b32 s0, s6, exec_lo
	s_and_b32 s1, s3, exec_lo
	s_and_b32 s3, s4, exec_lo
	s_or_b32 s6, s0, s1
.LBB39_925:
	s_or_b32 exec_lo, exec_lo, s7
	s_and_saveexec_b32 s0, s6
	s_cbranch_execz .LBB39_928
; %bb.926:
	; divergent unreachable
	s_or_b32 exec_lo, exec_lo, s0
	s_and_saveexec_b32 s0, s3
	s_delay_alu instid0(SALU_CYCLE_1)
	s_xor_b32 s0, exec_lo, s0
	s_cbranch_execnz .LBB39_929
.LBB39_927:
	s_or_b32 exec_lo, exec_lo, s0
	s_and_saveexec_b32 s0, s5
	s_cbranch_execnz .LBB39_930
	s_branch .LBB39_967
.LBB39_928:
	s_or_b32 exec_lo, exec_lo, s0
	s_and_saveexec_b32 s0, s3
	s_delay_alu instid0(SALU_CYCLE_1)
	s_xor_b32 s0, exec_lo, s0
	s_cbranch_execz .LBB39_927
.LBB39_929:
	v_cmp_ne_u16_e64 s1, s2, 0
	s_delay_alu instid0(VALU_DEP_1)
	v_cndmask_b32_e64 v2, 0, 1, s1
	global_store_b8 v[0:1], v2, off
	s_or_b32 exec_lo, exec_lo, s0
	s_and_saveexec_b32 s0, s5
	s_cbranch_execz .LBB39_967
.LBB39_930:
	v_cmp_gt_i16_e32 vcc_lo, 5, v5
	s_mov_b32 s0, -1
	s_cbranch_vccnz .LBB39_951
; %bb.931:
	v_cmp_gt_i16_e32 vcc_lo, 8, v5
	s_cbranch_vccnz .LBB39_941
; %bb.932:
	v_cmp_gt_i16_e32 vcc_lo, 9, v5
	s_cbranch_vccnz .LBB39_938
; %bb.933:
	v_cmp_lt_i16_e32 vcc_lo, 9, v5
	s_cbranch_vccz .LBB39_935
; %bb.934:
	s_sext_i32_i16 s0, s2
	v_mov_b32_e32 v8, 0
	v_cvt_f64_i32_e32 v[6:7], s0
	s_mov_b32 s0, 0
	s_delay_alu instid0(VALU_DEP_2)
	v_mov_b32_e32 v9, v8
	global_store_b128 v[0:1], v[6:9], off
.LBB39_935:
	s_and_not1_b32 vcc_lo, exec_lo, s0
	s_cbranch_vccnz .LBB39_937
; %bb.936:
	s_sext_i32_i16 s0, s2
	v_mov_b32_e32 v3, 0
	v_cvt_f32_i32_e32 v2, s0
	global_store_b64 v[0:1], v[2:3], off
.LBB39_937:
	s_mov_b32 s0, 0
.LBB39_938:
	s_delay_alu instid0(SALU_CYCLE_1)
	s_and_not1_b32 vcc_lo, exec_lo, s0
	s_cbranch_vccnz .LBB39_940
; %bb.939:
	v_cvt_f16_i16_e32 v2, s2
	s_delay_alu instid0(VALU_DEP_1)
	v_and_b32_e32 v2, 0xffff, v2
	global_store_b32 v[0:1], v2, off
.LBB39_940:
	s_mov_b32 s0, 0
.LBB39_941:
	s_delay_alu instid0(SALU_CYCLE_1)
	s_and_not1_b32 vcc_lo, exec_lo, s0
	s_cbranch_vccnz .LBB39_950
; %bb.942:
	v_cmp_gt_i16_e32 vcc_lo, 6, v5
	s_mov_b32 s0, -1
	s_cbranch_vccnz .LBB39_948
; %bb.943:
	v_cmp_lt_i16_e32 vcc_lo, 6, v5
	s_cbranch_vccz .LBB39_945
; %bb.944:
	s_sext_i32_i16 s0, s2
	s_delay_alu instid0(SALU_CYCLE_1)
	v_cvt_f64_i32_e32 v[2:3], s0
	s_mov_b32 s0, 0
	global_store_b64 v[0:1], v[2:3], off
.LBB39_945:
	s_and_not1_b32 vcc_lo, exec_lo, s0
	s_cbranch_vccnz .LBB39_947
; %bb.946:
	s_sext_i32_i16 s0, s2
	s_delay_alu instid0(SALU_CYCLE_1)
	v_cvt_f32_i32_e32 v2, s0
	global_store_b32 v[0:1], v2, off
.LBB39_947:
	s_mov_b32 s0, 0
.LBB39_948:
	s_delay_alu instid0(SALU_CYCLE_1)
	s_and_not1_b32 vcc_lo, exec_lo, s0
	s_cbranch_vccnz .LBB39_950
; %bb.949:
	v_cvt_f16_i16_e32 v2, s2
	global_store_b16 v[0:1], v2, off
.LBB39_950:
	s_mov_b32 s0, 0
.LBB39_951:
	s_delay_alu instid0(SALU_CYCLE_1)
	s_and_not1_b32 vcc_lo, exec_lo, s0
	s_cbranch_vccnz .LBB39_967
; %bb.952:
	v_cmp_gt_i16_e32 vcc_lo, 2, v5
	s_mov_b32 s0, -1
	s_cbranch_vccnz .LBB39_962
; %bb.953:
	v_cmp_gt_i16_e32 vcc_lo, 3, v5
	s_cbranch_vccnz .LBB39_959
; %bb.954:
	v_cmp_lt_i16_e32 vcc_lo, 3, v5
	s_cbranch_vccz .LBB39_956
; %bb.955:
	s_sext_i32_i16 s0, s2
	s_delay_alu instid0(SALU_CYCLE_1) | instskip(NEXT) | instid1(SALU_CYCLE_1)
	s_ashr_i32 s1, s0, 31
	v_dual_mov_b32 v2, s0 :: v_dual_mov_b32 v3, s1
	s_mov_b32 s0, 0
	global_store_b64 v[0:1], v[2:3], off
.LBB39_956:
	s_and_not1_b32 vcc_lo, exec_lo, s0
	s_cbranch_vccnz .LBB39_958
; %bb.957:
	s_sext_i32_i16 s0, s2
	s_delay_alu instid0(SALU_CYCLE_1)
	v_mov_b32_e32 v2, s0
	global_store_b32 v[0:1], v2, off
.LBB39_958:
	s_mov_b32 s0, 0
.LBB39_959:
	s_delay_alu instid0(SALU_CYCLE_1)
	s_and_not1_b32 vcc_lo, exec_lo, s0
	s_cbranch_vccnz .LBB39_961
; %bb.960:
	v_mov_b32_e32 v2, s2
	global_store_b16 v[0:1], v2, off
.LBB39_961:
	s_mov_b32 s0, 0
.LBB39_962:
	s_delay_alu instid0(SALU_CYCLE_1)
	s_and_not1_b32 vcc_lo, exec_lo, s0
	s_cbranch_vccnz .LBB39_967
; %bb.963:
	v_cmp_lt_i16_e32 vcc_lo, 0, v5
	s_mov_b32 s0, -1
	s_cbranch_vccz .LBB39_965
; %bb.964:
	v_mov_b32_e32 v2, s2
	s_mov_b32 s0, 0
	global_store_b8 v[0:1], v2, off
.LBB39_965:
	s_and_not1_b32 vcc_lo, exec_lo, s0
	s_cbranch_vccnz .LBB39_967
; %bb.966:
	v_mov_b32_e32 v2, s2
	global_store_b8 v[0:1], v2, off
	s_nop 0
	s_sendmsg sendmsg(MSG_DEALLOC_VGPRS)
	s_endpgm
.LBB39_967:
	s_nop 0
	s_sendmsg sendmsg(MSG_DEALLOC_VGPRS)
	s_endpgm
.LBB39_968:
	s_cbranch_execnz .LBB39_970
; %bb.969:
	s_or_b32 s3, s3, exec_lo
	s_cbranch_execz .LBB39_852
	s_branch .LBB39_853
.LBB39_970:
	s_trap 2
	s_sendmsg_rtn_b32 s0, sendmsg(MSG_RTN_GET_DOORBELL)
	s_mov_b32 ttmp2, m0
	s_waitcnt lgkmcnt(0)
	s_and_b32 s0, s0, 0x3ff
	s_delay_alu instid0(SALU_CYCLE_1) | instskip(NEXT) | instid1(SALU_CYCLE_1)
	s_bitset1_b32 s0, 10
	s_mov_b32 m0, s0
	s_sendmsg sendmsg(MSG_INTERRUPT)
	s_mov_b32 m0, ttmp2
.LBB39_971:                             ; =>This Inner Loop Header: Depth=1
	s_sethalt 5
	s_branch .LBB39_971
.LBB39_972:
	s_mov_b32 s8, -1
	s_mov_b32 s5, 0
                                        ; implicit-def: $sgpr9
.LBB39_973:
	v_mov_b32_e32 v2, s9
	s_and_not1_b32 vcc_lo, exec_lo, s8
                                        ; implicit-def: $sgpr8
	s_cbranch_vccnz .LBB39_975
; %bb.974:
	v_add_f32_e64 v2, 0x46000000, |s1|
	s_mov_b32 s8, 0
	s_delay_alu instid0(VALU_DEP_1) | instskip(NEXT) | instid1(VALU_DEP_1)
	v_and_b32_e32 v2, 0xff, v2
	v_cmp_ne_u32_e64 s5, 0, v2
.LBB39_975:
	v_mov_b32_e32 v3, s8
	s_delay_alu instid0(VALU_DEP_2)
	s_and_not1_b32 vcc_lo, exec_lo, s5
	s_cbranch_vccnz .LBB39_977
; %bb.976:
	s_lshr_b32 s1, s1, 24
	s_delay_alu instid0(SALU_CYCLE_1) | instskip(NEXT) | instid1(SALU_CYCLE_1)
	s_and_b32 s1, s1, 0x80
	v_or_b32_e32 v3, s1, v2
.LBB39_977:
	global_store_b8 v[0:1], v3, off
.LBB39_978:
	s_mov_b32 s1, 0
.LBB39_979:
	s_delay_alu instid0(SALU_CYCLE_1)
	s_and_b32 vcc_lo, exec_lo, s1
	s_cbranch_vccz .LBB39_1025
; %bb.980:
	v_cmp_lt_i16_e32 vcc_lo, 22, v5
	s_mov_b32 s1, -1
	s_cbranch_vccz .LBB39_1018
; %bb.981:
	v_cmp_gt_i16_e32 vcc_lo, 24, v5
	s_cbranch_vccnz .LBB39_1005
; %bb.982:
	v_cmp_lt_i16_e32 vcc_lo, 24, v5
	s_cbranch_vccz .LBB39_992
; %bb.983:
	s_sext_i32_i16 s1, s2
	v_mov_b32_e32 v3, 0x80
	v_cvt_f32_i32_e32 v2, s1
	s_delay_alu instid0(VALU_DEP_1) | instskip(NEXT) | instid1(VALU_DEP_1)
	v_readfirstlane_b32 s1, v2
	s_and_b32 s4, s1, 0x7fffffff
	s_delay_alu instid0(SALU_CYCLE_1)
	s_cmp_gt_u32 s4, 0x477fffff
	s_cbranch_scc1 .LBB39_991
; %bb.984:
	s_cmp_gt_u32 s4, 0x37ffffff
	s_cbranch_scc0 .LBB39_986
; %bb.985:
	s_bfe_u32 s4, s1, 0x10015
	s_mov_b32 s5, 0
	s_add_i32 s4, s1, s4
	s_delay_alu instid0(SALU_CYCLE_1) | instskip(NEXT) | instid1(SALU_CYCLE_1)
	s_add_i32 s4, s4, 0x88fffff
	s_lshr_b32 s8, s4, 21
	s_mov_b32 s4, -1
	s_branch .LBB39_987
.LBB39_986:
	s_mov_b32 s5, -1
	s_mov_b32 s4, 0
                                        ; implicit-def: $sgpr8
.LBB39_987:
	v_mov_b32_e32 v2, s8
	s_and_not1_b32 vcc_lo, exec_lo, s5
                                        ; implicit-def: $sgpr5
	s_cbranch_vccnz .LBB39_989
; %bb.988:
	v_add_f32_e64 v2, 0x42800000, |s1|
	s_mov_b32 s5, 0
	s_delay_alu instid0(VALU_DEP_1) | instskip(NEXT) | instid1(VALU_DEP_1)
	v_and_b32_e32 v2, 0xff, v2
	v_cmp_ne_u32_e64 s4, 0, v2
.LBB39_989:
	v_mov_b32_e32 v3, s5
	s_delay_alu instid0(VALU_DEP_2)
	s_and_not1_b32 vcc_lo, exec_lo, s4
	s_cbranch_vccnz .LBB39_991
; %bb.990:
	s_lshr_b32 s1, s1, 24
	s_delay_alu instid0(SALU_CYCLE_1) | instskip(NEXT) | instid1(SALU_CYCLE_1)
	s_and_b32 s1, s1, 0x80
	v_or_b32_e32 v3, s1, v2
.LBB39_991:
	s_mov_b32 s1, 0
	global_store_b8 v[0:1], v3, off
.LBB39_992:
	s_and_b32 vcc_lo, exec_lo, s1
	s_cbranch_vccz .LBB39_1004
; %bb.993:
	s_sext_i32_i16 s1, s2
	s_delay_alu instid0(SALU_CYCLE_1) | instskip(NEXT) | instid1(VALU_DEP_1)
	v_cvt_f32_i32_e32 v2, s1
	v_readfirstlane_b32 s1, v2
	s_delay_alu instid0(VALU_DEP_1) | instskip(NEXT) | instid1(SALU_CYCLE_1)
	s_and_b32 s4, s1, 0x7fffffff
	s_cmp_lt_u32 s4, 0x43f00000
	s_cbranch_scc0 .LBB39_996
; %bb.994:
	s_cmp_gt_u32 s4, 0x3c7fffff
	s_cbranch_scc0 .LBB39_997
; %bb.995:
	s_bfe_u32 s5, s1, 0x10014
	s_delay_alu instid0(SALU_CYCLE_1) | instskip(NEXT) | instid1(SALU_CYCLE_1)
	s_add_i32 s5, s1, s5
	s_add_i32 s5, s5, 0x407ffff
	s_delay_alu instid0(SALU_CYCLE_1)
	s_and_b32 s8, s5, 0xff00000
	s_lshr_b32 s5, s5, 20
	s_cmp_lg_u32 s8, 0x7f00000
	s_cselect_b32 s8, s5, 0x7e
	s_mov_b32 s5, 0
	s_branch .LBB39_998
.LBB39_996:
	s_mov_b32 s5, -1
                                        ; implicit-def: $vgpr3
	s_branch .LBB39_1001
.LBB39_997:
	s_mov_b32 s5, -1
                                        ; implicit-def: $sgpr8
.LBB39_998:
	v_mov_b32_e32 v3, s8
	s_and_not1_b32 vcc_lo, exec_lo, s5
	s_cbranch_vccnz .LBB39_1000
; %bb.999:
	v_add_f32_e64 v3, 0x46800000, |v2|
.LBB39_1000:
	s_mov_b32 s5, 0
.LBB39_1001:
	s_delay_alu instid0(SALU_CYCLE_1)
	s_and_not1_b32 vcc_lo, exec_lo, s5
	s_cbranch_vccnz .LBB39_1003
; %bb.1002:
	s_cmp_gt_u32 s4, 0x7f800000
	s_movk_i32 s4, 0x7f
	s_delay_alu instid0(SALU_CYCLE_1) | instskip(NEXT) | instid1(SALU_CYCLE_1)
	s_cselect_b32 s4, s4, 0x7e
	v_mov_b32_e32 v3, s4
.LBB39_1003:
	s_lshr_b32 s1, s1, 24
	s_delay_alu instid0(SALU_CYCLE_1)
	s_and_b32 s1, s1, 0x80
	s_delay_alu instid0(VALU_DEP_1) | instid1(SALU_CYCLE_1)
	v_or_b32_e32 v2, s1, v3
	global_store_b8 v[0:1], v2, off
.LBB39_1004:
	s_mov_b32 s1, 0
.LBB39_1005:
	s_delay_alu instid0(SALU_CYCLE_1)
	s_and_not1_b32 vcc_lo, exec_lo, s1
	s_cbranch_vccnz .LBB39_1017
; %bb.1006:
	s_sext_i32_i16 s1, s2
	s_delay_alu instid0(SALU_CYCLE_1) | instskip(NEXT) | instid1(VALU_DEP_1)
	v_cvt_f32_i32_e32 v2, s1
	v_readfirstlane_b32 s1, v2
	s_delay_alu instid0(VALU_DEP_1) | instskip(NEXT) | instid1(SALU_CYCLE_1)
	s_and_b32 s4, s1, 0x7fffffff
	s_cmp_lt_u32 s4, 0x47800000
	s_cbranch_scc0 .LBB39_1009
; %bb.1007:
	s_cmp_gt_u32 s4, 0x387fffff
	s_cbranch_scc0 .LBB39_1010
; %bb.1008:
	s_bfe_u32 s5, s1, 0x10015
	s_delay_alu instid0(SALU_CYCLE_1) | instskip(NEXT) | instid1(SALU_CYCLE_1)
	s_add_i32 s5, s1, s5
	s_add_i32 s5, s5, 0x80fffff
	s_delay_alu instid0(SALU_CYCLE_1)
	s_lshr_b32 s8, s5, 21
	s_mov_b32 s5, 0
	s_branch .LBB39_1011
.LBB39_1009:
	s_mov_b32 s5, -1
                                        ; implicit-def: $vgpr3
	s_branch .LBB39_1014
.LBB39_1010:
	s_mov_b32 s5, -1
                                        ; implicit-def: $sgpr8
.LBB39_1011:
	v_mov_b32_e32 v3, s8
	s_and_not1_b32 vcc_lo, exec_lo, s5
	s_cbranch_vccnz .LBB39_1013
; %bb.1012:
	v_add_f32_e64 v3, 0x43000000, |v2|
.LBB39_1013:
	s_mov_b32 s5, 0
.LBB39_1014:
	s_delay_alu instid0(SALU_CYCLE_1)
	s_and_not1_b32 vcc_lo, exec_lo, s5
	s_cbranch_vccnz .LBB39_1016
; %bb.1015:
	s_cmp_gt_u32 s4, 0x7f800000
	s_movk_i32 s4, 0x7f
	s_delay_alu instid0(SALU_CYCLE_1) | instskip(NEXT) | instid1(SALU_CYCLE_1)
	s_cselect_b32 s4, s4, 0x7c
	v_mov_b32_e32 v3, s4
.LBB39_1016:
	s_lshr_b32 s1, s1, 24
	s_delay_alu instid0(SALU_CYCLE_1)
	s_and_b32 s1, s1, 0x80
	s_delay_alu instid0(VALU_DEP_1) | instid1(SALU_CYCLE_1)
	v_or_b32_e32 v2, s1, v3
	global_store_b8 v[0:1], v2, off
.LBB39_1017:
	s_mov_b32 s1, 0
.LBB39_1018:
	s_delay_alu instid0(SALU_CYCLE_1)
	s_and_not1_b32 vcc_lo, exec_lo, s1
	s_mov_b32 s4, 0
	s_cbranch_vccnz .LBB39_1025
; %bb.1019:
	v_cmp_lt_i16_e32 vcc_lo, 14, v5
	s_mov_b32 s1, -1
	s_cbranch_vccz .LBB39_1023
; %bb.1020:
	v_cmp_eq_u16_e32 vcc_lo, 15, v5
	s_mov_b32 s0, -1
	s_cbranch_vccz .LBB39_1022
; %bb.1021:
	s_sext_i32_i16 s0, s2
	s_delay_alu instid0(SALU_CYCLE_1) | instskip(SKIP_1) | instid1(VALU_DEP_1)
	v_cvt_f32_i32_e32 v2, s0
	s_mov_b32 s0, 0
	v_bfe_u32 v3, v2, 16, 1
	s_delay_alu instid0(VALU_DEP_1) | instskip(NEXT) | instid1(VALU_DEP_1)
	v_add_nc_u32_e32 v2, v2, v3
	v_add_nc_u32_e32 v2, 0x7fff, v2
	global_store_d16_hi_b16 v[0:1], v2, off
.LBB39_1022:
	s_mov_b32 s1, 0
.LBB39_1023:
	s_delay_alu instid0(SALU_CYCLE_1)
	s_and_b32 vcc_lo, exec_lo, s1
	s_cbranch_vccz .LBB39_1025
; %bb.1024:
	v_cmp_ne_u16_e64 s0, 11, v5
	s_mov_b32 s4, -1
.LBB39_1025:
	s_delay_alu instid0(VALU_DEP_1)
	s_and_b32 vcc_lo, exec_lo, s0
	s_cbranch_vccnz .LBB39_1027
.LBB39_1026:
	s_mov_b32 s0, 0
	s_branch .LBB39_924
.LBB39_1027:
	s_cbranch_execnz .LBB39_1029
; %bb.1028:
	s_mov_b32 s4, 0
	s_or_b32 s3, s3, exec_lo
	s_branch .LBB39_1026
.LBB39_1029:
	s_trap 2
	s_sendmsg_rtn_b32 s0, sendmsg(MSG_RTN_GET_DOORBELL)
	s_mov_b32 ttmp2, m0
	s_waitcnt lgkmcnt(0)
	s_and_b32 s0, s0, 0x3ff
	s_delay_alu instid0(SALU_CYCLE_1) | instskip(NEXT) | instid1(SALU_CYCLE_1)
	s_bitset1_b32 s0, 10
	s_mov_b32 m0, s0
	s_sendmsg sendmsg(MSG_INTERRUPT)
	s_mov_b32 m0, ttmp2
.LBB39_1030:                            ; =>This Inner Loop Header: Depth=1
	s_sethalt 5
	s_branch .LBB39_1030
	.section	.rodata,"a",@progbits
	.p2align	6, 0x0
	.amdhsa_kernel _ZN2at6native32elementwise_kernel_manual_unrollILi128ELi4EZNS0_15gpu_kernel_implINS0_11FillFunctorIsEEEEvRNS_18TensorIteratorBaseERKT_EUlibE0_EEviT1_
		.amdhsa_group_segment_fixed_size 0
		.amdhsa_private_segment_fixed_size 0
		.amdhsa_kernarg_size 288
		.amdhsa_user_sgpr_count 15
		.amdhsa_user_sgpr_dispatch_ptr 0
		.amdhsa_user_sgpr_queue_ptr 0
		.amdhsa_user_sgpr_kernarg_segment_ptr 1
		.amdhsa_user_sgpr_dispatch_id 0
		.amdhsa_user_sgpr_private_segment_size 0
		.amdhsa_wavefront_size32 1
		.amdhsa_uses_dynamic_stack 0
		.amdhsa_enable_private_segment 0
		.amdhsa_system_sgpr_workgroup_id_x 1
		.amdhsa_system_sgpr_workgroup_id_y 0
		.amdhsa_system_sgpr_workgroup_id_z 0
		.amdhsa_system_sgpr_workgroup_info 0
		.amdhsa_system_vgpr_workitem_id 0
		.amdhsa_next_free_vgpr 21
		.amdhsa_next_free_sgpr 80
		.amdhsa_reserve_vcc 1
		.amdhsa_float_round_mode_32 0
		.amdhsa_float_round_mode_16_64 0
		.amdhsa_float_denorm_mode_32 3
		.amdhsa_float_denorm_mode_16_64 3
		.amdhsa_dx10_clamp 1
		.amdhsa_ieee_mode 1
		.amdhsa_fp16_overflow 0
		.amdhsa_workgroup_processor_mode 1
		.amdhsa_memory_ordered 1
		.amdhsa_forward_progress 0
		.amdhsa_shared_vgpr_count 0
		.amdhsa_exception_fp_ieee_invalid_op 0
		.amdhsa_exception_fp_denorm_src 0
		.amdhsa_exception_fp_ieee_div_zero 0
		.amdhsa_exception_fp_ieee_overflow 0
		.amdhsa_exception_fp_ieee_underflow 0
		.amdhsa_exception_fp_ieee_inexact 0
		.amdhsa_exception_int_div_zero 0
	.end_amdhsa_kernel
	.section	.text._ZN2at6native32elementwise_kernel_manual_unrollILi128ELi4EZNS0_15gpu_kernel_implINS0_11FillFunctorIsEEEEvRNS_18TensorIteratorBaseERKT_EUlibE0_EEviT1_,"axG",@progbits,_ZN2at6native32elementwise_kernel_manual_unrollILi128ELi4EZNS0_15gpu_kernel_implINS0_11FillFunctorIsEEEEvRNS_18TensorIteratorBaseERKT_EUlibE0_EEviT1_,comdat
.Lfunc_end39:
	.size	_ZN2at6native32elementwise_kernel_manual_unrollILi128ELi4EZNS0_15gpu_kernel_implINS0_11FillFunctorIsEEEEvRNS_18TensorIteratorBaseERKT_EUlibE0_EEviT1_, .Lfunc_end39-_ZN2at6native32elementwise_kernel_manual_unrollILi128ELi4EZNS0_15gpu_kernel_implINS0_11FillFunctorIsEEEEvRNS_18TensorIteratorBaseERKT_EUlibE0_EEviT1_
                                        ; -- End function
	.section	.AMDGPU.csdata,"",@progbits
; Kernel info:
; codeLenInByte = 19480
; NumSgprs: 82
; NumVgprs: 21
; ScratchSize: 0
; MemoryBound: 0
; FloatMode: 240
; IeeeMode: 1
; LDSByteSize: 0 bytes/workgroup (compile time only)
; SGPRBlocks: 10
; VGPRBlocks: 2
; NumSGPRsForWavesPerEU: 82
; NumVGPRsForWavesPerEU: 21
; Occupancy: 16
; WaveLimiterHint : 1
; COMPUTE_PGM_RSRC2:SCRATCH_EN: 0
; COMPUTE_PGM_RSRC2:USER_SGPR: 15
; COMPUTE_PGM_RSRC2:TRAP_HANDLER: 0
; COMPUTE_PGM_RSRC2:TGID_X_EN: 1
; COMPUTE_PGM_RSRC2:TGID_Y_EN: 0
; COMPUTE_PGM_RSRC2:TGID_Z_EN: 0
; COMPUTE_PGM_RSRC2:TIDIG_COMP_CNT: 0
	.section	.text._ZN2at6native29vectorized_elementwise_kernelILi16ENS0_11FillFunctorIdEESt5arrayIPcLm1EEEEviT0_T1_,"axG",@progbits,_ZN2at6native29vectorized_elementwise_kernelILi16ENS0_11FillFunctorIdEESt5arrayIPcLm1EEEEviT0_T1_,comdat
	.protected	_ZN2at6native29vectorized_elementwise_kernelILi16ENS0_11FillFunctorIdEESt5arrayIPcLm1EEEEviT0_T1_ ; -- Begin function _ZN2at6native29vectorized_elementwise_kernelILi16ENS0_11FillFunctorIdEESt5arrayIPcLm1EEEEviT0_T1_
	.globl	_ZN2at6native29vectorized_elementwise_kernelILi16ENS0_11FillFunctorIdEESt5arrayIPcLm1EEEEviT0_T1_
	.p2align	8
	.type	_ZN2at6native29vectorized_elementwise_kernelILi16ENS0_11FillFunctorIdEESt5arrayIPcLm1EEEEviT0_T1_,@function
_ZN2at6native29vectorized_elementwise_kernelILi16ENS0_11FillFunctorIdEESt5arrayIPcLm1EEEEviT0_T1_: ; @_ZN2at6native29vectorized_elementwise_kernelILi16ENS0_11FillFunctorIdEESt5arrayIPcLm1EEEEviT0_T1_
; %bb.0:
	s_clause 0x1
	s_load_b32 s5, s[0:1], 0x0
	s_load_b128 s[0:3], s[0:1], 0x8
	s_lshl_b32 s4, s15, 10
	s_waitcnt lgkmcnt(0)
	s_sub_i32 s6, s5, s4
	s_mov_b32 s5, -1
	s_cmpk_gt_i32 s6, 0x3ff
	s_cbranch_scc0 .LBB40_2
; %bb.1:
	s_mov_b32 s8, s0
	s_ashr_i32 s5, s4, 31
	s_mov_b32 s9, s1
	s_mov_b32 s10, s0
	;; [unrolled: 1-line block ×3, first 2 shown]
	s_delay_alu instid0(SALU_CYCLE_1)
	v_dual_mov_b32 v1, s8 :: v_dual_mov_b32 v4, s11
	s_lshl_b64 s[12:13], s[4:5], 3
	v_dual_mov_b32 v2, s9 :: v_dual_lshlrev_b32 v5, 5, v0
	v_mov_b32_e32 v3, s10
	s_add_u32 s8, s2, s12
	s_addc_u32 s9, s3, s13
	s_mov_b32 s5, 0
	s_clause 0x1
	global_store_b128 v5, v[1:4], s[8:9]
	global_store_b128 v5, v[1:4], s[8:9] offset:16
.LBB40_2:
	s_and_not1_b32 vcc_lo, exec_lo, s5
	s_cbranch_vccnz .LBB40_8
; %bb.3:
	s_mov_b32 s5, exec_lo
	v_cmpx_gt_i32_e64 s6, v0
	s_cbranch_execnz .LBB40_9
; %bb.4:
	s_or_b32 exec_lo, exec_lo, s5
	s_delay_alu instid0(SALU_CYCLE_1)
	s_mov_b32 s5, exec_lo
	v_cmpx_gt_i32_e64 s6, v0
	s_cbranch_execnz .LBB40_10
.LBB40_5:
	s_or_b32 exec_lo, exec_lo, s5
	s_delay_alu instid0(SALU_CYCLE_1)
	s_mov_b32 s5, exec_lo
	v_cmpx_gt_i32_e64 s6, v0
	s_cbranch_execnz .LBB40_11
.LBB40_6:
	s_or_b32 exec_lo, exec_lo, s5
	s_delay_alu instid0(SALU_CYCLE_1)
	s_mov_b32 s5, exec_lo
	v_cmpx_gt_i32_e64 s6, v0
	s_cbranch_execz .LBB40_8
.LBB40_7:
	v_dual_mov_b32 v1, 0 :: v_dual_add_nc_u32 v0, s4, v0
	v_dual_mov_b32 v3, s1 :: v_dual_mov_b32 v2, s0
	s_delay_alu instid0(VALU_DEP_2) | instskip(NEXT) | instid1(VALU_DEP_1)
	v_lshlrev_b64 v[0:1], 3, v[0:1]
	v_add_co_u32 v0, vcc_lo, s2, v0
	s_delay_alu instid0(VALU_DEP_2)
	v_add_co_ci_u32_e32 v1, vcc_lo, s3, v1, vcc_lo
	global_store_b64 v[0:1], v[2:3], off
.LBB40_8:
	s_nop 0
	s_sendmsg sendmsg(MSG_DEALLOC_VGPRS)
	s_endpgm
.LBB40_9:
	v_or_b32_e32 v1, s4, v0
	v_dual_mov_b32 v2, 0 :: v_dual_mov_b32 v3, s0
	v_or_b32_e32 v0, 0x100, v0
	v_mov_b32_e32 v4, s1
	s_delay_alu instid0(VALU_DEP_3) | instskip(NEXT) | instid1(VALU_DEP_1)
	v_lshlrev_b64 v[1:2], 3, v[1:2]
	v_add_co_u32 v1, vcc_lo, s2, v1
	s_delay_alu instid0(VALU_DEP_2) | instskip(SKIP_2) | instid1(SALU_CYCLE_1)
	v_add_co_ci_u32_e32 v2, vcc_lo, s3, v2, vcc_lo
	global_store_b64 v[1:2], v[3:4], off
	s_or_b32 exec_lo, exec_lo, s5
	s_mov_b32 s5, exec_lo
	v_cmpx_gt_i32_e64 s6, v0
	s_cbranch_execz .LBB40_5
.LBB40_10:
	v_dual_mov_b32 v2, 0 :: v_dual_add_nc_u32 v1, s4, v0
	v_dual_mov_b32 v4, s1 :: v_dual_mov_b32 v3, s0
	v_add_nc_u32_e32 v0, 0x100, v0
	s_delay_alu instid0(VALU_DEP_3) | instskip(NEXT) | instid1(VALU_DEP_1)
	v_lshlrev_b64 v[1:2], 3, v[1:2]
	v_add_co_u32 v1, vcc_lo, s2, v1
	s_delay_alu instid0(VALU_DEP_2) | instskip(SKIP_2) | instid1(SALU_CYCLE_1)
	v_add_co_ci_u32_e32 v2, vcc_lo, s3, v2, vcc_lo
	global_store_b64 v[1:2], v[3:4], off
	s_or_b32 exec_lo, exec_lo, s5
	s_mov_b32 s5, exec_lo
	v_cmpx_gt_i32_e64 s6, v0
	s_cbranch_execz .LBB40_6
.LBB40_11:
	v_dual_mov_b32 v2, 0 :: v_dual_add_nc_u32 v1, s4, v0
	v_dual_mov_b32 v4, s1 :: v_dual_mov_b32 v3, s0
	v_add_nc_u32_e32 v0, 0x100, v0
	s_delay_alu instid0(VALU_DEP_3) | instskip(NEXT) | instid1(VALU_DEP_1)
	v_lshlrev_b64 v[1:2], 3, v[1:2]
	v_add_co_u32 v1, vcc_lo, s2, v1
	s_delay_alu instid0(VALU_DEP_2) | instskip(SKIP_2) | instid1(SALU_CYCLE_1)
	v_add_co_ci_u32_e32 v2, vcc_lo, s3, v2, vcc_lo
	global_store_b64 v[1:2], v[3:4], off
	s_or_b32 exec_lo, exec_lo, s5
	s_mov_b32 s5, exec_lo
	v_cmpx_gt_i32_e64 s6, v0
	s_cbranch_execnz .LBB40_7
	s_branch .LBB40_8
	.section	.rodata,"a",@progbits
	.p2align	6, 0x0
	.amdhsa_kernel _ZN2at6native29vectorized_elementwise_kernelILi16ENS0_11FillFunctorIdEESt5arrayIPcLm1EEEEviT0_T1_
		.amdhsa_group_segment_fixed_size 0
		.amdhsa_private_segment_fixed_size 0
		.amdhsa_kernarg_size 24
		.amdhsa_user_sgpr_count 15
		.amdhsa_user_sgpr_dispatch_ptr 0
		.amdhsa_user_sgpr_queue_ptr 0
		.amdhsa_user_sgpr_kernarg_segment_ptr 1
		.amdhsa_user_sgpr_dispatch_id 0
		.amdhsa_user_sgpr_private_segment_size 0
		.amdhsa_wavefront_size32 1
		.amdhsa_uses_dynamic_stack 0
		.amdhsa_enable_private_segment 0
		.amdhsa_system_sgpr_workgroup_id_x 1
		.amdhsa_system_sgpr_workgroup_id_y 0
		.amdhsa_system_sgpr_workgroup_id_z 0
		.amdhsa_system_sgpr_workgroup_info 0
		.amdhsa_system_vgpr_workitem_id 0
		.amdhsa_next_free_vgpr 6
		.amdhsa_next_free_sgpr 16
		.amdhsa_reserve_vcc 1
		.amdhsa_float_round_mode_32 0
		.amdhsa_float_round_mode_16_64 0
		.amdhsa_float_denorm_mode_32 3
		.amdhsa_float_denorm_mode_16_64 3
		.amdhsa_dx10_clamp 1
		.amdhsa_ieee_mode 1
		.amdhsa_fp16_overflow 0
		.amdhsa_workgroup_processor_mode 1
		.amdhsa_memory_ordered 1
		.amdhsa_forward_progress 0
		.amdhsa_shared_vgpr_count 0
		.amdhsa_exception_fp_ieee_invalid_op 0
		.amdhsa_exception_fp_denorm_src 0
		.amdhsa_exception_fp_ieee_div_zero 0
		.amdhsa_exception_fp_ieee_overflow 0
		.amdhsa_exception_fp_ieee_underflow 0
		.amdhsa_exception_fp_ieee_inexact 0
		.amdhsa_exception_int_div_zero 0
	.end_amdhsa_kernel
	.section	.text._ZN2at6native29vectorized_elementwise_kernelILi16ENS0_11FillFunctorIdEESt5arrayIPcLm1EEEEviT0_T1_,"axG",@progbits,_ZN2at6native29vectorized_elementwise_kernelILi16ENS0_11FillFunctorIdEESt5arrayIPcLm1EEEEviT0_T1_,comdat
.Lfunc_end40:
	.size	_ZN2at6native29vectorized_elementwise_kernelILi16ENS0_11FillFunctorIdEESt5arrayIPcLm1EEEEviT0_T1_, .Lfunc_end40-_ZN2at6native29vectorized_elementwise_kernelILi16ENS0_11FillFunctorIdEESt5arrayIPcLm1EEEEviT0_T1_
                                        ; -- End function
	.section	.AMDGPU.csdata,"",@progbits
; Kernel info:
; codeLenInByte = 528
; NumSgprs: 18
; NumVgprs: 6
; ScratchSize: 0
; MemoryBound: 0
; FloatMode: 240
; IeeeMode: 1
; LDSByteSize: 0 bytes/workgroup (compile time only)
; SGPRBlocks: 2
; VGPRBlocks: 0
; NumSGPRsForWavesPerEU: 18
; NumVGPRsForWavesPerEU: 6
; Occupancy: 16
; WaveLimiterHint : 0
; COMPUTE_PGM_RSRC2:SCRATCH_EN: 0
; COMPUTE_PGM_RSRC2:USER_SGPR: 15
; COMPUTE_PGM_RSRC2:TRAP_HANDLER: 0
; COMPUTE_PGM_RSRC2:TGID_X_EN: 1
; COMPUTE_PGM_RSRC2:TGID_Y_EN: 0
; COMPUTE_PGM_RSRC2:TGID_Z_EN: 0
; COMPUTE_PGM_RSRC2:TIDIG_COMP_CNT: 0
	.section	.text._ZN2at6native29vectorized_elementwise_kernelILi8ENS0_11FillFunctorIdEESt5arrayIPcLm1EEEEviT0_T1_,"axG",@progbits,_ZN2at6native29vectorized_elementwise_kernelILi8ENS0_11FillFunctorIdEESt5arrayIPcLm1EEEEviT0_T1_,comdat
	.protected	_ZN2at6native29vectorized_elementwise_kernelILi8ENS0_11FillFunctorIdEESt5arrayIPcLm1EEEEviT0_T1_ ; -- Begin function _ZN2at6native29vectorized_elementwise_kernelILi8ENS0_11FillFunctorIdEESt5arrayIPcLm1EEEEviT0_T1_
	.globl	_ZN2at6native29vectorized_elementwise_kernelILi8ENS0_11FillFunctorIdEESt5arrayIPcLm1EEEEviT0_T1_
	.p2align	8
	.type	_ZN2at6native29vectorized_elementwise_kernelILi8ENS0_11FillFunctorIdEESt5arrayIPcLm1EEEEviT0_T1_,@function
_ZN2at6native29vectorized_elementwise_kernelILi8ENS0_11FillFunctorIdEESt5arrayIPcLm1EEEEviT0_T1_: ; @_ZN2at6native29vectorized_elementwise_kernelILi8ENS0_11FillFunctorIdEESt5arrayIPcLm1EEEEviT0_T1_
; %bb.0:
	s_clause 0x1
	s_load_b32 s5, s[0:1], 0x0
	s_load_b128 s[0:3], s[0:1], 0x8
	s_lshl_b32 s4, s15, 10
	s_waitcnt lgkmcnt(0)
	s_sub_i32 s6, s5, s4
	s_mov_b32 s5, -1
	s_cmpk_gt_i32 s6, 0x3ff
	s_cbranch_scc0 .LBB41_2
; %bb.1:
	s_mov_b32 s8, s0
	s_ashr_i32 s5, s4, 31
	s_mov_b32 s9, s1
	s_mov_b32 s10, s0
	;; [unrolled: 1-line block ×3, first 2 shown]
	s_delay_alu instid0(SALU_CYCLE_1)
	v_dual_mov_b32 v1, s8 :: v_dual_mov_b32 v4, s11
	s_lshl_b64 s[12:13], s[4:5], 3
	v_dual_mov_b32 v2, s9 :: v_dual_lshlrev_b32 v5, 5, v0
	v_mov_b32_e32 v3, s10
	s_add_u32 s8, s2, s12
	s_addc_u32 s9, s3, s13
	s_mov_b32 s5, 0
	s_clause 0x1
	global_store_b128 v5, v[1:4], s[8:9]
	global_store_b128 v5, v[1:4], s[8:9] offset:16
.LBB41_2:
	s_and_not1_b32 vcc_lo, exec_lo, s5
	s_cbranch_vccnz .LBB41_8
; %bb.3:
	s_mov_b32 s5, exec_lo
	v_cmpx_gt_i32_e64 s6, v0
	s_cbranch_execnz .LBB41_9
; %bb.4:
	s_or_b32 exec_lo, exec_lo, s5
	s_delay_alu instid0(SALU_CYCLE_1)
	s_mov_b32 s5, exec_lo
	v_cmpx_gt_i32_e64 s6, v0
	s_cbranch_execnz .LBB41_10
.LBB41_5:
	s_or_b32 exec_lo, exec_lo, s5
	s_delay_alu instid0(SALU_CYCLE_1)
	s_mov_b32 s5, exec_lo
	v_cmpx_gt_i32_e64 s6, v0
	s_cbranch_execnz .LBB41_11
.LBB41_6:
	s_or_b32 exec_lo, exec_lo, s5
	s_delay_alu instid0(SALU_CYCLE_1)
	s_mov_b32 s5, exec_lo
	v_cmpx_gt_i32_e64 s6, v0
	s_cbranch_execz .LBB41_8
.LBB41_7:
	v_dual_mov_b32 v1, 0 :: v_dual_add_nc_u32 v0, s4, v0
	v_dual_mov_b32 v3, s1 :: v_dual_mov_b32 v2, s0
	s_delay_alu instid0(VALU_DEP_2) | instskip(NEXT) | instid1(VALU_DEP_1)
	v_lshlrev_b64 v[0:1], 3, v[0:1]
	v_add_co_u32 v0, vcc_lo, s2, v0
	s_delay_alu instid0(VALU_DEP_2)
	v_add_co_ci_u32_e32 v1, vcc_lo, s3, v1, vcc_lo
	global_store_b64 v[0:1], v[2:3], off
.LBB41_8:
	s_nop 0
	s_sendmsg sendmsg(MSG_DEALLOC_VGPRS)
	s_endpgm
.LBB41_9:
	v_or_b32_e32 v1, s4, v0
	v_dual_mov_b32 v2, 0 :: v_dual_mov_b32 v3, s0
	v_or_b32_e32 v0, 0x100, v0
	v_mov_b32_e32 v4, s1
	s_delay_alu instid0(VALU_DEP_3) | instskip(NEXT) | instid1(VALU_DEP_1)
	v_lshlrev_b64 v[1:2], 3, v[1:2]
	v_add_co_u32 v1, vcc_lo, s2, v1
	s_delay_alu instid0(VALU_DEP_2) | instskip(SKIP_2) | instid1(SALU_CYCLE_1)
	v_add_co_ci_u32_e32 v2, vcc_lo, s3, v2, vcc_lo
	global_store_b64 v[1:2], v[3:4], off
	s_or_b32 exec_lo, exec_lo, s5
	s_mov_b32 s5, exec_lo
	v_cmpx_gt_i32_e64 s6, v0
	s_cbranch_execz .LBB41_5
.LBB41_10:
	v_dual_mov_b32 v2, 0 :: v_dual_add_nc_u32 v1, s4, v0
	v_dual_mov_b32 v4, s1 :: v_dual_mov_b32 v3, s0
	v_add_nc_u32_e32 v0, 0x100, v0
	s_delay_alu instid0(VALU_DEP_3) | instskip(NEXT) | instid1(VALU_DEP_1)
	v_lshlrev_b64 v[1:2], 3, v[1:2]
	v_add_co_u32 v1, vcc_lo, s2, v1
	s_delay_alu instid0(VALU_DEP_2) | instskip(SKIP_2) | instid1(SALU_CYCLE_1)
	v_add_co_ci_u32_e32 v2, vcc_lo, s3, v2, vcc_lo
	global_store_b64 v[1:2], v[3:4], off
	s_or_b32 exec_lo, exec_lo, s5
	s_mov_b32 s5, exec_lo
	v_cmpx_gt_i32_e64 s6, v0
	s_cbranch_execz .LBB41_6
.LBB41_11:
	v_dual_mov_b32 v2, 0 :: v_dual_add_nc_u32 v1, s4, v0
	v_dual_mov_b32 v4, s1 :: v_dual_mov_b32 v3, s0
	v_add_nc_u32_e32 v0, 0x100, v0
	s_delay_alu instid0(VALU_DEP_3) | instskip(NEXT) | instid1(VALU_DEP_1)
	v_lshlrev_b64 v[1:2], 3, v[1:2]
	v_add_co_u32 v1, vcc_lo, s2, v1
	s_delay_alu instid0(VALU_DEP_2) | instskip(SKIP_2) | instid1(SALU_CYCLE_1)
	v_add_co_ci_u32_e32 v2, vcc_lo, s3, v2, vcc_lo
	global_store_b64 v[1:2], v[3:4], off
	s_or_b32 exec_lo, exec_lo, s5
	s_mov_b32 s5, exec_lo
	v_cmpx_gt_i32_e64 s6, v0
	s_cbranch_execnz .LBB41_7
	s_branch .LBB41_8
	.section	.rodata,"a",@progbits
	.p2align	6, 0x0
	.amdhsa_kernel _ZN2at6native29vectorized_elementwise_kernelILi8ENS0_11FillFunctorIdEESt5arrayIPcLm1EEEEviT0_T1_
		.amdhsa_group_segment_fixed_size 0
		.amdhsa_private_segment_fixed_size 0
		.amdhsa_kernarg_size 24
		.amdhsa_user_sgpr_count 15
		.amdhsa_user_sgpr_dispatch_ptr 0
		.amdhsa_user_sgpr_queue_ptr 0
		.amdhsa_user_sgpr_kernarg_segment_ptr 1
		.amdhsa_user_sgpr_dispatch_id 0
		.amdhsa_user_sgpr_private_segment_size 0
		.amdhsa_wavefront_size32 1
		.amdhsa_uses_dynamic_stack 0
		.amdhsa_enable_private_segment 0
		.amdhsa_system_sgpr_workgroup_id_x 1
		.amdhsa_system_sgpr_workgroup_id_y 0
		.amdhsa_system_sgpr_workgroup_id_z 0
		.amdhsa_system_sgpr_workgroup_info 0
		.amdhsa_system_vgpr_workitem_id 0
		.amdhsa_next_free_vgpr 6
		.amdhsa_next_free_sgpr 16
		.amdhsa_reserve_vcc 1
		.amdhsa_float_round_mode_32 0
		.amdhsa_float_round_mode_16_64 0
		.amdhsa_float_denorm_mode_32 3
		.amdhsa_float_denorm_mode_16_64 3
		.amdhsa_dx10_clamp 1
		.amdhsa_ieee_mode 1
		.amdhsa_fp16_overflow 0
		.amdhsa_workgroup_processor_mode 1
		.amdhsa_memory_ordered 1
		.amdhsa_forward_progress 0
		.amdhsa_shared_vgpr_count 0
		.amdhsa_exception_fp_ieee_invalid_op 0
		.amdhsa_exception_fp_denorm_src 0
		.amdhsa_exception_fp_ieee_div_zero 0
		.amdhsa_exception_fp_ieee_overflow 0
		.amdhsa_exception_fp_ieee_underflow 0
		.amdhsa_exception_fp_ieee_inexact 0
		.amdhsa_exception_int_div_zero 0
	.end_amdhsa_kernel
	.section	.text._ZN2at6native29vectorized_elementwise_kernelILi8ENS0_11FillFunctorIdEESt5arrayIPcLm1EEEEviT0_T1_,"axG",@progbits,_ZN2at6native29vectorized_elementwise_kernelILi8ENS0_11FillFunctorIdEESt5arrayIPcLm1EEEEviT0_T1_,comdat
.Lfunc_end41:
	.size	_ZN2at6native29vectorized_elementwise_kernelILi8ENS0_11FillFunctorIdEESt5arrayIPcLm1EEEEviT0_T1_, .Lfunc_end41-_ZN2at6native29vectorized_elementwise_kernelILi8ENS0_11FillFunctorIdEESt5arrayIPcLm1EEEEviT0_T1_
                                        ; -- End function
	.section	.AMDGPU.csdata,"",@progbits
; Kernel info:
; codeLenInByte = 528
; NumSgprs: 18
; NumVgprs: 6
; ScratchSize: 0
; MemoryBound: 0
; FloatMode: 240
; IeeeMode: 1
; LDSByteSize: 0 bytes/workgroup (compile time only)
; SGPRBlocks: 2
; VGPRBlocks: 0
; NumSGPRsForWavesPerEU: 18
; NumVGPRsForWavesPerEU: 6
; Occupancy: 16
; WaveLimiterHint : 0
; COMPUTE_PGM_RSRC2:SCRATCH_EN: 0
; COMPUTE_PGM_RSRC2:USER_SGPR: 15
; COMPUTE_PGM_RSRC2:TRAP_HANDLER: 0
; COMPUTE_PGM_RSRC2:TGID_X_EN: 1
; COMPUTE_PGM_RSRC2:TGID_Y_EN: 0
; COMPUTE_PGM_RSRC2:TGID_Z_EN: 0
; COMPUTE_PGM_RSRC2:TIDIG_COMP_CNT: 0
	.section	.text._ZN2at6native29vectorized_elementwise_kernelILi4ENS0_11FillFunctorIdEESt5arrayIPcLm1EEEEviT0_T1_,"axG",@progbits,_ZN2at6native29vectorized_elementwise_kernelILi4ENS0_11FillFunctorIdEESt5arrayIPcLm1EEEEviT0_T1_,comdat
	.protected	_ZN2at6native29vectorized_elementwise_kernelILi4ENS0_11FillFunctorIdEESt5arrayIPcLm1EEEEviT0_T1_ ; -- Begin function _ZN2at6native29vectorized_elementwise_kernelILi4ENS0_11FillFunctorIdEESt5arrayIPcLm1EEEEviT0_T1_
	.globl	_ZN2at6native29vectorized_elementwise_kernelILi4ENS0_11FillFunctorIdEESt5arrayIPcLm1EEEEviT0_T1_
	.p2align	8
	.type	_ZN2at6native29vectorized_elementwise_kernelILi4ENS0_11FillFunctorIdEESt5arrayIPcLm1EEEEviT0_T1_,@function
_ZN2at6native29vectorized_elementwise_kernelILi4ENS0_11FillFunctorIdEESt5arrayIPcLm1EEEEviT0_T1_: ; @_ZN2at6native29vectorized_elementwise_kernelILi4ENS0_11FillFunctorIdEESt5arrayIPcLm1EEEEviT0_T1_
; %bb.0:
	s_clause 0x1
	s_load_b32 s5, s[0:1], 0x0
	s_load_b128 s[0:3], s[0:1], 0x8
	s_lshl_b32 s4, s15, 10
	s_waitcnt lgkmcnt(0)
	s_sub_i32 s6, s5, s4
	s_mov_b32 s5, -1
	s_cmpk_gt_i32 s6, 0x3ff
	s_cbranch_scc0 .LBB42_2
; %bb.1:
	s_mov_b32 s8, s0
	s_ashr_i32 s5, s4, 31
	s_mov_b32 s9, s1
	s_mov_b32 s10, s0
	;; [unrolled: 1-line block ×3, first 2 shown]
	s_delay_alu instid0(SALU_CYCLE_1)
	v_dual_mov_b32 v1, s8 :: v_dual_mov_b32 v4, s11
	s_lshl_b64 s[12:13], s[4:5], 3
	v_dual_mov_b32 v2, s9 :: v_dual_lshlrev_b32 v5, 5, v0
	v_mov_b32_e32 v3, s10
	s_add_u32 s8, s2, s12
	s_addc_u32 s9, s3, s13
	s_mov_b32 s5, 0
	s_clause 0x1
	global_store_b128 v5, v[1:4], s[8:9]
	global_store_b128 v5, v[1:4], s[8:9] offset:16
.LBB42_2:
	s_and_not1_b32 vcc_lo, exec_lo, s5
	s_cbranch_vccnz .LBB42_8
; %bb.3:
	s_mov_b32 s5, exec_lo
	v_cmpx_gt_i32_e64 s6, v0
	s_cbranch_execnz .LBB42_9
; %bb.4:
	s_or_b32 exec_lo, exec_lo, s5
	s_delay_alu instid0(SALU_CYCLE_1)
	s_mov_b32 s5, exec_lo
	v_cmpx_gt_i32_e64 s6, v0
	s_cbranch_execnz .LBB42_10
.LBB42_5:
	s_or_b32 exec_lo, exec_lo, s5
	s_delay_alu instid0(SALU_CYCLE_1)
	s_mov_b32 s5, exec_lo
	v_cmpx_gt_i32_e64 s6, v0
	s_cbranch_execnz .LBB42_11
.LBB42_6:
	s_or_b32 exec_lo, exec_lo, s5
	s_delay_alu instid0(SALU_CYCLE_1)
	s_mov_b32 s5, exec_lo
	v_cmpx_gt_i32_e64 s6, v0
	s_cbranch_execz .LBB42_8
.LBB42_7:
	v_dual_mov_b32 v1, 0 :: v_dual_add_nc_u32 v0, s4, v0
	v_dual_mov_b32 v3, s1 :: v_dual_mov_b32 v2, s0
	s_delay_alu instid0(VALU_DEP_2) | instskip(NEXT) | instid1(VALU_DEP_1)
	v_lshlrev_b64 v[0:1], 3, v[0:1]
	v_add_co_u32 v0, vcc_lo, s2, v0
	s_delay_alu instid0(VALU_DEP_2)
	v_add_co_ci_u32_e32 v1, vcc_lo, s3, v1, vcc_lo
	global_store_b64 v[0:1], v[2:3], off
.LBB42_8:
	s_nop 0
	s_sendmsg sendmsg(MSG_DEALLOC_VGPRS)
	s_endpgm
.LBB42_9:
	v_or_b32_e32 v1, s4, v0
	v_dual_mov_b32 v2, 0 :: v_dual_mov_b32 v3, s0
	v_or_b32_e32 v0, 0x100, v0
	v_mov_b32_e32 v4, s1
	s_delay_alu instid0(VALU_DEP_3) | instskip(NEXT) | instid1(VALU_DEP_1)
	v_lshlrev_b64 v[1:2], 3, v[1:2]
	v_add_co_u32 v1, vcc_lo, s2, v1
	s_delay_alu instid0(VALU_DEP_2) | instskip(SKIP_2) | instid1(SALU_CYCLE_1)
	v_add_co_ci_u32_e32 v2, vcc_lo, s3, v2, vcc_lo
	global_store_b64 v[1:2], v[3:4], off
	s_or_b32 exec_lo, exec_lo, s5
	s_mov_b32 s5, exec_lo
	v_cmpx_gt_i32_e64 s6, v0
	s_cbranch_execz .LBB42_5
.LBB42_10:
	v_dual_mov_b32 v2, 0 :: v_dual_add_nc_u32 v1, s4, v0
	v_dual_mov_b32 v4, s1 :: v_dual_mov_b32 v3, s0
	v_add_nc_u32_e32 v0, 0x100, v0
	s_delay_alu instid0(VALU_DEP_3) | instskip(NEXT) | instid1(VALU_DEP_1)
	v_lshlrev_b64 v[1:2], 3, v[1:2]
	v_add_co_u32 v1, vcc_lo, s2, v1
	s_delay_alu instid0(VALU_DEP_2) | instskip(SKIP_2) | instid1(SALU_CYCLE_1)
	v_add_co_ci_u32_e32 v2, vcc_lo, s3, v2, vcc_lo
	global_store_b64 v[1:2], v[3:4], off
	s_or_b32 exec_lo, exec_lo, s5
	s_mov_b32 s5, exec_lo
	v_cmpx_gt_i32_e64 s6, v0
	s_cbranch_execz .LBB42_6
.LBB42_11:
	v_dual_mov_b32 v2, 0 :: v_dual_add_nc_u32 v1, s4, v0
	v_dual_mov_b32 v4, s1 :: v_dual_mov_b32 v3, s0
	v_add_nc_u32_e32 v0, 0x100, v0
	s_delay_alu instid0(VALU_DEP_3) | instskip(NEXT) | instid1(VALU_DEP_1)
	v_lshlrev_b64 v[1:2], 3, v[1:2]
	v_add_co_u32 v1, vcc_lo, s2, v1
	s_delay_alu instid0(VALU_DEP_2) | instskip(SKIP_2) | instid1(SALU_CYCLE_1)
	v_add_co_ci_u32_e32 v2, vcc_lo, s3, v2, vcc_lo
	global_store_b64 v[1:2], v[3:4], off
	s_or_b32 exec_lo, exec_lo, s5
	s_mov_b32 s5, exec_lo
	v_cmpx_gt_i32_e64 s6, v0
	s_cbranch_execnz .LBB42_7
	s_branch .LBB42_8
	.section	.rodata,"a",@progbits
	.p2align	6, 0x0
	.amdhsa_kernel _ZN2at6native29vectorized_elementwise_kernelILi4ENS0_11FillFunctorIdEESt5arrayIPcLm1EEEEviT0_T1_
		.amdhsa_group_segment_fixed_size 0
		.amdhsa_private_segment_fixed_size 0
		.amdhsa_kernarg_size 24
		.amdhsa_user_sgpr_count 15
		.amdhsa_user_sgpr_dispatch_ptr 0
		.amdhsa_user_sgpr_queue_ptr 0
		.amdhsa_user_sgpr_kernarg_segment_ptr 1
		.amdhsa_user_sgpr_dispatch_id 0
		.amdhsa_user_sgpr_private_segment_size 0
		.amdhsa_wavefront_size32 1
		.amdhsa_uses_dynamic_stack 0
		.amdhsa_enable_private_segment 0
		.amdhsa_system_sgpr_workgroup_id_x 1
		.amdhsa_system_sgpr_workgroup_id_y 0
		.amdhsa_system_sgpr_workgroup_id_z 0
		.amdhsa_system_sgpr_workgroup_info 0
		.amdhsa_system_vgpr_workitem_id 0
		.amdhsa_next_free_vgpr 6
		.amdhsa_next_free_sgpr 16
		.amdhsa_reserve_vcc 1
		.amdhsa_float_round_mode_32 0
		.amdhsa_float_round_mode_16_64 0
		.amdhsa_float_denorm_mode_32 3
		.amdhsa_float_denorm_mode_16_64 3
		.amdhsa_dx10_clamp 1
		.amdhsa_ieee_mode 1
		.amdhsa_fp16_overflow 0
		.amdhsa_workgroup_processor_mode 1
		.amdhsa_memory_ordered 1
		.amdhsa_forward_progress 0
		.amdhsa_shared_vgpr_count 0
		.amdhsa_exception_fp_ieee_invalid_op 0
		.amdhsa_exception_fp_denorm_src 0
		.amdhsa_exception_fp_ieee_div_zero 0
		.amdhsa_exception_fp_ieee_overflow 0
		.amdhsa_exception_fp_ieee_underflow 0
		.amdhsa_exception_fp_ieee_inexact 0
		.amdhsa_exception_int_div_zero 0
	.end_amdhsa_kernel
	.section	.text._ZN2at6native29vectorized_elementwise_kernelILi4ENS0_11FillFunctorIdEESt5arrayIPcLm1EEEEviT0_T1_,"axG",@progbits,_ZN2at6native29vectorized_elementwise_kernelILi4ENS0_11FillFunctorIdEESt5arrayIPcLm1EEEEviT0_T1_,comdat
.Lfunc_end42:
	.size	_ZN2at6native29vectorized_elementwise_kernelILi4ENS0_11FillFunctorIdEESt5arrayIPcLm1EEEEviT0_T1_, .Lfunc_end42-_ZN2at6native29vectorized_elementwise_kernelILi4ENS0_11FillFunctorIdEESt5arrayIPcLm1EEEEviT0_T1_
                                        ; -- End function
	.section	.AMDGPU.csdata,"",@progbits
; Kernel info:
; codeLenInByte = 528
; NumSgprs: 18
; NumVgprs: 6
; ScratchSize: 0
; MemoryBound: 0
; FloatMode: 240
; IeeeMode: 1
; LDSByteSize: 0 bytes/workgroup (compile time only)
; SGPRBlocks: 2
; VGPRBlocks: 0
; NumSGPRsForWavesPerEU: 18
; NumVGPRsForWavesPerEU: 6
; Occupancy: 16
; WaveLimiterHint : 0
; COMPUTE_PGM_RSRC2:SCRATCH_EN: 0
; COMPUTE_PGM_RSRC2:USER_SGPR: 15
; COMPUTE_PGM_RSRC2:TRAP_HANDLER: 0
; COMPUTE_PGM_RSRC2:TGID_X_EN: 1
; COMPUTE_PGM_RSRC2:TGID_Y_EN: 0
; COMPUTE_PGM_RSRC2:TGID_Z_EN: 0
; COMPUTE_PGM_RSRC2:TIDIG_COMP_CNT: 0
	.section	.text._ZN2at6native29vectorized_elementwise_kernelILi2ENS0_11FillFunctorIdEESt5arrayIPcLm1EEEEviT0_T1_,"axG",@progbits,_ZN2at6native29vectorized_elementwise_kernelILi2ENS0_11FillFunctorIdEESt5arrayIPcLm1EEEEviT0_T1_,comdat
	.protected	_ZN2at6native29vectorized_elementwise_kernelILi2ENS0_11FillFunctorIdEESt5arrayIPcLm1EEEEviT0_T1_ ; -- Begin function _ZN2at6native29vectorized_elementwise_kernelILi2ENS0_11FillFunctorIdEESt5arrayIPcLm1EEEEviT0_T1_
	.globl	_ZN2at6native29vectorized_elementwise_kernelILi2ENS0_11FillFunctorIdEESt5arrayIPcLm1EEEEviT0_T1_
	.p2align	8
	.type	_ZN2at6native29vectorized_elementwise_kernelILi2ENS0_11FillFunctorIdEESt5arrayIPcLm1EEEEviT0_T1_,@function
_ZN2at6native29vectorized_elementwise_kernelILi2ENS0_11FillFunctorIdEESt5arrayIPcLm1EEEEviT0_T1_: ; @_ZN2at6native29vectorized_elementwise_kernelILi2ENS0_11FillFunctorIdEESt5arrayIPcLm1EEEEviT0_T1_
; %bb.0:
	s_clause 0x1
	s_load_b32 s5, s[0:1], 0x0
	s_load_b128 s[0:3], s[0:1], 0x8
	s_lshl_b32 s4, s15, 10
	s_waitcnt lgkmcnt(0)
	s_sub_i32 s6, s5, s4
	s_mov_b32 s5, -1
	s_cmpk_gt_i32 s6, 0x3ff
	s_cbranch_scc0 .LBB43_2
; %bb.1:
	s_ashr_i32 s5, s4, 31
	s_mov_b32 s8, s0
	s_lshl_b64 s[10:11], s[4:5], 3
	s_mov_b32 s9, s1
	s_add_u32 s12, s2, s10
	s_addc_u32 s13, s3, s11
	s_mov_b32 s10, s0
	s_mov_b32 s11, s1
	v_lshlrev_b32_e32 v7, 4, v0
	v_dual_mov_b32 v1, s8 :: v_dual_mov_b32 v4, s11
	v_dual_mov_b32 v2, s9 :: v_dual_mov_b32 v3, s10
	s_delay_alu instid0(VALU_DEP_3) | instskip(NEXT) | instid1(VALU_DEP_1)
	v_add_co_u32 v5, s5, s12, v7
	v_add_co_ci_u32_e64 v6, null, s13, 0, s5
	s_mov_b32 s5, 0
	s_delay_alu instid0(VALU_DEP_2) | instskip(NEXT) | instid1(VALU_DEP_2)
	v_add_co_u32 v5, vcc_lo, 0x1000, v5
	v_add_co_ci_u32_e32 v6, vcc_lo, 0, v6, vcc_lo
	s_clause 0x1
	global_store_b128 v7, v[1:4], s[12:13]
	global_store_b128 v[5:6], v[1:4], off
.LBB43_2:
	s_and_not1_b32 vcc_lo, exec_lo, s5
	s_cbranch_vccnz .LBB43_8
; %bb.3:
	s_mov_b32 s5, exec_lo
	v_cmpx_gt_i32_e64 s6, v0
	s_cbranch_execnz .LBB43_9
; %bb.4:
	s_or_b32 exec_lo, exec_lo, s5
	s_delay_alu instid0(SALU_CYCLE_1)
	s_mov_b32 s5, exec_lo
	v_cmpx_gt_i32_e64 s6, v0
	s_cbranch_execnz .LBB43_10
.LBB43_5:
	s_or_b32 exec_lo, exec_lo, s5
	s_delay_alu instid0(SALU_CYCLE_1)
	s_mov_b32 s5, exec_lo
	v_cmpx_gt_i32_e64 s6, v0
	s_cbranch_execnz .LBB43_11
.LBB43_6:
	s_or_b32 exec_lo, exec_lo, s5
	s_delay_alu instid0(SALU_CYCLE_1)
	s_mov_b32 s5, exec_lo
	v_cmpx_gt_i32_e64 s6, v0
	s_cbranch_execz .LBB43_8
.LBB43_7:
	v_dual_mov_b32 v1, 0 :: v_dual_add_nc_u32 v0, s4, v0
	v_dual_mov_b32 v3, s1 :: v_dual_mov_b32 v2, s0
	s_delay_alu instid0(VALU_DEP_2) | instskip(NEXT) | instid1(VALU_DEP_1)
	v_lshlrev_b64 v[0:1], 3, v[0:1]
	v_add_co_u32 v0, vcc_lo, s2, v0
	s_delay_alu instid0(VALU_DEP_2)
	v_add_co_ci_u32_e32 v1, vcc_lo, s3, v1, vcc_lo
	global_store_b64 v[0:1], v[2:3], off
.LBB43_8:
	s_nop 0
	s_sendmsg sendmsg(MSG_DEALLOC_VGPRS)
	s_endpgm
.LBB43_9:
	v_or_b32_e32 v1, s4, v0
	v_dual_mov_b32 v2, 0 :: v_dual_mov_b32 v3, s0
	v_or_b32_e32 v0, 0x100, v0
	v_mov_b32_e32 v4, s1
	s_delay_alu instid0(VALU_DEP_3) | instskip(NEXT) | instid1(VALU_DEP_1)
	v_lshlrev_b64 v[1:2], 3, v[1:2]
	v_add_co_u32 v1, vcc_lo, s2, v1
	s_delay_alu instid0(VALU_DEP_2) | instskip(SKIP_2) | instid1(SALU_CYCLE_1)
	v_add_co_ci_u32_e32 v2, vcc_lo, s3, v2, vcc_lo
	global_store_b64 v[1:2], v[3:4], off
	s_or_b32 exec_lo, exec_lo, s5
	s_mov_b32 s5, exec_lo
	v_cmpx_gt_i32_e64 s6, v0
	s_cbranch_execz .LBB43_5
.LBB43_10:
	v_dual_mov_b32 v2, 0 :: v_dual_add_nc_u32 v1, s4, v0
	v_dual_mov_b32 v4, s1 :: v_dual_mov_b32 v3, s0
	v_add_nc_u32_e32 v0, 0x100, v0
	s_delay_alu instid0(VALU_DEP_3) | instskip(NEXT) | instid1(VALU_DEP_1)
	v_lshlrev_b64 v[1:2], 3, v[1:2]
	v_add_co_u32 v1, vcc_lo, s2, v1
	s_delay_alu instid0(VALU_DEP_2) | instskip(SKIP_2) | instid1(SALU_CYCLE_1)
	v_add_co_ci_u32_e32 v2, vcc_lo, s3, v2, vcc_lo
	global_store_b64 v[1:2], v[3:4], off
	s_or_b32 exec_lo, exec_lo, s5
	s_mov_b32 s5, exec_lo
	v_cmpx_gt_i32_e64 s6, v0
	s_cbranch_execz .LBB43_6
.LBB43_11:
	v_dual_mov_b32 v2, 0 :: v_dual_add_nc_u32 v1, s4, v0
	v_dual_mov_b32 v4, s1 :: v_dual_mov_b32 v3, s0
	v_add_nc_u32_e32 v0, 0x100, v0
	s_delay_alu instid0(VALU_DEP_3) | instskip(NEXT) | instid1(VALU_DEP_1)
	v_lshlrev_b64 v[1:2], 3, v[1:2]
	v_add_co_u32 v1, vcc_lo, s2, v1
	s_delay_alu instid0(VALU_DEP_2) | instskip(SKIP_2) | instid1(SALU_CYCLE_1)
	v_add_co_ci_u32_e32 v2, vcc_lo, s3, v2, vcc_lo
	global_store_b64 v[1:2], v[3:4], off
	s_or_b32 exec_lo, exec_lo, s5
	s_mov_b32 s5, exec_lo
	v_cmpx_gt_i32_e64 s6, v0
	s_cbranch_execnz .LBB43_7
	s_branch .LBB43_8
	.section	.rodata,"a",@progbits
	.p2align	6, 0x0
	.amdhsa_kernel _ZN2at6native29vectorized_elementwise_kernelILi2ENS0_11FillFunctorIdEESt5arrayIPcLm1EEEEviT0_T1_
		.amdhsa_group_segment_fixed_size 0
		.amdhsa_private_segment_fixed_size 0
		.amdhsa_kernarg_size 24
		.amdhsa_user_sgpr_count 15
		.amdhsa_user_sgpr_dispatch_ptr 0
		.amdhsa_user_sgpr_queue_ptr 0
		.amdhsa_user_sgpr_kernarg_segment_ptr 1
		.amdhsa_user_sgpr_dispatch_id 0
		.amdhsa_user_sgpr_private_segment_size 0
		.amdhsa_wavefront_size32 1
		.amdhsa_uses_dynamic_stack 0
		.amdhsa_enable_private_segment 0
		.amdhsa_system_sgpr_workgroup_id_x 1
		.amdhsa_system_sgpr_workgroup_id_y 0
		.amdhsa_system_sgpr_workgroup_id_z 0
		.amdhsa_system_sgpr_workgroup_info 0
		.amdhsa_system_vgpr_workitem_id 0
		.amdhsa_next_free_vgpr 8
		.amdhsa_next_free_sgpr 16
		.amdhsa_reserve_vcc 1
		.amdhsa_float_round_mode_32 0
		.amdhsa_float_round_mode_16_64 0
		.amdhsa_float_denorm_mode_32 3
		.amdhsa_float_denorm_mode_16_64 3
		.amdhsa_dx10_clamp 1
		.amdhsa_ieee_mode 1
		.amdhsa_fp16_overflow 0
		.amdhsa_workgroup_processor_mode 1
		.amdhsa_memory_ordered 1
		.amdhsa_forward_progress 0
		.amdhsa_shared_vgpr_count 0
		.amdhsa_exception_fp_ieee_invalid_op 0
		.amdhsa_exception_fp_denorm_src 0
		.amdhsa_exception_fp_ieee_div_zero 0
		.amdhsa_exception_fp_ieee_overflow 0
		.amdhsa_exception_fp_ieee_underflow 0
		.amdhsa_exception_fp_ieee_inexact 0
		.amdhsa_exception_int_div_zero 0
	.end_amdhsa_kernel
	.section	.text._ZN2at6native29vectorized_elementwise_kernelILi2ENS0_11FillFunctorIdEESt5arrayIPcLm1EEEEviT0_T1_,"axG",@progbits,_ZN2at6native29vectorized_elementwise_kernelILi2ENS0_11FillFunctorIdEESt5arrayIPcLm1EEEEviT0_T1_,comdat
.Lfunc_end43:
	.size	_ZN2at6native29vectorized_elementwise_kernelILi2ENS0_11FillFunctorIdEESt5arrayIPcLm1EEEEviT0_T1_, .Lfunc_end43-_ZN2at6native29vectorized_elementwise_kernelILi2ENS0_11FillFunctorIdEESt5arrayIPcLm1EEEEviT0_T1_
                                        ; -- End function
	.section	.AMDGPU.csdata,"",@progbits
; Kernel info:
; codeLenInByte = 564
; NumSgprs: 18
; NumVgprs: 8
; ScratchSize: 0
; MemoryBound: 0
; FloatMode: 240
; IeeeMode: 1
; LDSByteSize: 0 bytes/workgroup (compile time only)
; SGPRBlocks: 2
; VGPRBlocks: 0
; NumSGPRsForWavesPerEU: 18
; NumVGPRsForWavesPerEU: 8
; Occupancy: 16
; WaveLimiterHint : 1
; COMPUTE_PGM_RSRC2:SCRATCH_EN: 0
; COMPUTE_PGM_RSRC2:USER_SGPR: 15
; COMPUTE_PGM_RSRC2:TRAP_HANDLER: 0
; COMPUTE_PGM_RSRC2:TGID_X_EN: 1
; COMPUTE_PGM_RSRC2:TGID_Y_EN: 0
; COMPUTE_PGM_RSRC2:TGID_Z_EN: 0
; COMPUTE_PGM_RSRC2:TIDIG_COMP_CNT: 0
	.section	.text._ZN2at6native27unrolled_elementwise_kernelINS0_11FillFunctorIdEESt5arrayIPcLm1EELi4E23TrivialOffsetCalculatorILi0EjES7_ILi1EjENS0_6memory15LoadWithoutCastENSA_16StoreWithoutCastEEEviT_T0_T2_T3_T4_T5_,"axG",@progbits,_ZN2at6native27unrolled_elementwise_kernelINS0_11FillFunctorIdEESt5arrayIPcLm1EELi4E23TrivialOffsetCalculatorILi0EjES7_ILi1EjENS0_6memory15LoadWithoutCastENSA_16StoreWithoutCastEEEviT_T0_T2_T3_T4_T5_,comdat
	.protected	_ZN2at6native27unrolled_elementwise_kernelINS0_11FillFunctorIdEESt5arrayIPcLm1EELi4E23TrivialOffsetCalculatorILi0EjES7_ILi1EjENS0_6memory15LoadWithoutCastENSA_16StoreWithoutCastEEEviT_T0_T2_T3_T4_T5_ ; -- Begin function _ZN2at6native27unrolled_elementwise_kernelINS0_11FillFunctorIdEESt5arrayIPcLm1EELi4E23TrivialOffsetCalculatorILi0EjES7_ILi1EjENS0_6memory15LoadWithoutCastENSA_16StoreWithoutCastEEEviT_T0_T2_T3_T4_T5_
	.globl	_ZN2at6native27unrolled_elementwise_kernelINS0_11FillFunctorIdEESt5arrayIPcLm1EELi4E23TrivialOffsetCalculatorILi0EjES7_ILi1EjENS0_6memory15LoadWithoutCastENSA_16StoreWithoutCastEEEviT_T0_T2_T3_T4_T5_
	.p2align	8
	.type	_ZN2at6native27unrolled_elementwise_kernelINS0_11FillFunctorIdEESt5arrayIPcLm1EELi4E23TrivialOffsetCalculatorILi0EjES7_ILi1EjENS0_6memory15LoadWithoutCastENSA_16StoreWithoutCastEEEviT_T0_T2_T3_T4_T5_,@function
_ZN2at6native27unrolled_elementwise_kernelINS0_11FillFunctorIdEESt5arrayIPcLm1EELi4E23TrivialOffsetCalculatorILi0EjES7_ILi1EjENS0_6memory15LoadWithoutCastENSA_16StoreWithoutCastEEEviT_T0_T2_T3_T4_T5_: ; @_ZN2at6native27unrolled_elementwise_kernelINS0_11FillFunctorIdEESt5arrayIPcLm1EELi4E23TrivialOffsetCalculatorILi0EjES7_ILi1EjENS0_6memory15LoadWithoutCastENSA_16StoreWithoutCastEEEviT_T0_T2_T3_T4_T5_
; %bb.0:
	s_clause 0x1
	s_load_b32 s5, s[0:1], 0x0
	s_load_b128 s[0:3], s[0:1], 0x8
	s_lshl_b32 s4, s15, 10
	s_mov_b32 s6, exec_lo
	s_waitcnt lgkmcnt(0)
	s_sub_i32 s5, s5, s4
	s_delay_alu instid0(SALU_CYCLE_1)
	v_cmpx_gt_i32_e64 s5, v0
	s_cbranch_execnz .LBB44_5
; %bb.1:
	s_or_b32 exec_lo, exec_lo, s6
	s_delay_alu instid0(SALU_CYCLE_1)
	s_mov_b32 s6, exec_lo
	v_cmpx_gt_i32_e64 s5, v0
	s_cbranch_execnz .LBB44_6
.LBB44_2:
	s_or_b32 exec_lo, exec_lo, s6
	s_delay_alu instid0(SALU_CYCLE_1)
	s_mov_b32 s6, exec_lo
	v_cmpx_gt_i32_e64 s5, v0
	s_cbranch_execnz .LBB44_7
.LBB44_3:
	s_or_b32 exec_lo, exec_lo, s6
	v_cmp_gt_i32_e32 vcc_lo, s5, v0
	s_and_saveexec_b32 s5, vcc_lo
	s_cbranch_execnz .LBB44_8
.LBB44_4:
	s_nop 0
	s_sendmsg sendmsg(MSG_DEALLOC_VGPRS)
	s_endpgm
.LBB44_5:
	v_or_b32_e32 v1, s4, v0
	v_dual_mov_b32 v2, 0 :: v_dual_mov_b32 v3, s1
	v_or_b32_e32 v0, 0x100, v0
	s_delay_alu instid0(VALU_DEP_2) | instskip(NEXT) | instid1(VALU_DEP_1)
	v_lshlrev_b64 v[1:2], 3, v[1:2]
	v_add_co_u32 v4, vcc_lo, s2, v1
	s_delay_alu instid0(VALU_DEP_2) | instskip(SKIP_3) | instid1(SALU_CYCLE_1)
	v_add_co_ci_u32_e32 v5, vcc_lo, s3, v2, vcc_lo
	v_mov_b32_e32 v2, s0
	global_store_b64 v[4:5], v[2:3], off
	s_or_b32 exec_lo, exec_lo, s6
	s_mov_b32 s6, exec_lo
	v_cmpx_gt_i32_e64 s5, v0
	s_cbranch_execz .LBB44_2
.LBB44_6:
	v_dual_mov_b32 v2, 0 :: v_dual_add_nc_u32 v1, s4, v0
	v_dual_mov_b32 v3, s1 :: v_dual_add_nc_u32 v0, 0x100, v0
	s_delay_alu instid0(VALU_DEP_2) | instskip(NEXT) | instid1(VALU_DEP_1)
	v_lshlrev_b64 v[1:2], 3, v[1:2]
	v_add_co_u32 v4, vcc_lo, s2, v1
	s_delay_alu instid0(VALU_DEP_2) | instskip(SKIP_3) | instid1(SALU_CYCLE_1)
	v_add_co_ci_u32_e32 v5, vcc_lo, s3, v2, vcc_lo
	v_mov_b32_e32 v2, s0
	global_store_b64 v[4:5], v[2:3], off
	s_or_b32 exec_lo, exec_lo, s6
	s_mov_b32 s6, exec_lo
	v_cmpx_gt_i32_e64 s5, v0
	s_cbranch_execz .LBB44_3
.LBB44_7:
	v_dual_mov_b32 v2, 0 :: v_dual_add_nc_u32 v1, s4, v0
	v_dual_mov_b32 v3, s1 :: v_dual_add_nc_u32 v0, 0x100, v0
	s_delay_alu instid0(VALU_DEP_2) | instskip(NEXT) | instid1(VALU_DEP_1)
	v_lshlrev_b64 v[1:2], 3, v[1:2]
	v_add_co_u32 v4, vcc_lo, s2, v1
	s_delay_alu instid0(VALU_DEP_2)
	v_add_co_ci_u32_e32 v5, vcc_lo, s3, v2, vcc_lo
	v_mov_b32_e32 v2, s0
	global_store_b64 v[4:5], v[2:3], off
	s_or_b32 exec_lo, exec_lo, s6
	v_cmp_gt_i32_e32 vcc_lo, s5, v0
	s_and_saveexec_b32 s5, vcc_lo
	s_cbranch_execz .LBB44_4
.LBB44_8:
	v_dual_mov_b32 v1, 0 :: v_dual_add_nc_u32 v0, s4, v0
	v_mov_b32_e32 v2, s1
	s_delay_alu instid0(VALU_DEP_2) | instskip(NEXT) | instid1(VALU_DEP_1)
	v_lshlrev_b64 v[0:1], 3, v[0:1]
	v_add_co_u32 v3, vcc_lo, s2, v0
	s_delay_alu instid0(VALU_DEP_2)
	v_add_co_ci_u32_e32 v4, vcc_lo, s3, v1, vcc_lo
	v_mov_b32_e32 v1, s0
	global_store_b64 v[3:4], v[1:2], off
	s_nop 0
	s_sendmsg sendmsg(MSG_DEALLOC_VGPRS)
	s_endpgm
	.section	.rodata,"a",@progbits
	.p2align	6, 0x0
	.amdhsa_kernel _ZN2at6native27unrolled_elementwise_kernelINS0_11FillFunctorIdEESt5arrayIPcLm1EELi4E23TrivialOffsetCalculatorILi0EjES7_ILi1EjENS0_6memory15LoadWithoutCastENSA_16StoreWithoutCastEEEviT_T0_T2_T3_T4_T5_
		.amdhsa_group_segment_fixed_size 0
		.amdhsa_private_segment_fixed_size 0
		.amdhsa_kernarg_size 28
		.amdhsa_user_sgpr_count 15
		.amdhsa_user_sgpr_dispatch_ptr 0
		.amdhsa_user_sgpr_queue_ptr 0
		.amdhsa_user_sgpr_kernarg_segment_ptr 1
		.amdhsa_user_sgpr_dispatch_id 0
		.amdhsa_user_sgpr_private_segment_size 0
		.amdhsa_wavefront_size32 1
		.amdhsa_uses_dynamic_stack 0
		.amdhsa_enable_private_segment 0
		.amdhsa_system_sgpr_workgroup_id_x 1
		.amdhsa_system_sgpr_workgroup_id_y 0
		.amdhsa_system_sgpr_workgroup_id_z 0
		.amdhsa_system_sgpr_workgroup_info 0
		.amdhsa_system_vgpr_workitem_id 0
		.amdhsa_next_free_vgpr 6
		.amdhsa_next_free_sgpr 16
		.amdhsa_reserve_vcc 1
		.amdhsa_float_round_mode_32 0
		.amdhsa_float_round_mode_16_64 0
		.amdhsa_float_denorm_mode_32 3
		.amdhsa_float_denorm_mode_16_64 3
		.amdhsa_dx10_clamp 1
		.amdhsa_ieee_mode 1
		.amdhsa_fp16_overflow 0
		.amdhsa_workgroup_processor_mode 1
		.amdhsa_memory_ordered 1
		.amdhsa_forward_progress 0
		.amdhsa_shared_vgpr_count 0
		.amdhsa_exception_fp_ieee_invalid_op 0
		.amdhsa_exception_fp_denorm_src 0
		.amdhsa_exception_fp_ieee_div_zero 0
		.amdhsa_exception_fp_ieee_overflow 0
		.amdhsa_exception_fp_ieee_underflow 0
		.amdhsa_exception_fp_ieee_inexact 0
		.amdhsa_exception_int_div_zero 0
	.end_amdhsa_kernel
	.section	.text._ZN2at6native27unrolled_elementwise_kernelINS0_11FillFunctorIdEESt5arrayIPcLm1EELi4E23TrivialOffsetCalculatorILi0EjES7_ILi1EjENS0_6memory15LoadWithoutCastENSA_16StoreWithoutCastEEEviT_T0_T2_T3_T4_T5_,"axG",@progbits,_ZN2at6native27unrolled_elementwise_kernelINS0_11FillFunctorIdEESt5arrayIPcLm1EELi4E23TrivialOffsetCalculatorILi0EjES7_ILi1EjENS0_6memory15LoadWithoutCastENSA_16StoreWithoutCastEEEviT_T0_T2_T3_T4_T5_,comdat
.Lfunc_end44:
	.size	_ZN2at6native27unrolled_elementwise_kernelINS0_11FillFunctorIdEESt5arrayIPcLm1EELi4E23TrivialOffsetCalculatorILi0EjES7_ILi1EjENS0_6memory15LoadWithoutCastENSA_16StoreWithoutCastEEEviT_T0_T2_T3_T4_T5_, .Lfunc_end44-_ZN2at6native27unrolled_elementwise_kernelINS0_11FillFunctorIdEESt5arrayIPcLm1EELi4E23TrivialOffsetCalculatorILi0EjES7_ILi1EjENS0_6memory15LoadWithoutCastENSA_16StoreWithoutCastEEEviT_T0_T2_T3_T4_T5_
                                        ; -- End function
	.section	.AMDGPU.csdata,"",@progbits
; Kernel info:
; codeLenInByte = 428
; NumSgprs: 18
; NumVgprs: 6
; ScratchSize: 0
; MemoryBound: 0
; FloatMode: 240
; IeeeMode: 1
; LDSByteSize: 0 bytes/workgroup (compile time only)
; SGPRBlocks: 2
; VGPRBlocks: 0
; NumSGPRsForWavesPerEU: 18
; NumVGPRsForWavesPerEU: 6
; Occupancy: 16
; WaveLimiterHint : 0
; COMPUTE_PGM_RSRC2:SCRATCH_EN: 0
; COMPUTE_PGM_RSRC2:USER_SGPR: 15
; COMPUTE_PGM_RSRC2:TRAP_HANDLER: 0
; COMPUTE_PGM_RSRC2:TGID_X_EN: 1
; COMPUTE_PGM_RSRC2:TGID_Y_EN: 0
; COMPUTE_PGM_RSRC2:TGID_Z_EN: 0
; COMPUTE_PGM_RSRC2:TIDIG_COMP_CNT: 0
	.section	.text._ZN2at6native32elementwise_kernel_manual_unrollILi128ELi4EZNS0_22gpu_kernel_impl_nocastINS0_11FillFunctorIdEEEEvRNS_18TensorIteratorBaseERKT_EUlibE_EEviT1_,"axG",@progbits,_ZN2at6native32elementwise_kernel_manual_unrollILi128ELi4EZNS0_22gpu_kernel_impl_nocastINS0_11FillFunctorIdEEEEvRNS_18TensorIteratorBaseERKT_EUlibE_EEviT1_,comdat
	.protected	_ZN2at6native32elementwise_kernel_manual_unrollILi128ELi4EZNS0_22gpu_kernel_impl_nocastINS0_11FillFunctorIdEEEEvRNS_18TensorIteratorBaseERKT_EUlibE_EEviT1_ ; -- Begin function _ZN2at6native32elementwise_kernel_manual_unrollILi128ELi4EZNS0_22gpu_kernel_impl_nocastINS0_11FillFunctorIdEEEEvRNS_18TensorIteratorBaseERKT_EUlibE_EEviT1_
	.globl	_ZN2at6native32elementwise_kernel_manual_unrollILi128ELi4EZNS0_22gpu_kernel_impl_nocastINS0_11FillFunctorIdEEEEvRNS_18TensorIteratorBaseERKT_EUlibE_EEviT1_
	.p2align	8
	.type	_ZN2at6native32elementwise_kernel_manual_unrollILi128ELi4EZNS0_22gpu_kernel_impl_nocastINS0_11FillFunctorIdEEEEvRNS_18TensorIteratorBaseERKT_EUlibE_EEviT1_,@function
_ZN2at6native32elementwise_kernel_manual_unrollILi128ELi4EZNS0_22gpu_kernel_impl_nocastINS0_11FillFunctorIdEEEEvRNS_18TensorIteratorBaseERKT_EUlibE_EEviT1_: ; @_ZN2at6native32elementwise_kernel_manual_unrollILi128ELi4EZNS0_22gpu_kernel_impl_nocastINS0_11FillFunctorIdEEEEvRNS_18TensorIteratorBaseERKT_EUlibE_EEviT1_
; %bb.0:
	s_clause 0x1
	s_load_b32 s20, s[0:1], 0x8
	s_load_b32 s25, s[0:1], 0x0
	v_lshl_or_b32 v2, s15, 9, v0
	s_or_b32 s0, s0, 8
	s_mov_b32 s2, exec_lo
	s_delay_alu instid0(VALU_DEP_1) | instskip(SKIP_2) | instid1(SALU_CYCLE_1)
	v_or_b32_e32 v4, 0x180, v2
	s_waitcnt lgkmcnt(0)
	s_add_i32 s21, s20, -1
	s_cmp_gt_u32 s21, 1
	s_cselect_b32 s22, -1, 0
	v_cmpx_le_i32_e64 s25, v4
	s_xor_b32 s23, exec_lo, s2
	s_cbranch_execz .LBB45_7
; %bb.1:
	s_clause 0x3
	s_load_b128 s[8:11], s[0:1], 0x4
	s_load_b64 s[12:13], s[0:1], 0x14
	s_load_b64 s[2:3], s[0:1], 0xc4
	s_load_b128 s[4:7], s[0:1], 0x108
	s_cmp_lg_u32 s20, 0
	s_mov_b32 s28, exec_lo
	s_cselect_b32 s27, -1, 0
	s_add_u32 s14, s0, 0xc4
	s_addc_u32 s15, s1, 0
	s_min_u32 s26, s21, 15
	s_cmp_gt_u32 s20, 1
	s_cselect_b32 s24, -1, 0
	v_cmpx_gt_i32_e64 s25, v2
	s_cbranch_execz .LBB45_14
; %bb.2:
	s_and_not1_b32 vcc_lo, exec_lo, s22
	s_cbranch_vccnz .LBB45_21
; %bb.3:
	v_mov_b32_e32 v0, 0
	s_and_not1_b32 vcc_lo, exec_lo, s27
	s_cbranch_vccnz .LBB45_73
; %bb.4:
	s_add_i32 s30, s26, 1
	s_cmp_eq_u32 s21, 2
	s_mov_b32 s29, 0
	s_cbranch_scc1 .LBB45_69
; %bb.5:
	v_dual_mov_b32 v0, 0 :: v_dual_mov_b32 v1, v2
	s_and_b32 s29, s30, 28
	s_mov_b32 s31, 0
	s_mov_b64 s[16:17], s[0:1]
	s_mov_b64 s[18:19], s[14:15]
.LBB45_6:                               ; =>This Inner Loop Header: Depth=1
	s_clause 0x1
	s_load_b256 s[36:43], s[16:17], 0x4
	s_load_b128 s[44:47], s[16:17], 0x24
	s_load_b128 s[48:51], s[18:19], 0x0
	s_add_u32 s16, s16, 48
	s_addc_u32 s17, s17, 0
	s_add_i32 s31, s31, 4
	s_add_u32 s18, s18, 16
	s_addc_u32 s19, s19, 0
	s_cmp_lg_u32 s29, s31
	s_waitcnt lgkmcnt(0)
	v_mul_hi_u32 v3, s37, v1
	s_delay_alu instid0(VALU_DEP_1) | instskip(NEXT) | instid1(VALU_DEP_1)
	v_add_nc_u32_e32 v3, v1, v3
	v_lshrrev_b32_e32 v3, s38, v3
	s_delay_alu instid0(VALU_DEP_1) | instskip(SKIP_1) | instid1(VALU_DEP_2)
	v_mul_hi_u32 v4, s40, v3
	v_mul_lo_u32 v7, v3, s36
	v_add_nc_u32_e32 v4, v3, v4
	s_delay_alu instid0(VALU_DEP_2) | instskip(NEXT) | instid1(VALU_DEP_2)
	v_sub_nc_u32_e32 v7, v1, v7
	v_lshrrev_b32_e32 v4, s41, v4
	s_delay_alu instid0(VALU_DEP_2) | instskip(NEXT) | instid1(VALU_DEP_2)
	v_mul_lo_u32 v7, v7, s48
	v_mul_hi_u32 v5, s43, v4
	v_mul_lo_u32 v8, v4, s39
	s_delay_alu instid0(VALU_DEP_2) | instskip(NEXT) | instid1(VALU_DEP_2)
	v_add_nc_u32_e32 v5, v4, v5
	v_sub_nc_u32_e32 v3, v3, v8
	s_delay_alu instid0(VALU_DEP_2) | instskip(NEXT) | instid1(VALU_DEP_2)
	v_lshrrev_b32_e32 v5, s44, v5
	v_mul_lo_u32 v3, v3, s49
	s_delay_alu instid0(VALU_DEP_2) | instskip(NEXT) | instid1(VALU_DEP_2)
	v_mul_hi_u32 v6, s46, v5
	v_add3_u32 v0, v7, v0, v3
	s_delay_alu instid0(VALU_DEP_2) | instskip(NEXT) | instid1(VALU_DEP_1)
	v_add_nc_u32_e32 v6, v5, v6
	v_lshrrev_b32_e32 v1, s47, v6
	v_mul_lo_u32 v6, v5, s42
	s_delay_alu instid0(VALU_DEP_2) | instskip(NEXT) | instid1(VALU_DEP_2)
	v_mul_lo_u32 v9, v1, s45
	v_sub_nc_u32_e32 v4, v4, v6
	s_delay_alu instid0(VALU_DEP_2) | instskip(NEXT) | instid1(VALU_DEP_2)
	v_sub_nc_u32_e32 v5, v5, v9
	v_mul_lo_u32 v4, v4, s50
	s_delay_alu instid0(VALU_DEP_2) | instskip(NEXT) | instid1(VALU_DEP_1)
	v_mul_lo_u32 v5, v5, s51
	v_add3_u32 v0, v4, v0, v5
	s_cbranch_scc1 .LBB45_6
	s_branch .LBB45_70
.LBB45_7:
	s_and_not1_saveexec_b32 s2, s23
	s_cbranch_execz .LBB45_94
.LBB45_8:
	v_cndmask_b32_e64 v3, 0, 1, s22
	s_and_not1_b32 vcc_lo, exec_lo, s22
	s_cbranch_vccnz .LBB45_20
; %bb.9:
	v_mov_b32_e32 v0, 0
	s_cmp_eq_u32 s20, 0
	s_mov_b32 s6, 0
	s_cbranch_scc1 .LBB45_26
; %bb.10:
	s_min_u32 s7, s21, 15
	v_mov_b32_e32 v0, 0
	s_add_i32 s7, s7, 1
	s_cmp_eq_u32 s21, 2
	s_mov_b32 s8, 0
	s_cbranch_scc1 .LBB45_23
; %bb.11:
	v_dual_mov_b32 v0, 0 :: v_dual_mov_b32 v1, v2
	s_add_u32 s2, s0, 0xc4
	s_addc_u32 s3, s1, 0
	s_and_b32 s8, s7, 28
	s_mov_b32 s9, 0
	s_mov_b64 s[4:5], s[0:1]
.LBB45_12:                              ; =>This Inner Loop Header: Depth=1
	s_clause 0x1
	s_load_b256 s[12:19], s[4:5], 0x4
	s_load_b128 s[24:27], s[4:5], 0x24
	s_load_b128 s[28:31], s[2:3], 0x0
	s_add_u32 s4, s4, 48
	s_addc_u32 s5, s5, 0
	s_add_i32 s9, s9, 4
	s_add_u32 s2, s2, 16
	s_addc_u32 s3, s3, 0
	s_cmp_lg_u32 s8, s9
	s_waitcnt lgkmcnt(0)
	v_mul_hi_u32 v5, s13, v1
	s_delay_alu instid0(VALU_DEP_1) | instskip(NEXT) | instid1(VALU_DEP_1)
	v_add_nc_u32_e32 v5, v1, v5
	v_lshrrev_b32_e32 v5, s14, v5
	s_delay_alu instid0(VALU_DEP_1) | instskip(SKIP_1) | instid1(VALU_DEP_2)
	v_mul_hi_u32 v6, s16, v5
	v_mul_lo_u32 v9, v5, s12
	v_add_nc_u32_e32 v6, v5, v6
	s_delay_alu instid0(VALU_DEP_2) | instskip(NEXT) | instid1(VALU_DEP_2)
	v_sub_nc_u32_e32 v9, v1, v9
	v_lshrrev_b32_e32 v6, s17, v6
	s_delay_alu instid0(VALU_DEP_2) | instskip(NEXT) | instid1(VALU_DEP_2)
	v_mul_lo_u32 v9, v9, s28
	v_mul_hi_u32 v7, s19, v6
	v_mul_lo_u32 v10, v6, s15
	s_delay_alu instid0(VALU_DEP_2) | instskip(NEXT) | instid1(VALU_DEP_2)
	v_add_nc_u32_e32 v7, v6, v7
	v_sub_nc_u32_e32 v5, v5, v10
	s_delay_alu instid0(VALU_DEP_2) | instskip(NEXT) | instid1(VALU_DEP_2)
	v_lshrrev_b32_e32 v7, s24, v7
	v_mul_lo_u32 v5, v5, s29
	s_delay_alu instid0(VALU_DEP_2) | instskip(NEXT) | instid1(VALU_DEP_2)
	v_mul_hi_u32 v8, s26, v7
	v_add3_u32 v0, v9, v0, v5
	s_delay_alu instid0(VALU_DEP_2) | instskip(NEXT) | instid1(VALU_DEP_1)
	v_add_nc_u32_e32 v8, v7, v8
	v_lshrrev_b32_e32 v1, s27, v8
	v_mul_lo_u32 v8, v7, s18
	s_delay_alu instid0(VALU_DEP_2) | instskip(NEXT) | instid1(VALU_DEP_2)
	v_mul_lo_u32 v11, v1, s25
	v_sub_nc_u32_e32 v6, v6, v8
	s_delay_alu instid0(VALU_DEP_2) | instskip(NEXT) | instid1(VALU_DEP_2)
	v_sub_nc_u32_e32 v7, v7, v11
	v_mul_lo_u32 v6, v6, s30
	s_delay_alu instid0(VALU_DEP_2) | instskip(NEXT) | instid1(VALU_DEP_1)
	v_mul_lo_u32 v7, v7, s31
	v_add3_u32 v0, v6, v0, v7
	s_cbranch_scc1 .LBB45_12
; %bb.13:
	s_and_b32 s7, s7, 3
	s_delay_alu instid0(SALU_CYCLE_1)
	s_cmp_eq_u32 s7, 0
	s_cbranch_scc0 .LBB45_24
	s_branch .LBB45_26
.LBB45_14:
	s_or_b32 exec_lo, exec_lo, s28
	s_delay_alu instid0(SALU_CYCLE_1)
	s_mov_b32 s28, exec_lo
	v_cmpx_gt_i32_e64 s25, v2
	s_cbranch_execz .LBB45_77
.LBB45_15:
	s_and_not1_b32 vcc_lo, exec_lo, s22
	s_cbranch_vccnz .LBB45_22
; %bb.16:
	v_mov_b32_e32 v0, 0
	s_and_not1_b32 vcc_lo, exec_lo, s27
	s_cbranch_vccnz .LBB45_88
; %bb.17:
	s_add_i32 s30, s26, 1
	s_cmp_eq_u32 s21, 2
	s_mov_b32 s29, 0
	s_cbranch_scc1 .LBB45_84
; %bb.18:
	v_dual_mov_b32 v0, 0 :: v_dual_mov_b32 v1, v2
	s_and_b32 s29, s30, 28
	s_mov_b32 s31, 0
	s_mov_b64 s[16:17], s[0:1]
	s_mov_b64 s[18:19], s[14:15]
.LBB45_19:                              ; =>This Inner Loop Header: Depth=1
	s_clause 0x1
	s_load_b256 s[36:43], s[16:17], 0x4
	s_load_b128 s[44:47], s[16:17], 0x24
	s_load_b128 s[48:51], s[18:19], 0x0
	s_add_u32 s16, s16, 48
	s_addc_u32 s17, s17, 0
	s_add_i32 s31, s31, 4
	s_add_u32 s18, s18, 16
	s_addc_u32 s19, s19, 0
	s_cmp_eq_u32 s29, s31
	s_waitcnt lgkmcnt(0)
	v_mul_hi_u32 v3, s37, v1
	s_delay_alu instid0(VALU_DEP_1) | instskip(NEXT) | instid1(VALU_DEP_1)
	v_add_nc_u32_e32 v3, v1, v3
	v_lshrrev_b32_e32 v3, s38, v3
	s_delay_alu instid0(VALU_DEP_1) | instskip(SKIP_1) | instid1(VALU_DEP_2)
	v_mul_hi_u32 v4, s40, v3
	v_mul_lo_u32 v7, v3, s36
	v_add_nc_u32_e32 v4, v3, v4
	s_delay_alu instid0(VALU_DEP_2) | instskip(NEXT) | instid1(VALU_DEP_2)
	v_sub_nc_u32_e32 v7, v1, v7
	v_lshrrev_b32_e32 v4, s41, v4
	s_delay_alu instid0(VALU_DEP_2) | instskip(NEXT) | instid1(VALU_DEP_2)
	v_mul_lo_u32 v7, v7, s48
	v_mul_hi_u32 v5, s43, v4
	v_mul_lo_u32 v8, v4, s39
	s_delay_alu instid0(VALU_DEP_2) | instskip(NEXT) | instid1(VALU_DEP_2)
	v_add_nc_u32_e32 v5, v4, v5
	v_sub_nc_u32_e32 v3, v3, v8
	s_delay_alu instid0(VALU_DEP_2) | instskip(NEXT) | instid1(VALU_DEP_2)
	v_lshrrev_b32_e32 v5, s44, v5
	v_mul_lo_u32 v3, v3, s49
	s_delay_alu instid0(VALU_DEP_2) | instskip(NEXT) | instid1(VALU_DEP_2)
	v_mul_hi_u32 v6, s46, v5
	v_add3_u32 v0, v7, v0, v3
	s_delay_alu instid0(VALU_DEP_2) | instskip(NEXT) | instid1(VALU_DEP_1)
	v_add_nc_u32_e32 v6, v5, v6
	v_lshrrev_b32_e32 v1, s47, v6
	v_mul_lo_u32 v6, v5, s42
	s_delay_alu instid0(VALU_DEP_2) | instskip(NEXT) | instid1(VALU_DEP_2)
	v_mul_lo_u32 v9, v1, s45
	v_sub_nc_u32_e32 v4, v4, v6
	s_delay_alu instid0(VALU_DEP_2) | instskip(NEXT) | instid1(VALU_DEP_2)
	v_sub_nc_u32_e32 v5, v5, v9
	v_mul_lo_u32 v4, v4, s50
	s_delay_alu instid0(VALU_DEP_2) | instskip(NEXT) | instid1(VALU_DEP_1)
	v_mul_lo_u32 v5, v5, s51
	v_add3_u32 v0, v4, v0, v5
	s_cbranch_scc0 .LBB45_19
	s_branch .LBB45_85
.LBB45_20:
	s_mov_b32 s6, -1
                                        ; implicit-def: $vgpr0
	s_branch .LBB45_26
.LBB45_21:
                                        ; implicit-def: $vgpr0
	s_branch .LBB45_74
.LBB45_22:
                                        ; implicit-def: $vgpr0
	s_branch .LBB45_89
.LBB45_23:
	v_mov_b32_e32 v1, v2
	s_and_b32 s7, s7, 3
	s_delay_alu instid0(SALU_CYCLE_1)
	s_cmp_eq_u32 s7, 0
	s_cbranch_scc1 .LBB45_26
.LBB45_24:
	s_lshl_b32 s2, s8, 2
	s_mul_i32 s4, s8, 12
	s_add_u32 s2, s2, s0
	s_addc_u32 s3, 0, s1
	s_add_u32 s2, s2, 0xc4
	s_addc_u32 s3, s3, 0
	;; [unrolled: 2-line block ×3, first 2 shown]
	.p2align	6
.LBB45_25:                              ; =>This Inner Loop Header: Depth=1
	s_clause 0x1
	s_load_b64 s[8:9], s[4:5], 0x4
	s_load_b32 s10, s[4:5], 0xc
	s_add_u32 s4, s4, 12
	s_addc_u32 s5, s5, 0
	s_waitcnt lgkmcnt(0)
	v_mul_hi_u32 v5, s9, v1
	s_load_b32 s9, s[2:3], 0x0
	s_add_u32 s2, s2, 4
	s_addc_u32 s3, s3, 0
	s_add_i32 s7, s7, -1
	s_delay_alu instid0(SALU_CYCLE_1) | instskip(NEXT) | instid1(VALU_DEP_1)
	s_cmp_lg_u32 s7, 0
	v_add_nc_u32_e32 v5, v1, v5
	s_delay_alu instid0(VALU_DEP_1) | instskip(NEXT) | instid1(VALU_DEP_1)
	v_lshrrev_b32_e32 v7, s10, v5
	v_mul_lo_u32 v5, v7, s8
	s_delay_alu instid0(VALU_DEP_1) | instskip(SKIP_1) | instid1(VALU_DEP_1)
	v_sub_nc_u32_e32 v1, v1, v5
	s_waitcnt lgkmcnt(0)
	v_mad_u64_u32 v[5:6], null, v1, s9, v[0:1]
	s_delay_alu instid0(VALU_DEP_1)
	v_dual_mov_b32 v1, v7 :: v_dual_mov_b32 v0, v5
	s_cbranch_scc1 .LBB45_25
.LBB45_26:
	s_and_not1_b32 vcc_lo, exec_lo, s6
	s_cbranch_vccnz .LBB45_29
; %bb.27:
	s_clause 0x1
	s_load_b128 s[4:7], s[0:1], 0x4
	s_load_b32 s2, s[0:1], 0xc4
	s_cmp_lt_u32 s20, 2
	s_waitcnt lgkmcnt(0)
	v_mul_hi_u32 v0, s5, v2
	s_delay_alu instid0(VALU_DEP_1) | instskip(NEXT) | instid1(VALU_DEP_1)
	v_add_nc_u32_e32 v0, v2, v0
	v_lshrrev_b32_e32 v1, s6, v0
	s_delay_alu instid0(VALU_DEP_1) | instskip(NEXT) | instid1(VALU_DEP_1)
	v_mul_lo_u32 v0, v1, s4
	v_sub_nc_u32_e32 v0, v2, v0
	s_delay_alu instid0(VALU_DEP_1)
	v_mul_lo_u32 v0, v0, s2
	s_cbranch_scc1 .LBB45_29
; %bb.28:
	s_clause 0x1
	s_load_b128 s[4:7], s[0:1], 0x10
	s_load_b32 s2, s[0:1], 0xc8
	s_waitcnt lgkmcnt(0)
	v_mul_hi_u32 v5, s5, v1
	s_delay_alu instid0(VALU_DEP_1) | instskip(NEXT) | instid1(VALU_DEP_1)
	v_add_nc_u32_e32 v5, v1, v5
	v_lshrrev_b32_e32 v5, s6, v5
	s_delay_alu instid0(VALU_DEP_1) | instskip(NEXT) | instid1(VALU_DEP_1)
	v_mul_lo_u32 v5, v5, s4
	v_sub_nc_u32_e32 v1, v1, v5
	s_delay_alu instid0(VALU_DEP_1) | instskip(NEXT) | instid1(VALU_DEP_1)
	v_mad_u64_u32 v[5:6], null, v1, s2, v[0:1]
	v_mov_b32_e32 v0, v5
.LBB45_29:
	v_cmp_ne_u32_e32 vcc_lo, 1, v3
	v_add_nc_u32_e32 v5, 0x80, v2
	s_cbranch_vccnz .LBB45_35
; %bb.30:
	v_mov_b32_e32 v1, 0
	s_cmp_eq_u32 s20, 0
	s_mov_b32 s6, 0
	s_cbranch_scc1 .LBB45_39
; %bb.31:
	s_min_u32 s7, s21, 15
	v_mov_b32_e32 v1, 0
	s_add_i32 s7, s7, 1
	s_cmp_eq_u32 s21, 2
	s_mov_b32 s8, 0
	s_cbranch_scc1 .LBB45_36
; %bb.32:
	v_dual_mov_b32 v1, 0 :: v_dual_mov_b32 v6, v5
	s_add_u32 s2, s0, 0xc4
	s_addc_u32 s3, s1, 0
	s_and_b32 s8, s7, 28
	s_mov_b32 s9, 0
	s_mov_b64 s[4:5], s[0:1]
.LBB45_33:                              ; =>This Inner Loop Header: Depth=1
	s_clause 0x1
	s_load_b256 s[12:19], s[4:5], 0x4
	s_load_b128 s[24:27], s[4:5], 0x24
	s_load_b128 s[28:31], s[2:3], 0x0
	s_add_u32 s4, s4, 48
	s_addc_u32 s5, s5, 0
	s_add_i32 s9, s9, 4
	s_add_u32 s2, s2, 16
	s_addc_u32 s3, s3, 0
	s_cmp_lg_u32 s8, s9
	s_waitcnt lgkmcnt(0)
	v_mul_hi_u32 v7, s13, v6
	s_delay_alu instid0(VALU_DEP_1) | instskip(NEXT) | instid1(VALU_DEP_1)
	v_add_nc_u32_e32 v7, v6, v7
	v_lshrrev_b32_e32 v7, s14, v7
	s_delay_alu instid0(VALU_DEP_1) | instskip(SKIP_1) | instid1(VALU_DEP_2)
	v_mul_hi_u32 v8, s16, v7
	v_mul_lo_u32 v11, v7, s12
	v_add_nc_u32_e32 v8, v7, v8
	s_delay_alu instid0(VALU_DEP_2) | instskip(NEXT) | instid1(VALU_DEP_2)
	v_sub_nc_u32_e32 v11, v6, v11
	v_lshrrev_b32_e32 v8, s17, v8
	s_delay_alu instid0(VALU_DEP_2) | instskip(NEXT) | instid1(VALU_DEP_2)
	v_mul_lo_u32 v11, v11, s28
	v_mul_hi_u32 v9, s19, v8
	v_mul_lo_u32 v12, v8, s15
	s_delay_alu instid0(VALU_DEP_2) | instskip(NEXT) | instid1(VALU_DEP_2)
	v_add_nc_u32_e32 v9, v8, v9
	v_sub_nc_u32_e32 v7, v7, v12
	s_delay_alu instid0(VALU_DEP_2) | instskip(NEXT) | instid1(VALU_DEP_2)
	v_lshrrev_b32_e32 v9, s24, v9
	v_mul_lo_u32 v7, v7, s29
	s_delay_alu instid0(VALU_DEP_2) | instskip(NEXT) | instid1(VALU_DEP_2)
	v_mul_hi_u32 v10, s26, v9
	v_add3_u32 v1, v11, v1, v7
	s_delay_alu instid0(VALU_DEP_2) | instskip(NEXT) | instid1(VALU_DEP_1)
	v_add_nc_u32_e32 v10, v9, v10
	v_lshrrev_b32_e32 v6, s27, v10
	v_mul_lo_u32 v10, v9, s18
	s_delay_alu instid0(VALU_DEP_2) | instskip(NEXT) | instid1(VALU_DEP_2)
	v_mul_lo_u32 v13, v6, s25
	v_sub_nc_u32_e32 v8, v8, v10
	s_delay_alu instid0(VALU_DEP_2) | instskip(NEXT) | instid1(VALU_DEP_2)
	v_sub_nc_u32_e32 v9, v9, v13
	v_mul_lo_u32 v8, v8, s30
	s_delay_alu instid0(VALU_DEP_2) | instskip(NEXT) | instid1(VALU_DEP_1)
	v_mul_lo_u32 v9, v9, s31
	v_add3_u32 v1, v8, v1, v9
	s_cbranch_scc1 .LBB45_33
; %bb.34:
	s_and_b32 s7, s7, 3
	s_delay_alu instid0(SALU_CYCLE_1)
	s_cmp_eq_u32 s7, 0
	s_cbranch_scc0 .LBB45_37
	s_branch .LBB45_39
.LBB45_35:
	s_mov_b32 s6, -1
                                        ; implicit-def: $vgpr1
	s_branch .LBB45_39
.LBB45_36:
	v_mov_b32_e32 v6, v5
	s_and_b32 s7, s7, 3
	s_delay_alu instid0(SALU_CYCLE_1)
	s_cmp_eq_u32 s7, 0
	s_cbranch_scc1 .LBB45_39
.LBB45_37:
	s_lshl_b32 s2, s8, 2
	s_mul_i32 s4, s8, 12
	s_add_u32 s2, s2, s0
	s_addc_u32 s3, 0, s1
	s_add_u32 s2, s2, 0xc4
	s_addc_u32 s3, s3, 0
	;; [unrolled: 2-line block ×3, first 2 shown]
	.p2align	6
.LBB45_38:                              ; =>This Inner Loop Header: Depth=1
	s_clause 0x1
	s_load_b64 s[8:9], s[4:5], 0x4
	s_load_b32 s10, s[4:5], 0xc
	s_add_u32 s4, s4, 12
	s_addc_u32 s5, s5, 0
	s_waitcnt lgkmcnt(0)
	v_mul_hi_u32 v7, s9, v6
	s_load_b32 s9, s[2:3], 0x0
	s_add_u32 s2, s2, 4
	s_addc_u32 s3, s3, 0
	s_add_i32 s7, s7, -1
	s_delay_alu instid0(SALU_CYCLE_1) | instskip(NEXT) | instid1(VALU_DEP_1)
	s_cmp_lg_u32 s7, 0
	v_add_nc_u32_e32 v7, v6, v7
	s_delay_alu instid0(VALU_DEP_1) | instskip(NEXT) | instid1(VALU_DEP_1)
	v_lshrrev_b32_e32 v9, s10, v7
	v_mul_lo_u32 v7, v9, s8
	s_delay_alu instid0(VALU_DEP_1) | instskip(SKIP_1) | instid1(VALU_DEP_1)
	v_sub_nc_u32_e32 v6, v6, v7
	s_waitcnt lgkmcnt(0)
	v_mad_u64_u32 v[7:8], null, v6, s9, v[1:2]
	s_delay_alu instid0(VALU_DEP_1)
	v_dual_mov_b32 v6, v9 :: v_dual_mov_b32 v1, v7
	s_cbranch_scc1 .LBB45_38
.LBB45_39:
	s_and_not1_b32 vcc_lo, exec_lo, s6
	s_cbranch_vccnz .LBB45_42
; %bb.40:
	s_clause 0x1
	s_load_b128 s[4:7], s[0:1], 0x4
	s_load_b32 s2, s[0:1], 0xc4
	s_cmp_lt_u32 s20, 2
	s_waitcnt lgkmcnt(0)
	v_mul_hi_u32 v1, s5, v5
	s_delay_alu instid0(VALU_DEP_1) | instskip(NEXT) | instid1(VALU_DEP_1)
	v_add_nc_u32_e32 v1, v5, v1
	v_lshrrev_b32_e32 v6, s6, v1
	s_delay_alu instid0(VALU_DEP_1) | instskip(NEXT) | instid1(VALU_DEP_1)
	v_mul_lo_u32 v1, v6, s4
	v_sub_nc_u32_e32 v1, v5, v1
	s_delay_alu instid0(VALU_DEP_1)
	v_mul_lo_u32 v1, v1, s2
	s_cbranch_scc1 .LBB45_42
; %bb.41:
	s_clause 0x1
	s_load_b128 s[4:7], s[0:1], 0x10
	s_load_b32 s2, s[0:1], 0xc8
	s_waitcnt lgkmcnt(0)
	v_mul_hi_u32 v5, s5, v6
	s_delay_alu instid0(VALU_DEP_1) | instskip(NEXT) | instid1(VALU_DEP_1)
	v_add_nc_u32_e32 v5, v6, v5
	v_lshrrev_b32_e32 v5, s6, v5
	s_delay_alu instid0(VALU_DEP_1) | instskip(NEXT) | instid1(VALU_DEP_1)
	v_mul_lo_u32 v5, v5, s4
	v_sub_nc_u32_e32 v7, v6, v5
	s_delay_alu instid0(VALU_DEP_1) | instskip(NEXT) | instid1(VALU_DEP_1)
	v_mad_u64_u32 v[5:6], null, v7, s2, v[1:2]
	v_mov_b32_e32 v1, v5
.LBB45_42:
	v_cmp_ne_u32_e32 vcc_lo, 1, v3
	v_add_nc_u32_e32 v5, 0x100, v2
	s_cbranch_vccnz .LBB45_48
; %bb.43:
	v_mov_b32_e32 v2, 0
	s_cmp_eq_u32 s20, 0
	s_mov_b32 s6, 0
	s_cbranch_scc1 .LBB45_52
; %bb.44:
	s_min_u32 s7, s21, 15
	v_mov_b32_e32 v2, 0
	s_add_i32 s7, s7, 1
	s_cmp_eq_u32 s21, 2
	s_mov_b32 s8, 0
	s_cbranch_scc1 .LBB45_49
; %bb.45:
	v_mov_b32_e32 v2, 0
	v_mov_b32_e32 v6, v5
	s_add_u32 s2, s0, 0xc4
	s_addc_u32 s3, s1, 0
	s_and_b32 s8, s7, 28
	s_mov_b32 s9, 0
	s_mov_b64 s[4:5], s[0:1]
.LBB45_46:                              ; =>This Inner Loop Header: Depth=1
	s_clause 0x1
	s_load_b256 s[12:19], s[4:5], 0x4
	s_load_b128 s[24:27], s[4:5], 0x24
	s_load_b128 s[28:31], s[2:3], 0x0
	s_add_u32 s4, s4, 48
	s_addc_u32 s5, s5, 0
	s_add_i32 s9, s9, 4
	s_add_u32 s2, s2, 16
	s_addc_u32 s3, s3, 0
	s_cmp_lg_u32 s8, s9
	s_waitcnt lgkmcnt(0)
	v_mul_hi_u32 v7, s13, v6
	s_delay_alu instid0(VALU_DEP_1) | instskip(NEXT) | instid1(VALU_DEP_1)
	v_add_nc_u32_e32 v7, v6, v7
	v_lshrrev_b32_e32 v7, s14, v7
	s_delay_alu instid0(VALU_DEP_1) | instskip(SKIP_1) | instid1(VALU_DEP_2)
	v_mul_hi_u32 v8, s16, v7
	v_mul_lo_u32 v11, v7, s12
	v_add_nc_u32_e32 v8, v7, v8
	s_delay_alu instid0(VALU_DEP_2) | instskip(NEXT) | instid1(VALU_DEP_2)
	v_sub_nc_u32_e32 v11, v6, v11
	v_lshrrev_b32_e32 v8, s17, v8
	s_delay_alu instid0(VALU_DEP_2) | instskip(NEXT) | instid1(VALU_DEP_2)
	v_mul_lo_u32 v11, v11, s28
	v_mul_hi_u32 v9, s19, v8
	v_mul_lo_u32 v12, v8, s15
	s_delay_alu instid0(VALU_DEP_2) | instskip(NEXT) | instid1(VALU_DEP_2)
	v_add_nc_u32_e32 v9, v8, v9
	v_sub_nc_u32_e32 v7, v7, v12
	s_delay_alu instid0(VALU_DEP_2) | instskip(NEXT) | instid1(VALU_DEP_2)
	v_lshrrev_b32_e32 v9, s24, v9
	v_mul_lo_u32 v7, v7, s29
	s_delay_alu instid0(VALU_DEP_2) | instskip(NEXT) | instid1(VALU_DEP_2)
	v_mul_hi_u32 v10, s26, v9
	v_add3_u32 v2, v11, v2, v7
	s_delay_alu instid0(VALU_DEP_2) | instskip(NEXT) | instid1(VALU_DEP_1)
	v_add_nc_u32_e32 v10, v9, v10
	v_lshrrev_b32_e32 v6, s27, v10
	v_mul_lo_u32 v10, v9, s18
	s_delay_alu instid0(VALU_DEP_2) | instskip(NEXT) | instid1(VALU_DEP_2)
	v_mul_lo_u32 v13, v6, s25
	v_sub_nc_u32_e32 v8, v8, v10
	s_delay_alu instid0(VALU_DEP_2) | instskip(NEXT) | instid1(VALU_DEP_2)
	v_sub_nc_u32_e32 v9, v9, v13
	v_mul_lo_u32 v8, v8, s30
	s_delay_alu instid0(VALU_DEP_2) | instskip(NEXT) | instid1(VALU_DEP_1)
	v_mul_lo_u32 v9, v9, s31
	v_add3_u32 v2, v8, v2, v9
	s_cbranch_scc1 .LBB45_46
; %bb.47:
	s_and_b32 s7, s7, 3
	s_delay_alu instid0(SALU_CYCLE_1)
	s_cmp_eq_u32 s7, 0
	s_cbranch_scc0 .LBB45_50
	s_branch .LBB45_52
.LBB45_48:
	s_mov_b32 s6, -1
                                        ; implicit-def: $vgpr2
	s_branch .LBB45_52
.LBB45_49:
	v_mov_b32_e32 v6, v5
	s_and_b32 s7, s7, 3
	s_delay_alu instid0(SALU_CYCLE_1)
	s_cmp_eq_u32 s7, 0
	s_cbranch_scc1 .LBB45_52
.LBB45_50:
	s_lshl_b32 s2, s8, 2
	s_mul_i32 s4, s8, 12
	s_add_u32 s2, s2, s0
	s_addc_u32 s3, 0, s1
	s_add_u32 s2, s2, 0xc4
	s_addc_u32 s3, s3, 0
	;; [unrolled: 2-line block ×3, first 2 shown]
	.p2align	6
.LBB45_51:                              ; =>This Inner Loop Header: Depth=1
	s_clause 0x1
	s_load_b64 s[8:9], s[4:5], 0x4
	s_load_b32 s10, s[4:5], 0xc
	s_add_u32 s4, s4, 12
	s_addc_u32 s5, s5, 0
	s_waitcnt lgkmcnt(0)
	v_mul_hi_u32 v7, s9, v6
	s_load_b32 s9, s[2:3], 0x0
	s_add_u32 s2, s2, 4
	s_addc_u32 s3, s3, 0
	s_add_i32 s7, s7, -1
	s_delay_alu instid0(SALU_CYCLE_1) | instskip(NEXT) | instid1(VALU_DEP_1)
	s_cmp_lg_u32 s7, 0
	v_add_nc_u32_e32 v7, v6, v7
	s_delay_alu instid0(VALU_DEP_1) | instskip(NEXT) | instid1(VALU_DEP_1)
	v_lshrrev_b32_e32 v9, s10, v7
	v_mul_lo_u32 v7, v9, s8
	s_delay_alu instid0(VALU_DEP_1) | instskip(SKIP_1) | instid1(VALU_DEP_1)
	v_sub_nc_u32_e32 v6, v6, v7
	s_waitcnt lgkmcnt(0)
	v_mad_u64_u32 v[7:8], null, v6, s9, v[2:3]
	v_mov_b32_e32 v6, v9
	s_delay_alu instid0(VALU_DEP_2)
	v_mov_b32_e32 v2, v7
	s_cbranch_scc1 .LBB45_51
.LBB45_52:
	s_and_not1_b32 vcc_lo, exec_lo, s6
	s_cbranch_vccnz .LBB45_55
; %bb.53:
	s_clause 0x1
	s_load_b128 s[4:7], s[0:1], 0x4
	s_load_b32 s2, s[0:1], 0xc4
	s_cmp_lt_u32 s20, 2
	s_waitcnt lgkmcnt(0)
	v_mul_hi_u32 v2, s5, v5
	s_delay_alu instid0(VALU_DEP_1) | instskip(NEXT) | instid1(VALU_DEP_1)
	v_add_nc_u32_e32 v2, v5, v2
	v_lshrrev_b32_e32 v6, s6, v2
	s_delay_alu instid0(VALU_DEP_1) | instskip(NEXT) | instid1(VALU_DEP_1)
	v_mul_lo_u32 v2, v6, s4
	v_sub_nc_u32_e32 v2, v5, v2
	s_delay_alu instid0(VALU_DEP_1)
	v_mul_lo_u32 v2, v2, s2
	s_cbranch_scc1 .LBB45_55
; %bb.54:
	s_clause 0x1
	s_load_b128 s[4:7], s[0:1], 0x10
	s_load_b32 s2, s[0:1], 0xc8
	s_waitcnt lgkmcnt(0)
	v_mul_hi_u32 v5, s5, v6
	s_delay_alu instid0(VALU_DEP_1) | instskip(NEXT) | instid1(VALU_DEP_1)
	v_add_nc_u32_e32 v5, v6, v5
	v_lshrrev_b32_e32 v5, s6, v5
	s_delay_alu instid0(VALU_DEP_1) | instskip(NEXT) | instid1(VALU_DEP_1)
	v_mul_lo_u32 v5, v5, s4
	v_sub_nc_u32_e32 v7, v6, v5
	s_delay_alu instid0(VALU_DEP_1) | instskip(NEXT) | instid1(VALU_DEP_1)
	v_mad_u64_u32 v[5:6], null, v7, s2, v[2:3]
	v_mov_b32_e32 v2, v5
.LBB45_55:
	v_cmp_ne_u32_e32 vcc_lo, 1, v3
	s_cbranch_vccnz .LBB45_61
; %bb.56:
	v_mov_b32_e32 v3, 0
	s_cmp_eq_u32 s20, 0
	s_mov_b32 s6, 0
	s_cbranch_scc1 .LBB45_65
; %bb.57:
	s_min_u32 s7, s21, 15
	v_mov_b32_e32 v3, 0
	s_add_i32 s7, s7, 1
	s_cmp_eq_u32 s21, 2
	s_mov_b32 s8, 0
	s_cbranch_scc1 .LBB45_62
; %bb.58:
	v_mov_b32_e32 v3, 0
	v_mov_b32_e32 v5, v4
	s_add_u32 s2, s0, 0xc4
	s_addc_u32 s3, s1, 0
	s_and_b32 s8, s7, 28
	s_mov_b32 s9, 0
	s_mov_b64 s[4:5], s[0:1]
.LBB45_59:                              ; =>This Inner Loop Header: Depth=1
	s_clause 0x1
	s_load_b256 s[12:19], s[4:5], 0x4
	s_load_b128 s[24:27], s[4:5], 0x24
	s_load_b128 s[28:31], s[2:3], 0x0
	s_add_u32 s4, s4, 48
	s_addc_u32 s5, s5, 0
	s_add_i32 s9, s9, 4
	s_add_u32 s2, s2, 16
	s_addc_u32 s3, s3, 0
	s_cmp_lg_u32 s8, s9
	s_waitcnt lgkmcnt(0)
	v_mul_hi_u32 v6, s13, v5
	s_delay_alu instid0(VALU_DEP_1) | instskip(NEXT) | instid1(VALU_DEP_1)
	v_add_nc_u32_e32 v6, v5, v6
	v_lshrrev_b32_e32 v6, s14, v6
	s_delay_alu instid0(VALU_DEP_1) | instskip(SKIP_1) | instid1(VALU_DEP_2)
	v_mul_hi_u32 v7, s16, v6
	v_mul_lo_u32 v10, v6, s12
	v_add_nc_u32_e32 v7, v6, v7
	s_delay_alu instid0(VALU_DEP_2) | instskip(NEXT) | instid1(VALU_DEP_2)
	v_sub_nc_u32_e32 v10, v5, v10
	v_lshrrev_b32_e32 v7, s17, v7
	s_delay_alu instid0(VALU_DEP_2) | instskip(NEXT) | instid1(VALU_DEP_2)
	v_mul_lo_u32 v10, v10, s28
	v_mul_hi_u32 v8, s19, v7
	v_mul_lo_u32 v11, v7, s15
	s_delay_alu instid0(VALU_DEP_2) | instskip(NEXT) | instid1(VALU_DEP_2)
	v_add_nc_u32_e32 v8, v7, v8
	v_sub_nc_u32_e32 v6, v6, v11
	s_delay_alu instid0(VALU_DEP_2) | instskip(NEXT) | instid1(VALU_DEP_2)
	v_lshrrev_b32_e32 v8, s24, v8
	v_mul_lo_u32 v6, v6, s29
	s_delay_alu instid0(VALU_DEP_2) | instskip(NEXT) | instid1(VALU_DEP_2)
	v_mul_hi_u32 v9, s26, v8
	v_add3_u32 v3, v10, v3, v6
	s_delay_alu instid0(VALU_DEP_2) | instskip(NEXT) | instid1(VALU_DEP_1)
	v_add_nc_u32_e32 v9, v8, v9
	v_lshrrev_b32_e32 v5, s27, v9
	v_mul_lo_u32 v9, v8, s18
	s_delay_alu instid0(VALU_DEP_2) | instskip(NEXT) | instid1(VALU_DEP_2)
	v_mul_lo_u32 v12, v5, s25
	v_sub_nc_u32_e32 v7, v7, v9
	s_delay_alu instid0(VALU_DEP_2) | instskip(NEXT) | instid1(VALU_DEP_2)
	v_sub_nc_u32_e32 v8, v8, v12
	v_mul_lo_u32 v7, v7, s30
	s_delay_alu instid0(VALU_DEP_2) | instskip(NEXT) | instid1(VALU_DEP_1)
	v_mul_lo_u32 v8, v8, s31
	v_add3_u32 v3, v7, v3, v8
	s_cbranch_scc1 .LBB45_59
; %bb.60:
	s_and_b32 s7, s7, 3
	s_delay_alu instid0(SALU_CYCLE_1)
	s_cmp_eq_u32 s7, 0
	s_cbranch_scc0 .LBB45_63
	s_branch .LBB45_65
.LBB45_61:
	s_mov_b32 s6, -1
                                        ; implicit-def: $vgpr3
	s_branch .LBB45_65
.LBB45_62:
	v_mov_b32_e32 v5, v4
	s_and_b32 s7, s7, 3
	s_delay_alu instid0(SALU_CYCLE_1)
	s_cmp_eq_u32 s7, 0
	s_cbranch_scc1 .LBB45_65
.LBB45_63:
	s_lshl_b32 s2, s8, 2
	s_mul_i32 s4, s8, 12
	s_add_u32 s2, s2, s0
	s_addc_u32 s3, 0, s1
	s_add_u32 s2, s2, 0xc4
	s_addc_u32 s3, s3, 0
	;; [unrolled: 2-line block ×3, first 2 shown]
	.p2align	6
.LBB45_64:                              ; =>This Inner Loop Header: Depth=1
	s_clause 0x1
	s_load_b64 s[8:9], s[4:5], 0x4
	s_load_b32 s10, s[4:5], 0xc
	s_add_u32 s4, s4, 12
	s_addc_u32 s5, s5, 0
	s_waitcnt lgkmcnt(0)
	v_mul_hi_u32 v6, s9, v5
	s_load_b32 s9, s[2:3], 0x0
	s_add_u32 s2, s2, 4
	s_addc_u32 s3, s3, 0
	s_add_i32 s7, s7, -1
	s_delay_alu instid0(SALU_CYCLE_1) | instskip(NEXT) | instid1(VALU_DEP_1)
	s_cmp_lg_u32 s7, 0
	v_add_nc_u32_e32 v6, v5, v6
	s_delay_alu instid0(VALU_DEP_1) | instskip(NEXT) | instid1(VALU_DEP_1)
	v_lshrrev_b32_e32 v8, s10, v6
	v_mul_lo_u32 v6, v8, s8
	s_delay_alu instid0(VALU_DEP_1) | instskip(SKIP_1) | instid1(VALU_DEP_1)
	v_sub_nc_u32_e32 v5, v5, v6
	s_waitcnt lgkmcnt(0)
	v_mad_u64_u32 v[6:7], null, v5, s9, v[3:4]
	v_mov_b32_e32 v5, v8
	s_delay_alu instid0(VALU_DEP_2)
	v_mov_b32_e32 v3, v6
	s_cbranch_scc1 .LBB45_64
.LBB45_65:
	s_and_not1_b32 vcc_lo, exec_lo, s6
	s_cbranch_vccnz .LBB45_68
; %bb.66:
	s_clause 0x1
	s_load_b128 s[4:7], s[0:1], 0x4
	s_load_b32 s2, s[0:1], 0xc4
	s_cmp_lt_u32 s20, 2
	s_waitcnt lgkmcnt(0)
	v_mul_hi_u32 v3, s5, v4
	s_delay_alu instid0(VALU_DEP_1) | instskip(NEXT) | instid1(VALU_DEP_1)
	v_add_nc_u32_e32 v3, v4, v3
	v_lshrrev_b32_e32 v5, s6, v3
	s_delay_alu instid0(VALU_DEP_1) | instskip(NEXT) | instid1(VALU_DEP_1)
	v_mul_lo_u32 v3, v5, s4
	v_sub_nc_u32_e32 v3, v4, v3
	s_delay_alu instid0(VALU_DEP_1)
	v_mul_lo_u32 v3, v3, s2
	s_cbranch_scc1 .LBB45_68
; %bb.67:
	s_clause 0x1
	s_load_b128 s[4:7], s[0:1], 0x10
	s_load_b32 s2, s[0:1], 0xc8
	s_waitcnt lgkmcnt(0)
	v_mul_hi_u32 v4, s5, v5
	s_delay_alu instid0(VALU_DEP_1) | instskip(NEXT) | instid1(VALU_DEP_1)
	v_add_nc_u32_e32 v4, v5, v4
	v_lshrrev_b32_e32 v4, s6, v4
	s_delay_alu instid0(VALU_DEP_1) | instskip(NEXT) | instid1(VALU_DEP_1)
	v_mul_lo_u32 v4, v4, s4
	v_sub_nc_u32_e32 v6, v5, v4
	s_delay_alu instid0(VALU_DEP_1) | instskip(NEXT) | instid1(VALU_DEP_1)
	v_mad_u64_u32 v[4:5], null, v6, s2, v[3:4]
	v_mov_b32_e32 v3, v4
.LBB45_68:
	s_load_b128 s[0:3], s[0:1], 0x108
	s_waitcnt lgkmcnt(0)
	v_dual_mov_b32 v5, s3 :: v_dual_mov_b32 v4, s2
	s_clause 0x3
	global_store_b64 v0, v[4:5], s[0:1]
	global_store_b64 v1, v[4:5], s[0:1]
	;; [unrolled: 1-line block ×4, first 2 shown]
	s_nop 0
	s_sendmsg sendmsg(MSG_DEALLOC_VGPRS)
	s_endpgm
.LBB45_69:
	v_mov_b32_e32 v1, v2
.LBB45_70:
	s_and_b32 s30, s30, 3
	s_delay_alu instid0(SALU_CYCLE_1)
	s_cmp_eq_u32 s30, 0
	s_cbranch_scc1 .LBB45_73
; %bb.71:
	s_lshl_b32 s16, s29, 2
	s_mul_i32 s18, s29, 12
	s_add_u32 s16, s16, s0
	s_addc_u32 s17, s1, 0
	s_add_u32 s16, s16, 0xc4
	s_addc_u32 s17, s17, 0
	;; [unrolled: 2-line block ×3, first 2 shown]
	.p2align	6
.LBB45_72:                              ; =>This Inner Loop Header: Depth=1
	s_clause 0x1
	s_load_b64 s[34:35], s[18:19], 0x4
	s_load_b32 s29, s[18:19], 0xc
	s_load_b32 s31, s[16:17], 0x0
	s_add_u32 s18, s18, 12
	s_addc_u32 s19, s19, 0
	s_add_u32 s16, s16, 4
	s_addc_u32 s17, s17, 0
	s_add_i32 s30, s30, -1
	s_delay_alu instid0(SALU_CYCLE_1) | instskip(SKIP_2) | instid1(VALU_DEP_1)
	s_cmp_lg_u32 s30, 0
	s_waitcnt lgkmcnt(0)
	v_mul_hi_u32 v3, s35, v1
	v_add_nc_u32_e32 v3, v1, v3
	s_delay_alu instid0(VALU_DEP_1) | instskip(NEXT) | instid1(VALU_DEP_1)
	v_lshrrev_b32_e32 v5, s29, v3
	v_mul_lo_u32 v3, v5, s34
	s_delay_alu instid0(VALU_DEP_1) | instskip(NEXT) | instid1(VALU_DEP_1)
	v_sub_nc_u32_e32 v1, v1, v3
	v_mad_u64_u32 v[3:4], null, v1, s31, v[0:1]
	s_delay_alu instid0(VALU_DEP_1)
	v_dual_mov_b32 v1, v5 :: v_dual_mov_b32 v0, v3
	s_cbranch_scc1 .LBB45_72
.LBB45_73:
	s_cbranch_execnz .LBB45_76
.LBB45_74:
	s_waitcnt lgkmcnt(0)
	v_mul_hi_u32 v0, s9, v2
	s_and_not1_b32 vcc_lo, exec_lo, s24
	s_delay_alu instid0(VALU_DEP_1) | instskip(NEXT) | instid1(VALU_DEP_1)
	v_add_nc_u32_e32 v0, v2, v0
	v_lshrrev_b32_e32 v1, s10, v0
	s_delay_alu instid0(VALU_DEP_1) | instskip(NEXT) | instid1(VALU_DEP_1)
	v_mul_lo_u32 v0, v1, s8
	v_sub_nc_u32_e32 v0, v2, v0
	s_delay_alu instid0(VALU_DEP_1)
	v_mul_lo_u32 v0, v0, s2
	s_cbranch_vccnz .LBB45_76
; %bb.75:
	v_mul_hi_u32 v3, s12, v1
	s_delay_alu instid0(VALU_DEP_1) | instskip(NEXT) | instid1(VALU_DEP_1)
	v_add_nc_u32_e32 v3, v1, v3
	v_lshrrev_b32_e32 v3, s13, v3
	s_delay_alu instid0(VALU_DEP_1) | instskip(NEXT) | instid1(VALU_DEP_1)
	v_mul_lo_u32 v3, v3, s11
	v_sub_nc_u32_e32 v1, v1, v3
	s_delay_alu instid0(VALU_DEP_1) | instskip(NEXT) | instid1(VALU_DEP_1)
	v_mad_u64_u32 v[3:4], null, v1, s3, v[0:1]
	v_mov_b32_e32 v0, v3
.LBB45_76:
	s_waitcnt lgkmcnt(0)
	v_dual_mov_b32 v3, s6 :: v_dual_mov_b32 v4, s7
	v_add_nc_u32_e32 v2, 0x80, v2
	global_store_b64 v0, v[3:4], s[4:5]
	s_or_b32 exec_lo, exec_lo, s28
	s_delay_alu instid0(SALU_CYCLE_1)
	s_mov_b32 s28, exec_lo
	v_cmpx_gt_i32_e64 s25, v2
	s_cbranch_execnz .LBB45_15
.LBB45_77:
	s_or_b32 exec_lo, exec_lo, s28
	s_delay_alu instid0(SALU_CYCLE_1)
	s_mov_b32 s28, exec_lo
	v_cmpx_gt_i32_e64 s25, v2
	s_cbranch_execz .LBB45_92
.LBB45_78:
	s_and_not1_b32 vcc_lo, exec_lo, s22
	s_cbranch_vccnz .LBB45_83
; %bb.79:
	v_mov_b32_e32 v0, 0
	s_and_not1_b32 vcc_lo, exec_lo, s27
	s_cbranch_vccnz .LBB45_99
; %bb.80:
	s_add_i32 s30, s26, 1
	s_cmp_eq_u32 s21, 2
	s_mov_b32 s29, 0
	s_cbranch_scc1 .LBB45_95
; %bb.81:
	v_dual_mov_b32 v0, 0 :: v_dual_mov_b32 v1, v2
	s_and_b32 s29, s30, 28
	s_mov_b32 s31, 0
	s_mov_b64 s[16:17], s[0:1]
	s_mov_b64 s[18:19], s[14:15]
.LBB45_82:                              ; =>This Inner Loop Header: Depth=1
	s_clause 0x1
	s_load_b256 s[36:43], s[16:17], 0x4
	s_load_b128 s[44:47], s[16:17], 0x24
	s_load_b128 s[48:51], s[18:19], 0x0
	s_add_u32 s16, s16, 48
	s_addc_u32 s17, s17, 0
	s_add_i32 s31, s31, 4
	s_add_u32 s18, s18, 16
	s_addc_u32 s19, s19, 0
	s_cmp_eq_u32 s29, s31
	s_waitcnt lgkmcnt(0)
	v_mul_hi_u32 v3, s37, v1
	s_delay_alu instid0(VALU_DEP_1) | instskip(NEXT) | instid1(VALU_DEP_1)
	v_add_nc_u32_e32 v3, v1, v3
	v_lshrrev_b32_e32 v3, s38, v3
	s_delay_alu instid0(VALU_DEP_1) | instskip(SKIP_1) | instid1(VALU_DEP_2)
	v_mul_hi_u32 v4, s40, v3
	v_mul_lo_u32 v7, v3, s36
	v_add_nc_u32_e32 v4, v3, v4
	s_delay_alu instid0(VALU_DEP_2) | instskip(NEXT) | instid1(VALU_DEP_2)
	v_sub_nc_u32_e32 v7, v1, v7
	v_lshrrev_b32_e32 v4, s41, v4
	s_delay_alu instid0(VALU_DEP_2) | instskip(NEXT) | instid1(VALU_DEP_2)
	v_mul_lo_u32 v7, v7, s48
	v_mul_hi_u32 v5, s43, v4
	v_mul_lo_u32 v8, v4, s39
	s_delay_alu instid0(VALU_DEP_2) | instskip(NEXT) | instid1(VALU_DEP_2)
	v_add_nc_u32_e32 v5, v4, v5
	v_sub_nc_u32_e32 v3, v3, v8
	s_delay_alu instid0(VALU_DEP_2) | instskip(NEXT) | instid1(VALU_DEP_2)
	v_lshrrev_b32_e32 v5, s44, v5
	v_mul_lo_u32 v3, v3, s49
	s_delay_alu instid0(VALU_DEP_2) | instskip(NEXT) | instid1(VALU_DEP_2)
	v_mul_hi_u32 v6, s46, v5
	v_add3_u32 v0, v7, v0, v3
	s_delay_alu instid0(VALU_DEP_2) | instskip(NEXT) | instid1(VALU_DEP_1)
	v_add_nc_u32_e32 v6, v5, v6
	v_lshrrev_b32_e32 v1, s47, v6
	v_mul_lo_u32 v6, v5, s42
	s_delay_alu instid0(VALU_DEP_2) | instskip(NEXT) | instid1(VALU_DEP_2)
	v_mul_lo_u32 v9, v1, s45
	v_sub_nc_u32_e32 v4, v4, v6
	s_delay_alu instid0(VALU_DEP_2) | instskip(NEXT) | instid1(VALU_DEP_2)
	v_sub_nc_u32_e32 v5, v5, v9
	v_mul_lo_u32 v4, v4, s50
	s_delay_alu instid0(VALU_DEP_2) | instskip(NEXT) | instid1(VALU_DEP_1)
	v_mul_lo_u32 v5, v5, s51
	v_add3_u32 v0, v4, v0, v5
	s_cbranch_scc0 .LBB45_82
	s_branch .LBB45_96
.LBB45_83:
                                        ; implicit-def: $vgpr0
	s_branch .LBB45_100
.LBB45_84:
	v_mov_b32_e32 v1, v2
.LBB45_85:
	s_and_b32 s30, s30, 3
	s_delay_alu instid0(SALU_CYCLE_1)
	s_cmp_eq_u32 s30, 0
	s_cbranch_scc1 .LBB45_88
; %bb.86:
	s_lshl_b32 s16, s29, 2
	s_mul_i32 s18, s29, 12
	s_add_u32 s16, s16, s0
	s_addc_u32 s17, s1, 0
	s_add_u32 s16, s16, 0xc4
	s_addc_u32 s17, s17, 0
	;; [unrolled: 2-line block ×3, first 2 shown]
	.p2align	6
.LBB45_87:                              ; =>This Inner Loop Header: Depth=1
	s_clause 0x1
	s_load_b64 s[34:35], s[18:19], 0x4
	s_load_b32 s29, s[18:19], 0xc
	s_load_b32 s31, s[16:17], 0x0
	s_add_u32 s18, s18, 12
	s_addc_u32 s19, s19, 0
	s_add_u32 s16, s16, 4
	s_addc_u32 s17, s17, 0
	s_add_i32 s30, s30, -1
	s_delay_alu instid0(SALU_CYCLE_1) | instskip(SKIP_2) | instid1(VALU_DEP_1)
	s_cmp_lg_u32 s30, 0
	s_waitcnt lgkmcnt(0)
	v_mul_hi_u32 v3, s35, v1
	v_add_nc_u32_e32 v3, v1, v3
	s_delay_alu instid0(VALU_DEP_1) | instskip(NEXT) | instid1(VALU_DEP_1)
	v_lshrrev_b32_e32 v5, s29, v3
	v_mul_lo_u32 v3, v5, s34
	s_delay_alu instid0(VALU_DEP_1) | instskip(NEXT) | instid1(VALU_DEP_1)
	v_sub_nc_u32_e32 v1, v1, v3
	v_mad_u64_u32 v[3:4], null, v1, s31, v[0:1]
	s_delay_alu instid0(VALU_DEP_1)
	v_dual_mov_b32 v1, v5 :: v_dual_mov_b32 v0, v3
	s_cbranch_scc1 .LBB45_87
.LBB45_88:
	s_cbranch_execnz .LBB45_91
.LBB45_89:
	s_waitcnt lgkmcnt(0)
	v_mul_hi_u32 v0, s9, v2
	s_and_not1_b32 vcc_lo, exec_lo, s24
	s_delay_alu instid0(VALU_DEP_1) | instskip(NEXT) | instid1(VALU_DEP_1)
	v_add_nc_u32_e32 v0, v2, v0
	v_lshrrev_b32_e32 v1, s10, v0
	s_delay_alu instid0(VALU_DEP_1) | instskip(NEXT) | instid1(VALU_DEP_1)
	v_mul_lo_u32 v0, v1, s8
	v_sub_nc_u32_e32 v0, v2, v0
	s_delay_alu instid0(VALU_DEP_1)
	v_mul_lo_u32 v0, v0, s2
	s_cbranch_vccnz .LBB45_91
; %bb.90:
	v_mul_hi_u32 v3, s12, v1
	s_delay_alu instid0(VALU_DEP_1) | instskip(NEXT) | instid1(VALU_DEP_1)
	v_add_nc_u32_e32 v3, v1, v3
	v_lshrrev_b32_e32 v3, s13, v3
	s_delay_alu instid0(VALU_DEP_1) | instskip(NEXT) | instid1(VALU_DEP_1)
	v_mul_lo_u32 v3, v3, s11
	v_sub_nc_u32_e32 v1, v1, v3
	s_delay_alu instid0(VALU_DEP_1) | instskip(NEXT) | instid1(VALU_DEP_1)
	v_mad_u64_u32 v[3:4], null, v1, s3, v[0:1]
	v_mov_b32_e32 v0, v3
.LBB45_91:
	s_waitcnt lgkmcnt(0)
	v_dual_mov_b32 v3, s6 :: v_dual_mov_b32 v4, s7
	v_add_nc_u32_e32 v2, 0x80, v2
	global_store_b64 v0, v[3:4], s[4:5]
	s_or_b32 exec_lo, exec_lo, s28
	s_delay_alu instid0(SALU_CYCLE_1)
	s_mov_b32 s28, exec_lo
	v_cmpx_gt_i32_e64 s25, v2
	s_cbranch_execnz .LBB45_78
.LBB45_92:
	s_or_b32 exec_lo, exec_lo, s28
	s_delay_alu instid0(SALU_CYCLE_1)
	s_mov_b32 s18, exec_lo
	v_cmpx_gt_i32_e64 s25, v2
	s_cbranch_execnz .LBB45_103
.LBB45_93:
	s_or_b32 exec_lo, exec_lo, s18
                                        ; implicit-def: $vgpr4
                                        ; implicit-def: $vgpr2
	s_waitcnt lgkmcnt(0)
	s_and_not1_saveexec_b32 s2, s23
	s_cbranch_execnz .LBB45_8
.LBB45_94:
	s_nop 0
	s_sendmsg sendmsg(MSG_DEALLOC_VGPRS)
	s_endpgm
.LBB45_95:
	v_mov_b32_e32 v1, v2
.LBB45_96:
	s_and_b32 s30, s30, 3
	s_delay_alu instid0(SALU_CYCLE_1)
	s_cmp_eq_u32 s30, 0
	s_cbranch_scc1 .LBB45_99
; %bb.97:
	s_lshl_b32 s16, s29, 2
	s_mul_i32 s18, s29, 12
	s_add_u32 s16, s16, s0
	s_addc_u32 s17, s1, 0
	s_add_u32 s16, s16, 0xc4
	s_addc_u32 s17, s17, 0
	;; [unrolled: 2-line block ×3, first 2 shown]
	.p2align	6
.LBB45_98:                              ; =>This Inner Loop Header: Depth=1
	s_clause 0x1
	s_load_b64 s[34:35], s[18:19], 0x4
	s_load_b32 s29, s[18:19], 0xc
	s_load_b32 s31, s[16:17], 0x0
	s_add_u32 s18, s18, 12
	s_addc_u32 s19, s19, 0
	s_add_u32 s16, s16, 4
	s_addc_u32 s17, s17, 0
	s_add_i32 s30, s30, -1
	s_delay_alu instid0(SALU_CYCLE_1) | instskip(SKIP_2) | instid1(VALU_DEP_1)
	s_cmp_lg_u32 s30, 0
	s_waitcnt lgkmcnt(0)
	v_mul_hi_u32 v3, s35, v1
	v_add_nc_u32_e32 v3, v1, v3
	s_delay_alu instid0(VALU_DEP_1) | instskip(NEXT) | instid1(VALU_DEP_1)
	v_lshrrev_b32_e32 v5, s29, v3
	v_mul_lo_u32 v3, v5, s34
	s_delay_alu instid0(VALU_DEP_1) | instskip(NEXT) | instid1(VALU_DEP_1)
	v_sub_nc_u32_e32 v1, v1, v3
	v_mad_u64_u32 v[3:4], null, v1, s31, v[0:1]
	s_delay_alu instid0(VALU_DEP_1)
	v_dual_mov_b32 v1, v5 :: v_dual_mov_b32 v0, v3
	s_cbranch_scc1 .LBB45_98
.LBB45_99:
	s_cbranch_execnz .LBB45_102
.LBB45_100:
	s_waitcnt lgkmcnt(0)
	v_mul_hi_u32 v0, s9, v2
	s_and_not1_b32 vcc_lo, exec_lo, s24
	s_delay_alu instid0(VALU_DEP_1) | instskip(NEXT) | instid1(VALU_DEP_1)
	v_add_nc_u32_e32 v0, v2, v0
	v_lshrrev_b32_e32 v1, s10, v0
	s_delay_alu instid0(VALU_DEP_1) | instskip(NEXT) | instid1(VALU_DEP_1)
	v_mul_lo_u32 v0, v1, s8
	v_sub_nc_u32_e32 v0, v2, v0
	s_delay_alu instid0(VALU_DEP_1)
	v_mul_lo_u32 v0, v0, s2
	s_cbranch_vccnz .LBB45_102
; %bb.101:
	v_mul_hi_u32 v3, s12, v1
	s_delay_alu instid0(VALU_DEP_1) | instskip(NEXT) | instid1(VALU_DEP_1)
	v_add_nc_u32_e32 v3, v1, v3
	v_lshrrev_b32_e32 v3, s13, v3
	s_delay_alu instid0(VALU_DEP_1) | instskip(NEXT) | instid1(VALU_DEP_1)
	v_mul_lo_u32 v3, v3, s11
	v_sub_nc_u32_e32 v1, v1, v3
	s_delay_alu instid0(VALU_DEP_1) | instskip(NEXT) | instid1(VALU_DEP_1)
	v_mad_u64_u32 v[3:4], null, v1, s3, v[0:1]
	v_mov_b32_e32 v0, v3
.LBB45_102:
	s_waitcnt lgkmcnt(0)
	v_dual_mov_b32 v3, s6 :: v_dual_mov_b32 v4, s7
	v_add_nc_u32_e32 v2, 0x80, v2
	global_store_b64 v0, v[3:4], s[4:5]
	s_or_b32 exec_lo, exec_lo, s28
	s_delay_alu instid0(SALU_CYCLE_1)
	s_mov_b32 s18, exec_lo
	v_cmpx_gt_i32_e64 s25, v2
	s_cbranch_execz .LBB45_93
.LBB45_103:
	s_and_not1_b32 vcc_lo, exec_lo, s22
	s_cbranch_vccnz .LBB45_108
; %bb.104:
	v_mov_b32_e32 v0, 0
	s_and_not1_b32 vcc_lo, exec_lo, s27
	s_cbranch_vccnz .LBB45_113
; %bb.105:
	s_add_i32 s26, s26, 1
	s_cmp_eq_u32 s21, 2
	s_mov_b32 s19, 0
	s_cbranch_scc1 .LBB45_109
; %bb.106:
	v_dual_mov_b32 v0, 0 :: v_dual_mov_b32 v1, v2
	s_and_b32 s19, s26, 28
	s_mov_b32 s25, 0
	s_mov_b64 s[16:17], s[0:1]
.LBB45_107:                             ; =>This Inner Loop Header: Depth=1
	s_clause 0x1
	s_load_b256 s[36:43], s[16:17], 0x4
	s_load_b128 s[28:31], s[16:17], 0x24
	s_load_b128 s[44:47], s[14:15], 0x0
	s_add_u32 s16, s16, 48
	s_addc_u32 s17, s17, 0
	s_add_i32 s25, s25, 4
	s_add_u32 s14, s14, 16
	s_addc_u32 s15, s15, 0
	s_cmp_eq_u32 s19, s25
	s_waitcnt lgkmcnt(0)
	v_mul_hi_u32 v3, s37, v1
	s_delay_alu instid0(VALU_DEP_1) | instskip(NEXT) | instid1(VALU_DEP_1)
	v_add_nc_u32_e32 v3, v1, v3
	v_lshrrev_b32_e32 v3, s38, v3
	s_delay_alu instid0(VALU_DEP_1) | instskip(SKIP_1) | instid1(VALU_DEP_2)
	v_mul_hi_u32 v4, s40, v3
	v_mul_lo_u32 v7, v3, s36
	v_add_nc_u32_e32 v4, v3, v4
	s_delay_alu instid0(VALU_DEP_2) | instskip(NEXT) | instid1(VALU_DEP_2)
	v_sub_nc_u32_e32 v7, v1, v7
	v_lshrrev_b32_e32 v4, s41, v4
	s_delay_alu instid0(VALU_DEP_2) | instskip(NEXT) | instid1(VALU_DEP_2)
	v_mul_lo_u32 v7, v7, s44
	v_mul_hi_u32 v5, s43, v4
	v_mul_lo_u32 v8, v4, s39
	s_delay_alu instid0(VALU_DEP_2) | instskip(NEXT) | instid1(VALU_DEP_2)
	v_add_nc_u32_e32 v5, v4, v5
	v_sub_nc_u32_e32 v3, v3, v8
	s_delay_alu instid0(VALU_DEP_2) | instskip(NEXT) | instid1(VALU_DEP_2)
	v_lshrrev_b32_e32 v5, s28, v5
	v_mul_lo_u32 v3, v3, s45
	s_delay_alu instid0(VALU_DEP_2) | instskip(NEXT) | instid1(VALU_DEP_2)
	v_mul_hi_u32 v6, s30, v5
	v_add3_u32 v0, v7, v0, v3
	s_delay_alu instid0(VALU_DEP_2) | instskip(NEXT) | instid1(VALU_DEP_1)
	v_add_nc_u32_e32 v6, v5, v6
	v_lshrrev_b32_e32 v1, s31, v6
	v_mul_lo_u32 v6, v5, s42
	s_delay_alu instid0(VALU_DEP_2) | instskip(NEXT) | instid1(VALU_DEP_2)
	v_mul_lo_u32 v9, v1, s29
	v_sub_nc_u32_e32 v4, v4, v6
	s_delay_alu instid0(VALU_DEP_2) | instskip(NEXT) | instid1(VALU_DEP_2)
	v_sub_nc_u32_e32 v5, v5, v9
	v_mul_lo_u32 v4, v4, s46
	s_delay_alu instid0(VALU_DEP_2) | instskip(NEXT) | instid1(VALU_DEP_1)
	v_mul_lo_u32 v5, v5, s47
	v_add3_u32 v0, v4, v0, v5
	s_cbranch_scc0 .LBB45_107
	s_branch .LBB45_110
.LBB45_108:
                                        ; implicit-def: $vgpr0
	s_branch .LBB45_114
.LBB45_109:
	v_mov_b32_e32 v1, v2
.LBB45_110:
	s_and_b32 s25, s26, 3
	s_delay_alu instid0(SALU_CYCLE_1)
	s_cmp_eq_u32 s25, 0
	s_cbranch_scc1 .LBB45_113
; %bb.111:
	s_lshl_b32 s14, s19, 2
	s_mul_i32 s16, s19, 12
	s_add_u32 s14, s14, s0
	s_addc_u32 s15, s1, 0
	s_add_u32 s14, s14, 0xc4
	s_addc_u32 s15, s15, 0
	;; [unrolled: 2-line block ×3, first 2 shown]
	.p2align	6
.LBB45_112:                             ; =>This Inner Loop Header: Depth=1
	s_clause 0x1
	s_load_b64 s[26:27], s[16:17], 0x4
	s_load_b32 s19, s[16:17], 0xc
	s_add_u32 s16, s16, 12
	s_addc_u32 s17, s17, 0
	s_waitcnt lgkmcnt(0)
	v_mul_hi_u32 v3, s27, v1
	s_load_b32 s27, s[14:15], 0x0
	s_add_u32 s14, s14, 4
	s_addc_u32 s15, s15, 0
	s_add_i32 s25, s25, -1
	s_delay_alu instid0(SALU_CYCLE_1) | instskip(NEXT) | instid1(VALU_DEP_1)
	s_cmp_lg_u32 s25, 0
	v_add_nc_u32_e32 v3, v1, v3
	s_delay_alu instid0(VALU_DEP_1) | instskip(NEXT) | instid1(VALU_DEP_1)
	v_lshrrev_b32_e32 v5, s19, v3
	v_mul_lo_u32 v3, v5, s26
	s_delay_alu instid0(VALU_DEP_1) | instskip(SKIP_1) | instid1(VALU_DEP_1)
	v_sub_nc_u32_e32 v1, v1, v3
	s_waitcnt lgkmcnt(0)
	v_mad_u64_u32 v[3:4], null, v1, s27, v[0:1]
	s_delay_alu instid0(VALU_DEP_1)
	v_dual_mov_b32 v1, v5 :: v_dual_mov_b32 v0, v3
	s_cbranch_scc1 .LBB45_112
.LBB45_113:
	s_cbranch_execnz .LBB45_116
.LBB45_114:
	s_waitcnt lgkmcnt(0)
	v_mul_hi_u32 v0, s9, v2
	s_and_not1_b32 vcc_lo, exec_lo, s24
	s_delay_alu instid0(VALU_DEP_1) | instskip(NEXT) | instid1(VALU_DEP_1)
	v_add_nc_u32_e32 v0, v2, v0
	v_lshrrev_b32_e32 v1, s10, v0
	s_delay_alu instid0(VALU_DEP_1) | instskip(NEXT) | instid1(VALU_DEP_1)
	v_mul_lo_u32 v0, v1, s8
	v_sub_nc_u32_e32 v0, v2, v0
	s_delay_alu instid0(VALU_DEP_1)
	v_mul_lo_u32 v0, v0, s2
	s_cbranch_vccnz .LBB45_116
; %bb.115:
	v_mul_hi_u32 v2, s12, v1
	s_delay_alu instid0(VALU_DEP_1) | instskip(NEXT) | instid1(VALU_DEP_1)
	v_add_nc_u32_e32 v2, v1, v2
	v_lshrrev_b32_e32 v2, s13, v2
	s_delay_alu instid0(VALU_DEP_1) | instskip(NEXT) | instid1(VALU_DEP_1)
	v_mul_lo_u32 v2, v2, s11
	v_sub_nc_u32_e32 v3, v1, v2
	s_delay_alu instid0(VALU_DEP_1) | instskip(NEXT) | instid1(VALU_DEP_1)
	v_mad_u64_u32 v[1:2], null, v3, s3, v[0:1]
	v_mov_b32_e32 v0, v1
.LBB45_116:
	s_waitcnt lgkmcnt(0)
	v_dual_mov_b32 v1, s6 :: v_dual_mov_b32 v2, s7
	global_store_b64 v0, v[1:2], s[4:5]
	s_or_b32 exec_lo, exec_lo, s18
                                        ; implicit-def: $vgpr4
                                        ; implicit-def: $vgpr2
	s_and_not1_saveexec_b32 s2, s23
	s_cbranch_execz .LBB45_94
	s_branch .LBB45_8
	.section	.rodata,"a",@progbits
	.p2align	6, 0x0
	.amdhsa_kernel _ZN2at6native32elementwise_kernel_manual_unrollILi128ELi4EZNS0_22gpu_kernel_impl_nocastINS0_11FillFunctorIdEEEEvRNS_18TensorIteratorBaseERKT_EUlibE_EEviT1_
		.amdhsa_group_segment_fixed_size 0
		.amdhsa_private_segment_fixed_size 0
		.amdhsa_kernarg_size 288
		.amdhsa_user_sgpr_count 15
		.amdhsa_user_sgpr_dispatch_ptr 0
		.amdhsa_user_sgpr_queue_ptr 0
		.amdhsa_user_sgpr_kernarg_segment_ptr 1
		.amdhsa_user_sgpr_dispatch_id 0
		.amdhsa_user_sgpr_private_segment_size 0
		.amdhsa_wavefront_size32 1
		.amdhsa_uses_dynamic_stack 0
		.amdhsa_enable_private_segment 0
		.amdhsa_system_sgpr_workgroup_id_x 1
		.amdhsa_system_sgpr_workgroup_id_y 0
		.amdhsa_system_sgpr_workgroup_id_z 0
		.amdhsa_system_sgpr_workgroup_info 0
		.amdhsa_system_vgpr_workitem_id 0
		.amdhsa_next_free_vgpr 14
		.amdhsa_next_free_sgpr 52
		.amdhsa_reserve_vcc 1
		.amdhsa_float_round_mode_32 0
		.amdhsa_float_round_mode_16_64 0
		.amdhsa_float_denorm_mode_32 3
		.amdhsa_float_denorm_mode_16_64 3
		.amdhsa_dx10_clamp 1
		.amdhsa_ieee_mode 1
		.amdhsa_fp16_overflow 0
		.amdhsa_workgroup_processor_mode 1
		.amdhsa_memory_ordered 1
		.amdhsa_forward_progress 0
		.amdhsa_shared_vgpr_count 0
		.amdhsa_exception_fp_ieee_invalid_op 0
		.amdhsa_exception_fp_denorm_src 0
		.amdhsa_exception_fp_ieee_div_zero 0
		.amdhsa_exception_fp_ieee_overflow 0
		.amdhsa_exception_fp_ieee_underflow 0
		.amdhsa_exception_fp_ieee_inexact 0
		.amdhsa_exception_int_div_zero 0
	.end_amdhsa_kernel
	.section	.text._ZN2at6native32elementwise_kernel_manual_unrollILi128ELi4EZNS0_22gpu_kernel_impl_nocastINS0_11FillFunctorIdEEEEvRNS_18TensorIteratorBaseERKT_EUlibE_EEviT1_,"axG",@progbits,_ZN2at6native32elementwise_kernel_manual_unrollILi128ELi4EZNS0_22gpu_kernel_impl_nocastINS0_11FillFunctorIdEEEEvRNS_18TensorIteratorBaseERKT_EUlibE_EEviT1_,comdat
.Lfunc_end45:
	.size	_ZN2at6native32elementwise_kernel_manual_unrollILi128ELi4EZNS0_22gpu_kernel_impl_nocastINS0_11FillFunctorIdEEEEvRNS_18TensorIteratorBaseERKT_EUlibE_EEviT1_, .Lfunc_end45-_ZN2at6native32elementwise_kernel_manual_unrollILi128ELi4EZNS0_22gpu_kernel_impl_nocastINS0_11FillFunctorIdEEEEvRNS_18TensorIteratorBaseERKT_EUlibE_EEviT1_
                                        ; -- End function
	.section	.AMDGPU.csdata,"",@progbits
; Kernel info:
; codeLenInByte = 5916
; NumSgprs: 54
; NumVgprs: 14
; ScratchSize: 0
; MemoryBound: 0
; FloatMode: 240
; IeeeMode: 1
; LDSByteSize: 0 bytes/workgroup (compile time only)
; SGPRBlocks: 6
; VGPRBlocks: 1
; NumSGPRsForWavesPerEU: 54
; NumVGPRsForWavesPerEU: 14
; Occupancy: 16
; WaveLimiterHint : 1
; COMPUTE_PGM_RSRC2:SCRATCH_EN: 0
; COMPUTE_PGM_RSRC2:USER_SGPR: 15
; COMPUTE_PGM_RSRC2:TRAP_HANDLER: 0
; COMPUTE_PGM_RSRC2:TGID_X_EN: 1
; COMPUTE_PGM_RSRC2:TGID_Y_EN: 0
; COMPUTE_PGM_RSRC2:TGID_Z_EN: 0
; COMPUTE_PGM_RSRC2:TIDIG_COMP_CNT: 0
	.section	.text._ZN2at6native32elementwise_kernel_manual_unrollILi128ELi4EZNS0_15gpu_kernel_implINS0_11FillFunctorIdEEEEvRNS_18TensorIteratorBaseERKT_EUlibE_EEviT1_,"axG",@progbits,_ZN2at6native32elementwise_kernel_manual_unrollILi128ELi4EZNS0_15gpu_kernel_implINS0_11FillFunctorIdEEEEvRNS_18TensorIteratorBaseERKT_EUlibE_EEviT1_,comdat
	.protected	_ZN2at6native32elementwise_kernel_manual_unrollILi128ELi4EZNS0_15gpu_kernel_implINS0_11FillFunctorIdEEEEvRNS_18TensorIteratorBaseERKT_EUlibE_EEviT1_ ; -- Begin function _ZN2at6native32elementwise_kernel_manual_unrollILi128ELi4EZNS0_15gpu_kernel_implINS0_11FillFunctorIdEEEEvRNS_18TensorIteratorBaseERKT_EUlibE_EEviT1_
	.globl	_ZN2at6native32elementwise_kernel_manual_unrollILi128ELi4EZNS0_15gpu_kernel_implINS0_11FillFunctorIdEEEEvRNS_18TensorIteratorBaseERKT_EUlibE_EEviT1_
	.p2align	8
	.type	_ZN2at6native32elementwise_kernel_manual_unrollILi128ELi4EZNS0_15gpu_kernel_implINS0_11FillFunctorIdEEEEvRNS_18TensorIteratorBaseERKT_EUlibE_EEviT1_,@function
_ZN2at6native32elementwise_kernel_manual_unrollILi128ELi4EZNS0_15gpu_kernel_implINS0_11FillFunctorIdEEEEvRNS_18TensorIteratorBaseERKT_EUlibE_EEviT1_: ; @_ZN2at6native32elementwise_kernel_manual_unrollILi128ELi4EZNS0_15gpu_kernel_implINS0_11FillFunctorIdEEEEvRNS_18TensorIteratorBaseERKT_EUlibE_EEviT1_
; %bb.0:
	s_clause 0x4
	s_load_b32 s28, s[0:1], 0x0
	s_load_b64 s[4:5], s[0:1], 0x8
	s_load_b32 s6, s[0:1], 0x10
	s_load_b64 s[2:3], s[0:1], 0x18
	s_load_b32 s9, s[0:1], 0x20
	v_lshl_or_b32 v17, s15, 9, v0
	s_mov_b32 s8, 0
	s_mov_b32 s1, 0
	s_mov_b32 s0, exec_lo
	s_delay_alu instid0(VALU_DEP_1) | instskip(SKIP_1) | instid1(VALU_DEP_1)
	v_or_b32_e32 v0, 0x180, v17
	s_waitcnt lgkmcnt(0)
	v_cmpx_le_i32_e64 s28, v0
	s_xor_b32 s7, exec_lo, s0
	s_cbranch_execz .LBB46_151
; %bb.1:
	v_trunc_f64_e32 v[0:1], s[2:3]
	v_cvt_f32_f64_e32 v2, s[2:3]
	v_cmp_neq_f64_e64 s0, s[2:3], 0
	v_cvt_u32_f64_e32 v15, s[2:3]
	v_cvt_i32_f64_e32 v8, s[2:3]
	s_movk_i32 s1, 0x7f
	s_movk_i32 s16, 0x7c
	s_mov_b32 s31, 0
	s_mov_b32 s33, -1
	s_mov_b32 s30, exec_lo
	v_ldexp_f64 v[3:4], v[0:1], 0xffffffe0
	v_bfe_u32 v5, v2, 23, 8
	v_and_b32_e32 v6, 0x3fffff, v2
	v_readfirstlane_b32 s11, v2
	v_cndmask_b32_e64 v11, 0, 1, s0
	v_add_f32_e64 v16, 0x46000000, |v2|
	v_add_f32_e64 v14, 0x42800000, |v2|
	v_or_b32_e32 v6, v5, v6
	s_and_b32 s21, s11, 0x7fffffff
	v_bfe_u32 v18, v2, 16, 1
	v_lshrrev_b32_e32 v13, 23, v2
	v_readfirstlane_b32 s15, v14
	v_cmp_ne_u32_e64 s0, 0, v6
	v_lshrrev_b32_e32 v6, 24, v2
	v_add_f32_e64 v10, 0x43000000, |v2|
	v_cvt_f16_f32_e32 v9, v2
	s_delay_alu instid0(VALU_DEP_3) | instskip(SKIP_1) | instid1(VALU_DEP_1)
	v_and_b32_e32 v12, 0x80, v6
	v_floor_f64_e32 v[3:4], v[3:4]
	v_fma_f64 v[0:1], 0xc1f00000, v[3:4], v[0:1]
	s_delay_alu instid0(VALU_DEP_1) | instskip(SKIP_2) | instid1(VALU_DEP_2)
	v_cvt_u32_f64_e32 v0, v[0:1]
	v_and_b32_e32 v7, 0x400000, v2
	v_cvt_u32_f64_e32 v1, v[3:4]
	v_cmp_ne_u32_e32 vcc_lo, 0, v7
	v_add_f32_e64 v7, 0x46800000, |v2|
	s_and_b32 s13, vcc_lo, s0
	s_cmp_lt_u32 s21, 0x43800000
	v_readfirstlane_b32 s0, v16
	s_cselect_b32 s26, -1, 0
	s_cmp_gt_u32 s21, 0x3bffffff
	v_cmp_o_f32_e32 vcc_lo, v2, v2
	s_cselect_b32 s24, -1, 0
	s_bfe_u32 s10, s11, 0x10014
	s_and_b32 s0, s0, 0xff
	s_add_i32 s14, s11, s10
	s_delay_alu instid0(SALU_CYCLE_1) | instskip(NEXT) | instid1(SALU_CYCLE_1)
	s_add_i32 s10, s14, 0x487ffff
	s_lshr_b32 s25, s10, 20
	s_cmp_lg_u32 s0, 0
	v_cmp_eq_u32_e64 s0, 0xff, v5
	v_cvt_i32_f64_e32 v5, v[3:4]
	s_cselect_b32 s27, -1, 0
	s_cmp_gt_u32 s21, 0x477fffff
	v_add_nc_u32_e32 v3, v2, v18
	s_cselect_b32 s10, -1, 0
	s_cmp_lt_u32 s21, 0x47800000
	v_cndmask_b32_e64 v4, 0, 1, s13
	s_cselect_b32 s22, -1, 0
	s_cmp_gt_u32 s21, 0x37ffffff
	v_add_nc_u32_e32 v3, 0x7fff, v3
	s_cselect_b32 s18, -1, 0
	s_bfe_u32 s12, s11, 0x10015
	s_and_b32 s15, s15, 0xff
	s_add_i32 s29, s11, s12
	v_lshrrev_b32_e32 v3, 16, v3
	s_add_i32 s11, s29, 0x88fffff
	v_readfirstlane_b32 s12, v7
	s_lshr_b32 s20, s11, 21
	s_cmp_lg_u32 s15, 0
	v_readfirstlane_b32 s11, v10
	s_cselect_b32 s23, -1, 0
	s_cmp_gt_u32 s21, 0x43efffff
	v_and_b32_e32 v10, 0xffff, v9
	s_cselect_b32 s15, -1, 0
	s_cmp_lt_u32 s21, 0x3c800000
	v_dual_cndmask_b32 v13, 0x7fc0, v3 :: v_dual_add_nc_u32 v18, v13, v4
	s_cselect_b32 s17, -1, 0
	s_add_i32 s14, s14, 0x407ffff
	v_mov_b32_e32 v4, v0
	s_and_b32 s19, s14, 0xff00000
	s_lshr_b32 s14, s14, 20
	s_cmp_lg_u32 s19, 0x7f00000
	s_cselect_b32 s19, s14, 0x7e
	s_cmp_lt_u32 s21, 0x38800000
	s_cselect_b32 s13, -1, 0
	s_add_i32 s29, s29, 0x80fffff
	s_delay_alu instid0(SALU_CYCLE_1)
	s_lshr_b32 s14, s29, 21
	s_cmp_gt_u32 s21, 0x7f800000
	s_mov_b32 s29, 0
	s_cselect_b32 s21, s1, 0x7e
	s_cselect_b32 s16, 0x7f, s16
	v_cmpx_gt_i32_e64 s28, v17
	s_cbranch_execz .LBB46_100
; %bb.2:
	v_mul_lo_u32 v3, v17, s6
	v_and_b32_e64 v19, 0xff, s9
	s_delay_alu instid0(VALU_DEP_1) | instskip(NEXT) | instid1(VALU_DEP_3)
	v_cmp_gt_i16_e32 vcc_lo, 11, v19
	v_ashrrev_i32_e32 v7, 31, v3
	v_add_co_u32 v6, s1, s4, v3
	s_delay_alu instid0(VALU_DEP_1)
	v_add_co_ci_u32_e64 v7, s1, s5, v7, s1
	s_cbranch_vccnz .LBB46_9
; %bb.3:
	v_cmp_lt_i16_e32 vcc_lo, 25, v19
	s_cbranch_vccz .LBB46_12
; %bb.4:
	v_cmp_lt_i16_e32 vcc_lo, 28, v19
	s_cbranch_vccz .LBB46_13
	;; [unrolled: 3-line block ×4, first 2 shown]
; %bb.7:
	v_cmp_eq_u16_e32 vcc_lo, 46, v19
	s_mov_b32 s33, 0
	s_mov_b32 s1, -1
	s_cbranch_vccz .LBB46_16
; %bb.8:
	s_mov_b32 s29, -1
	s_mov_b32 s1, 0
	global_store_b32 v[6:7], v13, off
	s_branch .LBB46_16
.LBB46_9:
	s_mov_b32 s1, 0
	s_and_b32 vcc_lo, exec_lo, s33
	s_cbranch_vccnz .LBB46_60
.LBB46_10:
	s_and_not1_b32 vcc_lo, exec_lo, s29
	s_cbranch_vccnz .LBB46_98
.LBB46_11:
	v_add_nc_u32_e32 v17, 0x80, v17
	s_mov_b32 s33, -1
	s_branch .LBB46_99
.LBB46_12:
	s_mov_b32 s1, 0
	s_and_b32 vcc_lo, exec_lo, s33
	s_cbranch_vccnz .LBB46_38
	s_branch .LBB46_59
.LBB46_13:
	s_mov_b32 s1, 0
	s_branch .LBB46_24
.LBB46_14:
	s_mov_b32 s1, 0
	s_branch .LBB46_20
.LBB46_15:
	s_mov_b32 s1, 0
.LBB46_16:
	s_and_b32 vcc_lo, exec_lo, s33
	s_cbranch_vccz .LBB46_19
; %bb.17:
	v_cmp_eq_u16_e32 vcc_lo, 44, v19
	s_mov_b32 s1, -1
	s_cbranch_vccz .LBB46_19
; %bb.18:
	v_cndmask_b32_e64 v3, v18, 0xff, s0
	s_mov_b32 s29, -1
	s_mov_b32 s1, 0
	s_mov_b32 s33, 0
	global_store_b8 v[6:7], v3, off
	s_branch .LBB46_20
.LBB46_19:
	s_mov_b32 s33, 0
.LBB46_20:
	s_delay_alu instid0(SALU_CYCLE_1)
	s_and_b32 vcc_lo, exec_lo, s33
	s_cbranch_vccz .LBB46_23
; %bb.21:
	v_cmp_eq_u16_e32 vcc_lo, 29, v19
	s_mov_b32 s1, -1
	s_cbranch_vccz .LBB46_23
; %bb.22:
	s_mov_b32 s29, -1
	s_mov_b32 s1, 0
	global_store_b64 v[6:7], v[0:1], off
.LBB46_23:
	s_mov_b32 s33, 0
.LBB46_24:
	s_delay_alu instid0(SALU_CYCLE_1)
	s_and_b32 vcc_lo, exec_lo, s33
	s_cbranch_vccz .LBB46_37
; %bb.25:
	v_cmp_gt_i16_e32 vcc_lo, 27, v19
	s_mov_b32 s29, -1
	s_cbranch_vccnz .LBB46_31
; %bb.26:
	v_cmp_lt_i16_e32 vcc_lo, 27, v19
	s_cbranch_vccz .LBB46_28
; %bb.27:
	s_mov_b32 s29, 0
	global_store_b32 v[6:7], v15, off
.LBB46_28:
	s_and_not1_b32 vcc_lo, exec_lo, s29
	s_cbranch_vccnz .LBB46_30
; %bb.29:
	global_store_b16 v[6:7], v15, off
.LBB46_30:
	s_mov_b32 s29, 0
.LBB46_31:
	s_delay_alu instid0(SALU_CYCLE_1)
	s_and_not1_b32 vcc_lo, exec_lo, s29
	s_cbranch_vccnz .LBB46_36
; %bb.32:
	v_mov_b32_e32 v3, 0x80
	s_and_not1_b32 vcc_lo, exec_lo, s26
	s_cbranch_vccnz .LBB46_35
; %bb.33:
	v_mov_b32_e32 v3, 0
	s_or_b32 s29, s24, s27
	s_delay_alu instid0(SALU_CYCLE_1)
	s_and_not1_b32 vcc_lo, exec_lo, s29
	s_cbranch_vccnz .LBB46_35
; %bb.34:
	v_cndmask_b32_e64 v3, v16, s25, s24
	s_delay_alu instid0(VALU_DEP_1)
	v_or_b32_e32 v3, v3, v12
.LBB46_35:
	global_store_b8 v[6:7], v3, off
.LBB46_36:
	s_mov_b32 s29, -1
.LBB46_37:
	s_branch .LBB46_59
.LBB46_38:
	v_cmp_lt_i16_e32 vcc_lo, 22, v19
	s_mov_b32 s33, -1
	s_cbranch_vccz .LBB46_51
; %bb.39:
	v_cmp_gt_i16_e32 vcc_lo, 24, v19
	s_mov_b32 s29, -1
	s_cbranch_vccnz .LBB46_48
; %bb.40:
	v_cmp_lt_i16_e32 vcc_lo, 24, v19
	s_cbranch_vccz .LBB46_45
; %bb.41:
	v_mov_b32_e32 v3, 0x80
	s_and_not1_b32 vcc_lo, exec_lo, s22
	s_cbranch_vccnz .LBB46_44
; %bb.42:
	v_mov_b32_e32 v3, 0
	s_or_b32 s29, s18, s23
	s_delay_alu instid0(SALU_CYCLE_1)
	s_and_not1_b32 vcc_lo, exec_lo, s29
	s_cbranch_vccnz .LBB46_44
; %bb.43:
	v_cndmask_b32_e64 v3, v14, s20, s18
	s_delay_alu instid0(VALU_DEP_1)
	v_or_b32_e32 v3, v3, v12
.LBB46_44:
	s_mov_b32 s29, 0
	global_store_b8 v[6:7], v3, off
.LBB46_45:
	s_and_b32 vcc_lo, exec_lo, s29
	s_cbranch_vccz .LBB46_47
; %bb.46:
	s_and_b32 s29, s17, exec_lo
	s_cselect_b32 s29, s12, s19
	s_and_b32 s33, s15, exec_lo
	s_cselect_b32 s29, s21, s29
	s_delay_alu instid0(SALU_CYCLE_1)
	v_or_b32_e32 v3, s29, v12
	global_store_b8 v[6:7], v3, off
.LBB46_47:
	s_mov_b32 s29, 0
.LBB46_48:
	s_delay_alu instid0(SALU_CYCLE_1)
	s_and_not1_b32 vcc_lo, exec_lo, s29
	s_cbranch_vccnz .LBB46_50
; %bb.49:
	s_and_b32 s29, s13, exec_lo
	s_cselect_b32 s29, s11, s14
	s_and_b32 s33, s10, exec_lo
	s_cselect_b32 s29, s16, s29
	s_delay_alu instid0(SALU_CYCLE_1)
	v_or_b32_e32 v3, s29, v12
	global_store_b8 v[6:7], v3, off
.LBB46_50:
	s_mov_b32 s33, 0
	s_mov_b32 s29, -1
.LBB46_51:
	s_and_not1_b32 vcc_lo, exec_lo, s33
	s_cbranch_vccnz .LBB46_59
; %bb.52:
	v_cmp_lt_i16_e32 vcc_lo, 14, v19
	s_mov_b32 s33, -1
	s_cbranch_vccz .LBB46_56
; %bb.53:
	v_cmp_eq_u16_e32 vcc_lo, 15, v19
	s_mov_b32 s1, -1
	s_cbranch_vccz .LBB46_55
; %bb.54:
	s_mov_b32 s29, -1
	s_mov_b32 s1, 0
	global_store_b16 v[6:7], v13, off
.LBB46_55:
	s_mov_b32 s33, 0
.LBB46_56:
	s_delay_alu instid0(SALU_CYCLE_1)
	s_and_b32 vcc_lo, exec_lo, s33
	s_cbranch_vccz .LBB46_59
; %bb.57:
	v_cmp_eq_u16_e32 vcc_lo, 11, v19
	s_mov_b32 s1, -1
	s_cbranch_vccz .LBB46_59
; %bb.58:
	s_mov_b32 s29, -1
	s_mov_b32 s1, 0
	global_store_b8 v[6:7], v11, off
.LBB46_59:
	s_branch .LBB46_10
.LBB46_60:
	v_cmp_gt_i16_e32 vcc_lo, 5, v19
	s_mov_b32 s29, -1
	s_cbranch_vccnz .LBB46_81
; %bb.61:
	v_cmp_gt_i16_e32 vcc_lo, 8, v19
	s_cbranch_vccnz .LBB46_71
; %bb.62:
	v_cmp_gt_i16_e32 vcc_lo, 9, v19
	s_cbranch_vccnz .LBB46_68
; %bb.63:
	v_cmp_lt_i16_e32 vcc_lo, 9, v19
	s_cbranch_vccz .LBB46_65
; %bb.64:
	v_dual_mov_b32 v22, 0 :: v_dual_mov_b32 v21, s3
	v_mov_b32_e32 v20, s2
	s_mov_b32 s29, 0
	s_delay_alu instid0(VALU_DEP_2)
	v_mov_b32_e32 v23, v22
	global_store_b128 v[6:7], v[20:23], off
.LBB46_65:
	s_and_not1_b32 vcc_lo, exec_lo, s29
	s_cbranch_vccnz .LBB46_67
; %bb.66:
	v_mov_b32_e32 v3, 0
	global_store_b64 v[6:7], v[2:3], off
.LBB46_67:
	s_mov_b32 s29, 0
.LBB46_68:
	s_delay_alu instid0(SALU_CYCLE_1)
	s_and_not1_b32 vcc_lo, exec_lo, s29
	s_cbranch_vccnz .LBB46_70
; %bb.69:
	global_store_b32 v[6:7], v10, off
.LBB46_70:
	s_mov_b32 s29, 0
.LBB46_71:
	s_delay_alu instid0(SALU_CYCLE_1)
	s_and_not1_b32 vcc_lo, exec_lo, s29
	s_cbranch_vccnz .LBB46_80
; %bb.72:
	v_cmp_gt_i16_e32 vcc_lo, 6, v19
	s_mov_b32 s29, -1
	s_cbranch_vccnz .LBB46_78
; %bb.73:
	v_cmp_lt_i16_e32 vcc_lo, 6, v19
	s_cbranch_vccz .LBB46_75
; %bb.74:
	v_dual_mov_b32 v21, s3 :: v_dual_mov_b32 v20, s2
	s_mov_b32 s29, 0
	global_store_b64 v[6:7], v[20:21], off
.LBB46_75:
	s_and_not1_b32 vcc_lo, exec_lo, s29
	s_cbranch_vccnz .LBB46_77
; %bb.76:
	global_store_b32 v[6:7], v2, off
.LBB46_77:
	s_mov_b32 s29, 0
.LBB46_78:
	s_delay_alu instid0(SALU_CYCLE_1)
	s_and_not1_b32 vcc_lo, exec_lo, s29
	s_cbranch_vccnz .LBB46_80
; %bb.79:
	global_store_b16 v[6:7], v9, off
.LBB46_80:
	s_mov_b32 s29, 0
.LBB46_81:
	s_delay_alu instid0(SALU_CYCLE_1)
	s_and_not1_b32 vcc_lo, exec_lo, s29
	s_cbranch_vccnz .LBB46_97
; %bb.82:
	v_cmp_gt_i16_e32 vcc_lo, 2, v19
	s_mov_b32 s29, -1
	s_cbranch_vccnz .LBB46_92
; %bb.83:
	v_cmp_gt_i16_e32 vcc_lo, 3, v19
	s_cbranch_vccnz .LBB46_89
; %bb.84:
	v_cmp_lt_i16_e32 vcc_lo, 3, v19
	s_cbranch_vccz .LBB46_86
; %bb.85:
	s_mov_b32 s29, 0
	global_store_b64 v[6:7], v[4:5], off
.LBB46_86:
	s_and_not1_b32 vcc_lo, exec_lo, s29
	s_cbranch_vccnz .LBB46_88
; %bb.87:
	global_store_b32 v[6:7], v8, off
.LBB46_88:
	s_mov_b32 s29, 0
.LBB46_89:
	s_delay_alu instid0(SALU_CYCLE_1)
	s_and_not1_b32 vcc_lo, exec_lo, s29
	s_cbranch_vccnz .LBB46_91
; %bb.90:
	global_store_b16 v[6:7], v8, off
.LBB46_91:
	s_mov_b32 s29, 0
.LBB46_92:
	s_delay_alu instid0(SALU_CYCLE_1)
	s_and_not1_b32 vcc_lo, exec_lo, s29
	s_cbranch_vccnz .LBB46_97
; %bb.93:
	v_cmp_lt_i16_e32 vcc_lo, 0, v19
	s_mov_b32 s29, -1
	s_cbranch_vccz .LBB46_95
; %bb.94:
	s_mov_b32 s29, 0
	global_store_b8 v[6:7], v8, off
.LBB46_95:
	s_and_not1_b32 vcc_lo, exec_lo, s29
	s_cbranch_vccnz .LBB46_97
; %bb.96:
	global_store_b8 v[6:7], v0, off
.LBB46_97:
	s_branch .LBB46_11
.LBB46_98:
	s_mov_b32 s33, 0
                                        ; implicit-def: $vgpr17
.LBB46_99:
	s_and_b32 s29, s1, exec_lo
	s_or_not1_b32 s33, s33, exec_lo
.LBB46_100:
	s_or_b32 exec_lo, exec_lo, s30
	s_mov_b32 s1, 0
                                        ; implicit-def: $vgpr19
                                        ; implicit-def: $vgpr6_vgpr7
	s_and_saveexec_b32 s30, s33
	s_cbranch_execz .LBB46_109
; %bb.101:
	s_mov_b32 s1, -1
	s_mov_b32 s31, s29
	s_mov_b32 s33, exec_lo
	v_cmpx_gt_i32_e64 s28, v17
	s_cbranch_execz .LBB46_326
; %bb.102:
	v_mul_lo_u32 v3, v17, s6
	v_and_b32_e64 v19, 0xff, s9
	s_delay_alu instid0(VALU_DEP_1) | instskip(NEXT) | instid1(VALU_DEP_3)
	v_cmp_gt_i16_e32 vcc_lo, 11, v19
	v_ashrrev_i32_e32 v7, 31, v3
	v_add_co_u32 v6, s1, s4, v3
	s_delay_alu instid0(VALU_DEP_1)
	v_add_co_ci_u32_e64 v7, s1, s5, v7, s1
	s_cbranch_vccnz .LBB46_219
; %bb.103:
	v_cmp_lt_i16_e32 vcc_lo, 25, v19
	s_cbranch_vccz .LBB46_222
; %bb.104:
	v_cmp_lt_i16_e32 vcc_lo, 28, v19
	s_cbranch_vccz .LBB46_223
	;; [unrolled: 3-line block ×4, first 2 shown]
; %bb.107:
	v_cmp_eq_u16_e32 vcc_lo, 46, v19
	s_mov_b32 s34, 0
	s_mov_b32 s1, -1
	s_mov_b32 s31, 0
	s_cbranch_vccz .LBB46_241
; %bb.108:
	s_mov_b32 s31, -1
	s_mov_b32 s1, 0
	global_store_b32 v[6:7], v13, off
	s_branch .LBB46_241
.LBB46_109:
	s_or_b32 exec_lo, exec_lo, s30
	s_mov_b32 s0, 0
	s_and_saveexec_b32 s10, s29
	s_cbranch_execnz .LBB46_791
.LBB46_110:
	s_or_b32 exec_lo, exec_lo, s10
	s_and_saveexec_b32 s10, s31
	s_delay_alu instid0(SALU_CYCLE_1)
	s_xor_b32 s10, exec_lo, s10
	s_cbranch_execz .LBB46_112
.LBB46_111:
	global_store_b8 v[6:7], v11, off
.LBB46_112:
	s_or_b32 exec_lo, exec_lo, s10
	s_and_saveexec_b32 s10, s1
	s_delay_alu instid0(SALU_CYCLE_1)
	s_xor_b32 s1, exec_lo, s10
	s_cbranch_execz .LBB46_150
; %bb.113:
	v_cmp_gt_i16_e32 vcc_lo, 5, v19
	s_mov_b32 s10, -1
	s_cbranch_vccnz .LBB46_134
; %bb.114:
	v_cmp_gt_i16_e32 vcc_lo, 8, v19
	s_cbranch_vccnz .LBB46_124
; %bb.115:
	v_cmp_gt_i16_e32 vcc_lo, 9, v19
	s_cbranch_vccnz .LBB46_121
; %bb.116:
	v_cmp_lt_i16_e32 vcc_lo, 9, v19
	s_cbranch_vccz .LBB46_118
; %bb.117:
	v_dual_mov_b32 v13, 0 :: v_dual_mov_b32 v12, s3
	v_mov_b32_e32 v11, s2
	s_mov_b32 s10, 0
	s_delay_alu instid0(VALU_DEP_2)
	v_mov_b32_e32 v14, v13
	global_store_b128 v[6:7], v[11:14], off
.LBB46_118:
	s_and_not1_b32 vcc_lo, exec_lo, s10
	s_cbranch_vccnz .LBB46_120
; %bb.119:
	v_mov_b32_e32 v3, 0
	global_store_b64 v[6:7], v[2:3], off
.LBB46_120:
	s_mov_b32 s10, 0
.LBB46_121:
	s_delay_alu instid0(SALU_CYCLE_1)
	s_and_not1_b32 vcc_lo, exec_lo, s10
	s_cbranch_vccnz .LBB46_123
; %bb.122:
	global_store_b32 v[6:7], v10, off
.LBB46_123:
	s_mov_b32 s10, 0
.LBB46_124:
	s_delay_alu instid0(SALU_CYCLE_1)
	s_and_not1_b32 vcc_lo, exec_lo, s10
	s_cbranch_vccnz .LBB46_133
; %bb.125:
	v_cmp_gt_i16_e32 vcc_lo, 6, v19
	s_mov_b32 s10, -1
	s_cbranch_vccnz .LBB46_131
; %bb.126:
	v_cmp_lt_i16_e32 vcc_lo, 6, v19
	s_cbranch_vccz .LBB46_128
; %bb.127:
	v_dual_mov_b32 v11, s3 :: v_dual_mov_b32 v10, s2
	s_mov_b32 s10, 0
	global_store_b64 v[6:7], v[10:11], off
.LBB46_128:
	s_and_not1_b32 vcc_lo, exec_lo, s10
	s_cbranch_vccnz .LBB46_130
; %bb.129:
	global_store_b32 v[6:7], v2, off
.LBB46_130:
	s_mov_b32 s10, 0
.LBB46_131:
	s_delay_alu instid0(SALU_CYCLE_1)
	s_and_not1_b32 vcc_lo, exec_lo, s10
	s_cbranch_vccnz .LBB46_133
; %bb.132:
	global_store_b16 v[6:7], v9, off
.LBB46_133:
	s_mov_b32 s10, 0
.LBB46_134:
	s_delay_alu instid0(SALU_CYCLE_1)
	s_and_not1_b32 vcc_lo, exec_lo, s10
	s_cbranch_vccnz .LBB46_150
; %bb.135:
	v_cmp_gt_i16_e32 vcc_lo, 2, v19
	s_mov_b32 s10, -1
	s_cbranch_vccnz .LBB46_145
; %bb.136:
	v_cmp_gt_i16_e32 vcc_lo, 3, v19
	s_cbranch_vccnz .LBB46_142
; %bb.137:
	v_cmp_lt_i16_e32 vcc_lo, 3, v19
	s_cbranch_vccz .LBB46_139
; %bb.138:
	s_mov_b32 s10, 0
	global_store_b64 v[6:7], v[4:5], off
.LBB46_139:
	s_and_not1_b32 vcc_lo, exec_lo, s10
	s_cbranch_vccnz .LBB46_141
; %bb.140:
	global_store_b32 v[6:7], v8, off
.LBB46_141:
	s_mov_b32 s10, 0
.LBB46_142:
	s_delay_alu instid0(SALU_CYCLE_1)
	s_and_not1_b32 vcc_lo, exec_lo, s10
	s_cbranch_vccnz .LBB46_144
; %bb.143:
	global_store_b16 v[6:7], v8, off
.LBB46_144:
	s_mov_b32 s10, 0
.LBB46_145:
	s_delay_alu instid0(SALU_CYCLE_1)
	s_and_not1_b32 vcc_lo, exec_lo, s10
	s_cbranch_vccnz .LBB46_150
; %bb.146:
	v_cmp_lt_i16_e32 vcc_lo, 0, v19
	s_mov_b32 s10, -1
	s_cbranch_vccz .LBB46_148
; %bb.147:
	s_mov_b32 s10, 0
	global_store_b8 v[6:7], v8, off
.LBB46_148:
	s_and_not1_b32 vcc_lo, exec_lo, s10
	s_cbranch_vccnz .LBB46_150
; %bb.149:
	global_store_b8 v[6:7], v0, off
.LBB46_150:
	s_or_b32 exec_lo, exec_lo, s1
	s_delay_alu instid0(SALU_CYCLE_1)
	s_and_b32 s1, s0, exec_lo
                                        ; implicit-def: $vgpr17
.LBB46_151:
	s_or_saveexec_b32 s7, s7
	s_mov_b32 s0, 0
                                        ; implicit-def: $vgpr2
                                        ; implicit-def: $vgpr0_vgpr1
	s_xor_b32 exec_lo, exec_lo, s7
	s_cbranch_execz .LBB46_685
; %bb.152:
	v_mul_lo_u32 v3, s6, v17
	v_and_b32_e64 v2, 0xff, s9
	s_delay_alu instid0(VALU_DEP_1) | instskip(NEXT) | instid1(VALU_DEP_3)
	v_cmp_gt_i16_e32 vcc_lo, 11, v2
	v_ashrrev_i32_e32 v1, 31, v3
	v_add_co_u32 v0, s0, s4, v3
	s_delay_alu instid0(VALU_DEP_1)
	v_add_co_ci_u32_e64 v1, s0, s5, v1, s0
	s_cbranch_vccnz .LBB46_180
; %bb.153:
	v_cmp_lt_i16_e32 vcc_lo, 25, v2
	s_mov_b32 s8, -1
	s_mov_b32 s9, 0
	s_mov_b32 s10, 0
	s_mov_b32 s0, 0
	s_cbranch_vccz .LBB46_233
; %bb.154:
	v_cmp_lt_i16_e32 vcc_lo, 28, v2
	s_cbranch_vccz .LBB46_169
; %bb.155:
	v_cmp_lt_i16_e32 vcc_lo, 43, v2
	;; [unrolled: 3-line block ×3, first 2 shown]
	s_cbranch_vccz .LBB46_159
; %bb.157:
	v_cmp_eq_u16_e32 vcc_lo, 46, v2
	s_mov_b32 s0, -1
	s_mov_b32 s8, 0
	s_cbranch_vccz .LBB46_159
; %bb.158:
	v_cvt_f32_f64_e32 v4, s[2:3]
	s_mov_b32 s0, 0
	s_mov_b32 s10, -1
	s_delay_alu instid0(VALU_DEP_1) | instskip(SKIP_1) | instid1(VALU_DEP_2)
	v_bfe_u32 v5, v4, 16, 1
	v_cmp_o_f32_e32 vcc_lo, v4, v4
	v_add_nc_u32_e32 v5, v4, v5
	s_delay_alu instid0(VALU_DEP_1) | instskip(NEXT) | instid1(VALU_DEP_1)
	v_add_nc_u32_e32 v5, 0x7fff, v5
	v_lshrrev_b32_e32 v5, 16, v5
	s_delay_alu instid0(VALU_DEP_1)
	v_cndmask_b32_e32 v4, 0x7fc0, v5, vcc_lo
	global_store_b32 v[0:1], v4, off
.LBB46_159:
	s_and_b32 vcc_lo, exec_lo, s8
	s_cbranch_vccz .LBB46_164
; %bb.160:
	v_cmp_eq_u16_e32 vcc_lo, 44, v2
	s_mov_b32 s0, -1
	s_cbranch_vccz .LBB46_164
; %bb.161:
	v_cvt_f32_f64_e32 v4, s[2:3]
	v_mov_b32_e32 v5, 0xff
	s_delay_alu instid0(VALU_DEP_2) | instskip(NEXT) | instid1(VALU_DEP_1)
	v_readfirstlane_b32 s0, v4
	s_bfe_u32 s8, s0, 0x80017
	s_delay_alu instid0(SALU_CYCLE_1)
	s_cmpk_eq_i32 s8, 0xff
	s_cbranch_scc1 .LBB46_163
; %bb.162:
	s_bitcmp1_b32 s0, 22
	v_lshrrev_b32_e32 v4, 23, v4
	s_cselect_b32 s10, -1, 0
	s_and_b32 s0, s0, 0x3fffff
	s_delay_alu instid0(SALU_CYCLE_1) | instskip(NEXT) | instid1(SALU_CYCLE_1)
	s_or_b32 s0, s8, s0
	s_cmp_lg_u32 s0, 0
	s_cselect_b32 s0, -1, 0
	s_delay_alu instid0(SALU_CYCLE_1) | instskip(NEXT) | instid1(SALU_CYCLE_1)
	s_and_b32 s0, s10, s0
	v_cndmask_b32_e64 v5, 0, 1, s0
	s_delay_alu instid0(VALU_DEP_1)
	v_add_nc_u32_e32 v5, v4, v5
.LBB46_163:
	s_mov_b32 s0, 0
	s_mov_b32 s10, -1
	global_store_b8 v[0:1], v5, off
.LBB46_164:
	s_mov_b32 s8, 0
.LBB46_165:
	s_delay_alu instid0(SALU_CYCLE_1)
	s_and_b32 vcc_lo, exec_lo, s8
	s_cbranch_vccz .LBB46_168
; %bb.166:
	v_cmp_eq_u16_e32 vcc_lo, 29, v2
	s_mov_b32 s0, -1
	s_cbranch_vccz .LBB46_168
; %bb.167:
	v_trunc_f64_e32 v[4:5], s[2:3]
	s_mov_b32 s0, 0
	s_mov_b32 s10, -1
	s_delay_alu instid0(VALU_DEP_1) | instskip(NEXT) | instid1(VALU_DEP_1)
	v_ldexp_f64 v[6:7], v[4:5], 0xffffffe0
	v_floor_f64_e32 v[6:7], v[6:7]
	s_delay_alu instid0(VALU_DEP_1) | instskip(SKIP_1) | instid1(VALU_DEP_2)
	v_fma_f64 v[4:5], 0xc1f00000, v[6:7], v[4:5]
	v_cvt_u32_f64_e32 v6, v[6:7]
	v_cvt_u32_f64_e32 v5, v[4:5]
	global_store_b64 v[0:1], v[5:6], off
.LBB46_168:
	s_mov_b32 s8, 0
.LBB46_169:
	s_delay_alu instid0(SALU_CYCLE_1)
	s_and_b32 vcc_lo, exec_lo, s8
	s_cbranch_vccz .LBB46_232
; %bb.170:
	v_cmp_gt_i16_e32 vcc_lo, 27, v2
	s_mov_b32 s8, -1
	s_cbranch_vccnz .LBB46_176
; %bb.171:
	v_cmp_lt_i16_e32 vcc_lo, 27, v2
	s_cbranch_vccz .LBB46_173
; %bb.172:
	v_cvt_u32_f64_e32 v4, s[2:3]
	s_mov_b32 s8, 0
	global_store_b32 v[0:1], v4, off
.LBB46_173:
	s_and_not1_b32 vcc_lo, exec_lo, s8
	s_cbranch_vccnz .LBB46_175
; %bb.174:
	v_cvt_u32_f64_e32 v4, s[2:3]
	global_store_b16 v[0:1], v4, off
.LBB46_175:
	s_mov_b32 s8, 0
.LBB46_176:
	s_delay_alu instid0(SALU_CYCLE_1)
	s_and_not1_b32 vcc_lo, exec_lo, s8
	s_cbranch_vccnz .LBB46_231
; %bb.177:
	v_cvt_f32_f64_e32 v4, s[2:3]
	v_mov_b32_e32 v5, 0x80
	s_delay_alu instid0(VALU_DEP_2) | instskip(NEXT) | instid1(VALU_DEP_1)
	v_readfirstlane_b32 s8, v4
	s_and_b32 s10, s8, 0x7fffffff
	s_delay_alu instid0(SALU_CYCLE_1)
	s_cmp_gt_u32 s10, 0x437fffff
	s_cbranch_scc1 .LBB46_230
; %bb.178:
	s_cmp_gt_u32 s10, 0x3bffffff
	s_cbranch_scc0 .LBB46_225
; %bb.179:
	s_bfe_u32 s10, s8, 0x10014
	s_mov_b32 s11, 0
	s_add_i32 s10, s8, s10
	s_delay_alu instid0(SALU_CYCLE_1) | instskip(NEXT) | instid1(SALU_CYCLE_1)
	s_add_i32 s10, s10, 0x487ffff
	s_lshr_b32 s12, s10, 20
	s_mov_b32 s10, -1
	s_branch .LBB46_226
.LBB46_180:
	s_mov_b32 s10, 0
	s_mov_b32 s8, s1
	s_cbranch_execz .LBB46_382
; %bb.181:
	v_cmp_gt_i16_e32 vcc_lo, 5, v2
	s_mov_b32 s0, -1
	s_cbranch_vccnz .LBB46_202
; %bb.182:
	v_cmp_gt_i16_e32 vcc_lo, 8, v2
	s_cbranch_vccnz .LBB46_192
; %bb.183:
	v_cmp_gt_i16_e32 vcc_lo, 9, v2
	s_cbranch_vccnz .LBB46_189
; %bb.184:
	v_cmp_lt_i16_e32 vcc_lo, 9, v2
	s_cbranch_vccz .LBB46_186
; %bb.185:
	v_dual_mov_b32 v6, 0 :: v_dual_mov_b32 v5, s3
	v_mov_b32_e32 v4, s2
	s_mov_b32 s0, 0
	s_delay_alu instid0(VALU_DEP_2)
	v_mov_b32_e32 v7, v6
	global_store_b128 v[0:1], v[4:7], off
.LBB46_186:
	s_and_not1_b32 vcc_lo, exec_lo, s0
	s_cbranch_vccnz .LBB46_188
; %bb.187:
	v_cvt_f32_f64_e32 v4, s[2:3]
	v_mov_b32_e32 v5, 0
	global_store_b64 v[0:1], v[4:5], off
.LBB46_188:
	s_mov_b32 s0, 0
.LBB46_189:
	s_delay_alu instid0(SALU_CYCLE_1)
	s_and_not1_b32 vcc_lo, exec_lo, s0
	s_cbranch_vccnz .LBB46_191
; %bb.190:
	v_cvt_f32_f64_e32 v4, s[2:3]
	s_delay_alu instid0(VALU_DEP_1) | instskip(NEXT) | instid1(VALU_DEP_1)
	v_cvt_f16_f32_e32 v4, v4
	v_and_b32_e32 v4, 0xffff, v4
	global_store_b32 v[0:1], v4, off
.LBB46_191:
	s_mov_b32 s0, 0
.LBB46_192:
	s_delay_alu instid0(SALU_CYCLE_1)
	s_and_not1_b32 vcc_lo, exec_lo, s0
	s_cbranch_vccnz .LBB46_201
; %bb.193:
	v_cmp_gt_i16_e32 vcc_lo, 6, v2
	s_mov_b32 s0, -1
	s_cbranch_vccnz .LBB46_199
; %bb.194:
	v_cmp_lt_i16_e32 vcc_lo, 6, v2
	s_cbranch_vccz .LBB46_196
; %bb.195:
	v_dual_mov_b32 v5, s3 :: v_dual_mov_b32 v4, s2
	s_mov_b32 s0, 0
	global_store_b64 v[0:1], v[4:5], off
.LBB46_196:
	s_and_not1_b32 vcc_lo, exec_lo, s0
	s_cbranch_vccnz .LBB46_198
; %bb.197:
	v_cvt_f32_f64_e32 v4, s[2:3]
	global_store_b32 v[0:1], v4, off
.LBB46_198:
	s_mov_b32 s0, 0
.LBB46_199:
	s_delay_alu instid0(SALU_CYCLE_1)
	s_and_not1_b32 vcc_lo, exec_lo, s0
	s_cbranch_vccnz .LBB46_201
; %bb.200:
	v_cvt_f32_f64_e32 v4, s[2:3]
	s_delay_alu instid0(VALU_DEP_1)
	v_cvt_f16_f32_e32 v4, v4
	global_store_b16 v[0:1], v4, off
.LBB46_201:
	s_mov_b32 s0, 0
.LBB46_202:
	s_delay_alu instid0(SALU_CYCLE_1)
	s_and_not1_b32 vcc_lo, exec_lo, s0
	s_cbranch_vccnz .LBB46_218
; %bb.203:
	v_cmp_gt_i16_e32 vcc_lo, 2, v2
	s_mov_b32 s0, -1
	s_cbranch_vccnz .LBB46_213
; %bb.204:
	v_cmp_gt_i16_e32 vcc_lo, 3, v2
	s_cbranch_vccnz .LBB46_210
; %bb.205:
	v_cmp_lt_i16_e32 vcc_lo, 3, v2
	s_cbranch_vccz .LBB46_207
; %bb.206:
	v_trunc_f64_e32 v[4:5], s[2:3]
	s_mov_b32 s0, 0
	s_delay_alu instid0(VALU_DEP_1) | instskip(NEXT) | instid1(VALU_DEP_1)
	v_ldexp_f64 v[6:7], v[4:5], 0xffffffe0
	v_floor_f64_e32 v[6:7], v[6:7]
	s_delay_alu instid0(VALU_DEP_1) | instskip(SKIP_1) | instid1(VALU_DEP_2)
	v_fma_f64 v[4:5], 0xc1f00000, v[6:7], v[4:5]
	v_cvt_i32_f64_e32 v6, v[6:7]
	v_cvt_u32_f64_e32 v5, v[4:5]
	global_store_b64 v[0:1], v[5:6], off
.LBB46_207:
	s_and_not1_b32 vcc_lo, exec_lo, s0
	s_cbranch_vccnz .LBB46_209
; %bb.208:
	v_cvt_i32_f64_e32 v4, s[2:3]
	global_store_b32 v[0:1], v4, off
.LBB46_209:
	s_mov_b32 s0, 0
.LBB46_210:
	s_delay_alu instid0(SALU_CYCLE_1)
	s_and_not1_b32 vcc_lo, exec_lo, s0
	s_cbranch_vccnz .LBB46_212
; %bb.211:
	v_cvt_i32_f64_e32 v4, s[2:3]
	global_store_b16 v[0:1], v4, off
.LBB46_212:
	s_mov_b32 s0, 0
.LBB46_213:
	s_delay_alu instid0(SALU_CYCLE_1)
	s_and_not1_b32 vcc_lo, exec_lo, s0
	s_cbranch_vccnz .LBB46_218
; %bb.214:
	v_cmp_lt_i16_e32 vcc_lo, 0, v2
	s_mov_b32 s0, -1
	s_cbranch_vccz .LBB46_216
; %bb.215:
	v_cvt_i32_f64_e32 v4, s[2:3]
	s_mov_b32 s0, 0
	global_store_b8 v[0:1], v4, off
.LBB46_216:
	s_and_not1_b32 vcc_lo, exec_lo, s0
	s_cbranch_vccnz .LBB46_218
; %bb.217:
	v_trunc_f64_e32 v[4:5], s[2:3]
	s_delay_alu instid0(VALU_DEP_1) | instskip(NEXT) | instid1(VALU_DEP_1)
	v_ldexp_f64 v[6:7], v[4:5], 0xffffffe0
	v_floor_f64_e32 v[6:7], v[6:7]
	s_delay_alu instid0(VALU_DEP_1) | instskip(NEXT) | instid1(VALU_DEP_1)
	v_fma_f64 v[4:5], 0xc1f00000, v[6:7], v[4:5]
	v_cvt_u32_f64_e32 v4, v[4:5]
	global_store_b8 v[0:1], v4, off
.LBB46_218:
	s_branch .LBB46_383
.LBB46_219:
	s_mov_b32 s31, 0
	s_mov_b32 s1, s29
	s_cbranch_execnz .LBB46_286
.LBB46_220:
	s_and_not1_b32 vcc_lo, exec_lo, s31
	s_cbranch_vccnz .LBB46_324
.LBB46_221:
	v_add_nc_u32_e32 v17, 0x80, v17
	s_mov_b32 s34, -1
	s_branch .LBB46_325
.LBB46_222:
	s_mov_b32 s34, -1
	s_mov_b32 s31, 0
	s_mov_b32 s1, s29
	s_branch .LBB46_263
.LBB46_223:
	s_mov_b32 s34, -1
	s_mov_b32 s31, 0
	s_mov_b32 s1, s29
	s_branch .LBB46_249
.LBB46_224:
	s_mov_b32 s34, -1
	s_mov_b32 s31, 0
	s_mov_b32 s1, s29
	s_branch .LBB46_245
.LBB46_225:
	s_mov_b32 s11, -1
	s_mov_b32 s10, 0
                                        ; implicit-def: $sgpr12
.LBB46_226:
	v_mov_b32_e32 v4, s12
	s_and_not1_b32 vcc_lo, exec_lo, s11
                                        ; implicit-def: $sgpr11
	s_cbranch_vccnz .LBB46_228
; %bb.227:
	v_add_f32_e64 v4, 0x46000000, |s8|
	s_mov_b32 s11, 0
	s_delay_alu instid0(VALU_DEP_1) | instskip(NEXT) | instid1(VALU_DEP_1)
	v_and_b32_e32 v4, 0xff, v4
	v_cmp_ne_u32_e64 s10, 0, v4
.LBB46_228:
	v_mov_b32_e32 v5, s11
	s_delay_alu instid0(VALU_DEP_2)
	s_and_not1_b32 vcc_lo, exec_lo, s10
	s_cbranch_vccnz .LBB46_230
; %bb.229:
	s_lshr_b32 s8, s8, 24
	s_delay_alu instid0(SALU_CYCLE_1) | instskip(NEXT) | instid1(SALU_CYCLE_1)
	s_and_b32 s8, s8, 0x80
	v_or_b32_e32 v5, s8, v4
.LBB46_230:
	global_store_b8 v[0:1], v5, off
.LBB46_231:
	s_mov_b32 s10, -1
.LBB46_232:
	s_mov_b32 s8, 0
.LBB46_233:
	s_delay_alu instid0(SALU_CYCLE_1)
	s_and_b32 vcc_lo, exec_lo, s8
	s_cbranch_vccz .LBB46_378
; %bb.234:
	v_cmp_lt_i16_e32 vcc_lo, 22, v2
	s_mov_b32 s8, -1
	s_cbranch_vccz .LBB46_371
; %bb.235:
	v_cmp_gt_i16_e32 vcc_lo, 24, v2
	s_cbranch_vccnz .LBB46_358
; %bb.236:
	v_cmp_lt_i16_e32 vcc_lo, 24, v2
	s_cbranch_vccz .LBB46_345
; %bb.237:
	v_cvt_f32_f64_e32 v4, s[2:3]
	v_mov_b32_e32 v5, 0x80
	s_delay_alu instid0(VALU_DEP_2) | instskip(NEXT) | instid1(VALU_DEP_1)
	v_readfirstlane_b32 s8, v4
	s_and_b32 s9, s8, 0x7fffffff
	s_delay_alu instid0(SALU_CYCLE_1)
	s_cmp_gt_u32 s9, 0x477fffff
	s_cbranch_scc1 .LBB46_344
; %bb.238:
	s_cmp_gt_u32 s9, 0x37ffffff
	s_cbranch_scc0 .LBB46_339
; %bb.239:
	s_bfe_u32 s9, s8, 0x10015
	s_mov_b32 s10, 0
	s_add_i32 s9, s8, s9
	s_delay_alu instid0(SALU_CYCLE_1) | instskip(NEXT) | instid1(SALU_CYCLE_1)
	s_add_i32 s9, s9, 0x88fffff
	s_lshr_b32 s11, s9, 21
	s_mov_b32 s9, -1
	s_branch .LBB46_340
.LBB46_240:
	s_mov_b32 s34, -1
	s_mov_b32 s31, 0
	s_mov_b32 s1, s29
.LBB46_241:
	s_and_b32 vcc_lo, exec_lo, s34
	s_cbranch_vccz .LBB46_244
; %bb.242:
	v_cmp_eq_u16_e32 vcc_lo, 44, v19
	s_mov_b32 s1, -1
	s_cbranch_vccz .LBB46_244
; %bb.243:
	v_cndmask_b32_e64 v3, v18, 0xff, s0
	s_mov_b32 s31, -1
	s_mov_b32 s1, 0
	global_store_b8 v[6:7], v3, off
.LBB46_244:
	s_mov_b32 s34, 0
.LBB46_245:
	s_delay_alu instid0(SALU_CYCLE_1)
	s_and_b32 vcc_lo, exec_lo, s34
	s_cbranch_vccz .LBB46_248
; %bb.246:
	v_cmp_eq_u16_e32 vcc_lo, 29, v19
	s_mov_b32 s1, -1
	s_cbranch_vccz .LBB46_248
; %bb.247:
	s_mov_b32 s31, -1
	s_mov_b32 s1, 0
	global_store_b64 v[6:7], v[0:1], off
.LBB46_248:
	s_mov_b32 s34, 0
.LBB46_249:
	s_delay_alu instid0(SALU_CYCLE_1)
	s_and_b32 vcc_lo, exec_lo, s34
	s_cbranch_vccz .LBB46_262
; %bb.250:
	v_cmp_gt_i16_e32 vcc_lo, 27, v19
	s_mov_b32 s31, -1
	s_cbranch_vccnz .LBB46_256
; %bb.251:
	v_cmp_lt_i16_e32 vcc_lo, 27, v19
	s_cbranch_vccz .LBB46_253
; %bb.252:
	s_mov_b32 s31, 0
	global_store_b32 v[6:7], v15, off
.LBB46_253:
	s_and_not1_b32 vcc_lo, exec_lo, s31
	s_cbranch_vccnz .LBB46_255
; %bb.254:
	global_store_b16 v[6:7], v15, off
.LBB46_255:
	s_mov_b32 s31, 0
.LBB46_256:
	s_delay_alu instid0(SALU_CYCLE_1)
	s_and_not1_b32 vcc_lo, exec_lo, s31
	s_cbranch_vccnz .LBB46_261
; %bb.257:
	v_mov_b32_e32 v3, 0x80
	s_and_not1_b32 vcc_lo, exec_lo, s26
	s_cbranch_vccnz .LBB46_260
; %bb.258:
	v_mov_b32_e32 v3, 0
	s_or_b32 s31, s24, s27
	s_delay_alu instid0(SALU_CYCLE_1)
	s_and_not1_b32 vcc_lo, exec_lo, s31
	s_cbranch_vccnz .LBB46_260
; %bb.259:
	v_cndmask_b32_e64 v3, v16, s25, s24
	s_delay_alu instid0(VALU_DEP_1)
	v_or_b32_e32 v3, v3, v12
.LBB46_260:
	global_store_b8 v[6:7], v3, off
.LBB46_261:
	s_mov_b32 s31, -1
.LBB46_262:
	s_mov_b32 s34, 0
.LBB46_263:
	s_delay_alu instid0(SALU_CYCLE_1)
	s_and_b32 vcc_lo, exec_lo, s34
	s_cbranch_vccz .LBB46_285
; %bb.264:
	v_cmp_lt_i16_e32 vcc_lo, 22, v19
	s_mov_b32 s34, -1
	s_cbranch_vccz .LBB46_277
; %bb.265:
	v_cmp_gt_i16_e32 vcc_lo, 24, v19
	s_mov_b32 s31, -1
	s_cbranch_vccnz .LBB46_274
; %bb.266:
	v_cmp_lt_i16_e32 vcc_lo, 24, v19
	s_cbranch_vccz .LBB46_271
; %bb.267:
	v_mov_b32_e32 v3, 0x80
	s_and_not1_b32 vcc_lo, exec_lo, s22
	s_cbranch_vccnz .LBB46_270
; %bb.268:
	v_mov_b32_e32 v3, 0
	s_or_b32 s31, s18, s23
	s_delay_alu instid0(SALU_CYCLE_1)
	s_and_not1_b32 vcc_lo, exec_lo, s31
	s_cbranch_vccnz .LBB46_270
; %bb.269:
	v_cndmask_b32_e64 v3, v14, s20, s18
	s_delay_alu instid0(VALU_DEP_1)
	v_or_b32_e32 v3, v3, v12
.LBB46_270:
	s_mov_b32 s31, 0
	global_store_b8 v[6:7], v3, off
.LBB46_271:
	s_and_b32 vcc_lo, exec_lo, s31
	s_cbranch_vccz .LBB46_273
; %bb.272:
	s_and_b32 s31, s17, exec_lo
	s_cselect_b32 s31, s12, s19
	s_and_b32 s34, s15, exec_lo
	s_cselect_b32 s31, s21, s31
	s_delay_alu instid0(SALU_CYCLE_1)
	v_or_b32_e32 v3, s31, v12
	global_store_b8 v[6:7], v3, off
.LBB46_273:
	s_mov_b32 s31, 0
.LBB46_274:
	s_delay_alu instid0(SALU_CYCLE_1)
	s_and_not1_b32 vcc_lo, exec_lo, s31
	s_cbranch_vccnz .LBB46_276
; %bb.275:
	s_and_b32 s31, s13, exec_lo
	s_cselect_b32 s31, s11, s14
	s_and_b32 s34, s10, exec_lo
	s_cselect_b32 s31, s16, s31
	s_delay_alu instid0(SALU_CYCLE_1)
	v_or_b32_e32 v3, s31, v12
	global_store_b8 v[6:7], v3, off
.LBB46_276:
	s_mov_b32 s34, 0
	s_mov_b32 s31, -1
.LBB46_277:
	s_and_not1_b32 vcc_lo, exec_lo, s34
	s_cbranch_vccnz .LBB46_285
; %bb.278:
	v_cmp_lt_i16_e32 vcc_lo, 14, v19
	s_mov_b32 s34, -1
	s_cbranch_vccz .LBB46_282
; %bb.279:
	v_cmp_eq_u16_e32 vcc_lo, 15, v19
	s_mov_b32 s1, -1
	s_cbranch_vccz .LBB46_281
; %bb.280:
	s_mov_b32 s31, -1
	s_mov_b32 s1, 0
	global_store_b16 v[6:7], v13, off
.LBB46_281:
	s_mov_b32 s34, 0
.LBB46_282:
	s_delay_alu instid0(SALU_CYCLE_1)
	s_and_b32 vcc_lo, exec_lo, s34
	s_cbranch_vccz .LBB46_285
; %bb.283:
	v_cmp_eq_u16_e32 vcc_lo, 11, v19
	s_mov_b32 s1, -1
	s_cbranch_vccz .LBB46_285
; %bb.284:
	s_mov_b32 s31, -1
	s_mov_b32 s1, 0
	global_store_b8 v[6:7], v11, off
.LBB46_285:
	s_branch .LBB46_220
.LBB46_286:
	v_cmp_gt_i16_e32 vcc_lo, 5, v19
	s_mov_b32 s31, -1
	s_cbranch_vccnz .LBB46_307
; %bb.287:
	v_cmp_gt_i16_e32 vcc_lo, 8, v19
	s_cbranch_vccnz .LBB46_297
; %bb.288:
	v_cmp_gt_i16_e32 vcc_lo, 9, v19
	s_cbranch_vccnz .LBB46_294
; %bb.289:
	v_cmp_lt_i16_e32 vcc_lo, 9, v19
	s_cbranch_vccz .LBB46_291
; %bb.290:
	v_dual_mov_b32 v22, 0 :: v_dual_mov_b32 v21, s3
	v_mov_b32_e32 v20, s2
	s_mov_b32 s31, 0
	s_delay_alu instid0(VALU_DEP_2)
	v_mov_b32_e32 v23, v22
	global_store_b128 v[6:7], v[20:23], off
.LBB46_291:
	s_and_not1_b32 vcc_lo, exec_lo, s31
	s_cbranch_vccnz .LBB46_293
; %bb.292:
	v_mov_b32_e32 v3, 0
	global_store_b64 v[6:7], v[2:3], off
.LBB46_293:
	s_mov_b32 s31, 0
.LBB46_294:
	s_delay_alu instid0(SALU_CYCLE_1)
	s_and_not1_b32 vcc_lo, exec_lo, s31
	s_cbranch_vccnz .LBB46_296
; %bb.295:
	global_store_b32 v[6:7], v10, off
.LBB46_296:
	s_mov_b32 s31, 0
.LBB46_297:
	s_delay_alu instid0(SALU_CYCLE_1)
	s_and_not1_b32 vcc_lo, exec_lo, s31
	s_cbranch_vccnz .LBB46_306
; %bb.298:
	v_cmp_gt_i16_e32 vcc_lo, 6, v19
	s_mov_b32 s31, -1
	s_cbranch_vccnz .LBB46_304
; %bb.299:
	v_cmp_lt_i16_e32 vcc_lo, 6, v19
	s_cbranch_vccz .LBB46_301
; %bb.300:
	v_dual_mov_b32 v21, s3 :: v_dual_mov_b32 v20, s2
	s_mov_b32 s31, 0
	global_store_b64 v[6:7], v[20:21], off
.LBB46_301:
	s_and_not1_b32 vcc_lo, exec_lo, s31
	s_cbranch_vccnz .LBB46_303
; %bb.302:
	global_store_b32 v[6:7], v2, off
.LBB46_303:
	s_mov_b32 s31, 0
.LBB46_304:
	s_delay_alu instid0(SALU_CYCLE_1)
	s_and_not1_b32 vcc_lo, exec_lo, s31
	s_cbranch_vccnz .LBB46_306
; %bb.305:
	global_store_b16 v[6:7], v9, off
.LBB46_306:
	s_mov_b32 s31, 0
.LBB46_307:
	s_delay_alu instid0(SALU_CYCLE_1)
	s_and_not1_b32 vcc_lo, exec_lo, s31
	s_cbranch_vccnz .LBB46_323
; %bb.308:
	v_cmp_gt_i16_e32 vcc_lo, 2, v19
	s_mov_b32 s31, -1
	s_cbranch_vccnz .LBB46_318
; %bb.309:
	v_cmp_gt_i16_e32 vcc_lo, 3, v19
	s_cbranch_vccnz .LBB46_315
; %bb.310:
	v_cmp_lt_i16_e32 vcc_lo, 3, v19
	s_cbranch_vccz .LBB46_312
; %bb.311:
	s_mov_b32 s31, 0
	global_store_b64 v[6:7], v[4:5], off
.LBB46_312:
	s_and_not1_b32 vcc_lo, exec_lo, s31
	s_cbranch_vccnz .LBB46_314
; %bb.313:
	global_store_b32 v[6:7], v8, off
.LBB46_314:
	s_mov_b32 s31, 0
.LBB46_315:
	s_delay_alu instid0(SALU_CYCLE_1)
	s_and_not1_b32 vcc_lo, exec_lo, s31
	s_cbranch_vccnz .LBB46_317
; %bb.316:
	global_store_b16 v[6:7], v8, off
.LBB46_317:
	s_mov_b32 s31, 0
.LBB46_318:
	s_delay_alu instid0(SALU_CYCLE_1)
	s_and_not1_b32 vcc_lo, exec_lo, s31
	s_cbranch_vccnz .LBB46_323
; %bb.319:
	v_cmp_lt_i16_e32 vcc_lo, 0, v19
	s_mov_b32 s31, -1
	s_cbranch_vccz .LBB46_321
; %bb.320:
	s_mov_b32 s31, 0
	global_store_b8 v[6:7], v8, off
.LBB46_321:
	s_and_not1_b32 vcc_lo, exec_lo, s31
	s_cbranch_vccnz .LBB46_323
; %bb.322:
	global_store_b8 v[6:7], v0, off
.LBB46_323:
	s_branch .LBB46_221
.LBB46_324:
	s_mov_b32 s34, 0
                                        ; implicit-def: $vgpr17
.LBB46_325:
	s_and_not1_b32 s31, s29, exec_lo
	s_and_b32 s1, s1, exec_lo
	s_delay_alu instid0(SALU_CYCLE_1)
	s_or_b32 s31, s31, s1
	s_or_not1_b32 s1, s34, exec_lo
.LBB46_326:
	s_or_b32 exec_lo, exec_lo, s33
	s_mov_b32 s34, 0
	s_mov_b32 s36, 0
                                        ; implicit-def: $vgpr19
                                        ; implicit-def: $vgpr6_vgpr7
	s_and_saveexec_b32 s33, s1
	s_cbranch_execz .LBB46_790
; %bb.327:
	s_mov_b32 s37, -1
	s_mov_b32 s35, s31
	s_mov_b32 s34, exec_lo
	v_cmpx_gt_i32_e64 s28, v17
	s_cbranch_execz .LBB46_558
; %bb.328:
	v_mul_lo_u32 v3, v17, s6
	v_and_b32_e64 v19, 0xff, s9
	s_delay_alu instid0(VALU_DEP_1) | instskip(NEXT) | instid1(VALU_DEP_3)
	v_cmp_gt_i16_e32 vcc_lo, 11, v19
	v_ashrrev_i32_e32 v7, 31, v3
	v_add_co_u32 v6, s1, s4, v3
	s_delay_alu instid0(VALU_DEP_1)
	v_add_co_ci_u32_e64 v7, s1, s5, v7, s1
	s_cbranch_vccnz .LBB46_335
; %bb.329:
	v_cmp_lt_i16_e32 vcc_lo, 25, v19
	s_cbranch_vccz .LBB46_336
; %bb.330:
	v_cmp_lt_i16_e32 vcc_lo, 28, v19
	s_cbranch_vccz .LBB46_337
	;; [unrolled: 3-line block ×4, first 2 shown]
; %bb.333:
	v_cmp_eq_u16_e32 vcc_lo, 46, v19
	s_mov_b32 s1, -1
	s_mov_b32 s35, 0
	s_cbranch_vccz .LBB46_470
; %bb.334:
	s_mov_b32 s35, -1
	s_mov_b32 s1, 0
	global_store_b32 v[6:7], v13, off
	s_branch .LBB46_470
.LBB46_335:
	s_mov_b32 s36, -1
	s_mov_b32 s35, 0
	s_mov_b32 s1, s31
	s_branch .LBB46_515
.LBB46_336:
	s_mov_b32 s36, -1
	s_mov_b32 s35, 0
	s_mov_b32 s1, s31
	s_branch .LBB46_492
.LBB46_337:
	s_mov_b32 s36, -1
	s_mov_b32 s35, 0
	s_mov_b32 s1, s31
	s_branch .LBB46_478
.LBB46_338:
	s_mov_b32 s36, -1
	s_mov_b32 s35, 0
	s_mov_b32 s1, s31
	s_branch .LBB46_474
.LBB46_339:
	s_mov_b32 s10, -1
	s_mov_b32 s9, 0
                                        ; implicit-def: $sgpr11
.LBB46_340:
	v_mov_b32_e32 v4, s11
	s_and_not1_b32 vcc_lo, exec_lo, s10
                                        ; implicit-def: $sgpr10
	s_cbranch_vccnz .LBB46_342
; %bb.341:
	v_add_f32_e64 v4, 0x42800000, |s8|
	s_mov_b32 s10, 0
	s_delay_alu instid0(VALU_DEP_1) | instskip(NEXT) | instid1(VALU_DEP_1)
	v_and_b32_e32 v4, 0xff, v4
	v_cmp_ne_u32_e64 s9, 0, v4
.LBB46_342:
	v_mov_b32_e32 v5, s10
	s_delay_alu instid0(VALU_DEP_2)
	s_and_not1_b32 vcc_lo, exec_lo, s9
	s_cbranch_vccnz .LBB46_344
; %bb.343:
	s_lshr_b32 s8, s8, 24
	s_delay_alu instid0(SALU_CYCLE_1) | instskip(NEXT) | instid1(SALU_CYCLE_1)
	s_and_b32 s8, s8, 0x80
	v_or_b32_e32 v5, s8, v4
.LBB46_344:
	s_mov_b32 s8, 0
	global_store_b8 v[0:1], v5, off
.LBB46_345:
	s_and_b32 vcc_lo, exec_lo, s8
	s_cbranch_vccz .LBB46_357
; %bb.346:
	v_cvt_f32_f64_e32 v4, s[2:3]
	s_delay_alu instid0(VALU_DEP_1) | instskip(NEXT) | instid1(VALU_DEP_1)
	v_readfirstlane_b32 s8, v4
	s_and_b32 s9, s8, 0x7fffffff
	s_delay_alu instid0(SALU_CYCLE_1)
	s_cmp_lt_u32 s9, 0x43f00000
	s_cbranch_scc0 .LBB46_349
; %bb.347:
	s_cmp_gt_u32 s9, 0x3c7fffff
	s_cbranch_scc0 .LBB46_350
; %bb.348:
	s_bfe_u32 s10, s8, 0x10014
	s_delay_alu instid0(SALU_CYCLE_1) | instskip(NEXT) | instid1(SALU_CYCLE_1)
	s_add_i32 s10, s8, s10
	s_add_i32 s10, s10, 0x407ffff
	s_delay_alu instid0(SALU_CYCLE_1)
	s_and_b32 s11, s10, 0xff00000
	s_lshr_b32 s10, s10, 20
	s_cmp_lg_u32 s11, 0x7f00000
	s_cselect_b32 s11, s10, 0x7e
	s_mov_b32 s10, 0
	s_branch .LBB46_351
.LBB46_349:
	s_mov_b32 s10, -1
                                        ; implicit-def: $vgpr5
	s_branch .LBB46_354
.LBB46_350:
	s_mov_b32 s10, -1
                                        ; implicit-def: $sgpr11
.LBB46_351:
	v_mov_b32_e32 v5, s11
	s_and_not1_b32 vcc_lo, exec_lo, s10
	s_cbranch_vccnz .LBB46_353
; %bb.352:
	v_add_f32_e64 v5, 0x46800000, |v4|
.LBB46_353:
	s_mov_b32 s10, 0
.LBB46_354:
	s_delay_alu instid0(SALU_CYCLE_1)
	s_and_not1_b32 vcc_lo, exec_lo, s10
	s_cbranch_vccnz .LBB46_356
; %bb.355:
	s_cmp_gt_u32 s9, 0x7f800000
	s_movk_i32 s9, 0x7f
	s_delay_alu instid0(SALU_CYCLE_1) | instskip(NEXT) | instid1(SALU_CYCLE_1)
	s_cselect_b32 s9, s9, 0x7e
	v_mov_b32_e32 v5, s9
.LBB46_356:
	s_lshr_b32 s8, s8, 24
	s_delay_alu instid0(SALU_CYCLE_1)
	s_and_b32 s8, s8, 0x80
	s_delay_alu instid0(VALU_DEP_1) | instid1(SALU_CYCLE_1)
	v_or_b32_e32 v4, s8, v5
	global_store_b8 v[0:1], v4, off
.LBB46_357:
	s_mov_b32 s8, 0
.LBB46_358:
	s_delay_alu instid0(SALU_CYCLE_1)
	s_and_not1_b32 vcc_lo, exec_lo, s8
	s_cbranch_vccnz .LBB46_370
; %bb.359:
	v_cvt_f32_f64_e32 v4, s[2:3]
	s_delay_alu instid0(VALU_DEP_1) | instskip(NEXT) | instid1(VALU_DEP_1)
	v_readfirstlane_b32 s8, v4
	s_and_b32 s9, s8, 0x7fffffff
	s_delay_alu instid0(SALU_CYCLE_1)
	s_cmp_lt_u32 s9, 0x47800000
	s_cbranch_scc0 .LBB46_362
; %bb.360:
	s_cmp_gt_u32 s9, 0x387fffff
	s_cbranch_scc0 .LBB46_363
; %bb.361:
	s_bfe_u32 s10, s8, 0x10015
	s_delay_alu instid0(SALU_CYCLE_1) | instskip(NEXT) | instid1(SALU_CYCLE_1)
	s_add_i32 s10, s8, s10
	s_add_i32 s10, s10, 0x80fffff
	s_delay_alu instid0(SALU_CYCLE_1)
	s_lshr_b32 s11, s10, 21
	s_mov_b32 s10, 0
	s_branch .LBB46_364
.LBB46_362:
	s_mov_b32 s10, -1
                                        ; implicit-def: $vgpr5
	s_branch .LBB46_367
.LBB46_363:
	s_mov_b32 s10, -1
                                        ; implicit-def: $sgpr11
.LBB46_364:
	v_mov_b32_e32 v5, s11
	s_and_not1_b32 vcc_lo, exec_lo, s10
	s_cbranch_vccnz .LBB46_366
; %bb.365:
	v_add_f32_e64 v5, 0x43000000, |v4|
.LBB46_366:
	s_mov_b32 s10, 0
.LBB46_367:
	s_delay_alu instid0(SALU_CYCLE_1)
	s_and_not1_b32 vcc_lo, exec_lo, s10
	s_cbranch_vccnz .LBB46_369
; %bb.368:
	s_cmp_gt_u32 s9, 0x7f800000
	s_movk_i32 s9, 0x7f
	s_delay_alu instid0(SALU_CYCLE_1) | instskip(NEXT) | instid1(SALU_CYCLE_1)
	s_cselect_b32 s9, s9, 0x7c
	v_mov_b32_e32 v5, s9
.LBB46_369:
	s_lshr_b32 s8, s8, 24
	s_delay_alu instid0(SALU_CYCLE_1)
	s_and_b32 s8, s8, 0x80
	s_delay_alu instid0(VALU_DEP_1) | instid1(SALU_CYCLE_1)
	v_or_b32_e32 v4, s8, v5
	global_store_b8 v[0:1], v4, off
.LBB46_370:
	s_mov_b32 s8, 0
	s_mov_b32 s10, -1
.LBB46_371:
	s_and_not1_b32 vcc_lo, exec_lo, s8
	s_mov_b32 s9, 0
	s_cbranch_vccnz .LBB46_378
; %bb.372:
	v_cmp_lt_i16_e32 vcc_lo, 14, v2
	s_mov_b32 s8, -1
	s_cbranch_vccz .LBB46_376
; %bb.373:
	v_cmp_eq_u16_e32 vcc_lo, 15, v2
	s_mov_b32 s0, -1
	s_cbranch_vccz .LBB46_375
; %bb.374:
	v_cvt_f32_f64_e32 v4, s[2:3]
	s_mov_b32 s0, 0
	s_mov_b32 s10, -1
	s_delay_alu instid0(VALU_DEP_1) | instskip(SKIP_1) | instid1(VALU_DEP_2)
	v_bfe_u32 v5, v4, 16, 1
	v_cmp_o_f32_e32 vcc_lo, v4, v4
	v_add_nc_u32_e32 v5, v4, v5
	s_delay_alu instid0(VALU_DEP_1) | instskip(NEXT) | instid1(VALU_DEP_1)
	v_add_nc_u32_e32 v5, 0x7fff, v5
	v_lshrrev_b32_e32 v5, 16, v5
	s_delay_alu instid0(VALU_DEP_1)
	v_cndmask_b32_e32 v4, 0x7fc0, v5, vcc_lo
	global_store_b16 v[0:1], v4, off
.LBB46_375:
	s_mov_b32 s8, 0
.LBB46_376:
	s_delay_alu instid0(SALU_CYCLE_1)
	s_and_b32 vcc_lo, exec_lo, s8
	s_cbranch_vccz .LBB46_378
; %bb.377:
	v_cmp_ne_u16_e64 s0, 11, v2
	s_mov_b32 s9, -1
.LBB46_378:
	s_delay_alu instid0(VALU_DEP_1)
	s_and_b32 vcc_lo, exec_lo, s0
	s_mov_b32 s8, s1
	s_cbranch_vccnz .LBB46_450
; %bb.379:
	s_and_not1_b32 vcc_lo, exec_lo, s9
	s_cbranch_vccnz .LBB46_381
.LBB46_380:
	v_cmp_neq_f64_e64 s0, s[2:3], 0
	s_mov_b32 s10, -1
	s_delay_alu instid0(VALU_DEP_1)
	v_cndmask_b32_e64 v4, 0, 1, s0
	global_store_b8 v[0:1], v4, off
.LBB46_381:
.LBB46_382:
	s_and_not1_b32 vcc_lo, exec_lo, s10
	s_cbranch_vccnz .LBB46_683
.LBB46_383:
	s_lshl_b32 s6, s6, 7
	v_cmp_gt_i16_e32 vcc_lo, 11, v2
	v_add_nc_u32_e32 v3, s6, v3
	s_delay_alu instid0(VALU_DEP_1) | instskip(SKIP_1) | instid1(VALU_DEP_1)
	v_ashrrev_i32_e32 v1, 31, v3
	v_add_co_u32 v0, s0, s4, v3
	v_add_co_ci_u32_e64 v1, s0, s5, v1, s0
	s_cbranch_vccnz .LBB46_411
; %bb.384:
	v_cmp_lt_i16_e32 vcc_lo, 25, v2
	s_mov_b32 s11, -1
	s_mov_b32 s9, 0
	s_mov_b32 s10, 0
	;; [unrolled: 1-line block ×3, first 2 shown]
	s_cbranch_vccz .LBB46_462
; %bb.385:
	v_cmp_lt_i16_e32 vcc_lo, 28, v2
	s_cbranch_vccz .LBB46_400
; %bb.386:
	v_cmp_lt_i16_e32 vcc_lo, 43, v2
	;; [unrolled: 3-line block ×3, first 2 shown]
	s_cbranch_vccz .LBB46_390
; %bb.388:
	v_cmp_eq_u16_e32 vcc_lo, 46, v2
	s_mov_b32 s0, -1
	s_mov_b32 s11, 0
	s_cbranch_vccz .LBB46_390
; %bb.389:
	v_cvt_f32_f64_e32 v4, s[2:3]
	s_mov_b32 s0, 0
	s_mov_b32 s10, -1
	s_delay_alu instid0(VALU_DEP_1) | instskip(SKIP_1) | instid1(VALU_DEP_2)
	v_bfe_u32 v5, v4, 16, 1
	v_cmp_o_f32_e32 vcc_lo, v4, v4
	v_add_nc_u32_e32 v5, v4, v5
	s_delay_alu instid0(VALU_DEP_1) | instskip(NEXT) | instid1(VALU_DEP_1)
	v_add_nc_u32_e32 v5, 0x7fff, v5
	v_lshrrev_b32_e32 v5, 16, v5
	s_delay_alu instid0(VALU_DEP_1)
	v_cndmask_b32_e32 v4, 0x7fc0, v5, vcc_lo
	global_store_b32 v[0:1], v4, off
.LBB46_390:
	s_and_b32 vcc_lo, exec_lo, s11
	s_cbranch_vccz .LBB46_395
; %bb.391:
	v_cmp_eq_u16_e32 vcc_lo, 44, v2
	s_mov_b32 s0, -1
	s_cbranch_vccz .LBB46_395
; %bb.392:
	v_cvt_f32_f64_e32 v4, s[2:3]
	v_mov_b32_e32 v5, 0xff
	s_delay_alu instid0(VALU_DEP_2) | instskip(NEXT) | instid1(VALU_DEP_1)
	v_readfirstlane_b32 s0, v4
	s_bfe_u32 s10, s0, 0x80017
	s_delay_alu instid0(SALU_CYCLE_1)
	s_cmpk_eq_i32 s10, 0xff
	s_cbranch_scc1 .LBB46_394
; %bb.393:
	s_bitcmp1_b32 s0, 22
	v_lshrrev_b32_e32 v4, 23, v4
	s_cselect_b32 s11, -1, 0
	s_and_b32 s0, s0, 0x3fffff
	s_delay_alu instid0(SALU_CYCLE_1) | instskip(NEXT) | instid1(SALU_CYCLE_1)
	s_or_b32 s0, s10, s0
	s_cmp_lg_u32 s0, 0
	s_cselect_b32 s0, -1, 0
	s_delay_alu instid0(SALU_CYCLE_1) | instskip(NEXT) | instid1(SALU_CYCLE_1)
	s_and_b32 s0, s11, s0
	v_cndmask_b32_e64 v5, 0, 1, s0
	s_delay_alu instid0(VALU_DEP_1)
	v_add_nc_u32_e32 v5, v4, v5
.LBB46_394:
	s_mov_b32 s0, 0
	s_mov_b32 s10, -1
	global_store_b8 v[0:1], v5, off
.LBB46_395:
	s_mov_b32 s11, 0
.LBB46_396:
	s_delay_alu instid0(SALU_CYCLE_1)
	s_and_b32 vcc_lo, exec_lo, s11
	s_cbranch_vccz .LBB46_399
; %bb.397:
	v_cmp_eq_u16_e32 vcc_lo, 29, v2
	s_mov_b32 s0, -1
	s_cbranch_vccz .LBB46_399
; %bb.398:
	v_trunc_f64_e32 v[4:5], s[2:3]
	s_mov_b32 s0, 0
	s_mov_b32 s10, -1
	s_delay_alu instid0(VALU_DEP_1) | instskip(NEXT) | instid1(VALU_DEP_1)
	v_ldexp_f64 v[6:7], v[4:5], 0xffffffe0
	v_floor_f64_e32 v[6:7], v[6:7]
	s_delay_alu instid0(VALU_DEP_1) | instskip(SKIP_1) | instid1(VALU_DEP_2)
	v_fma_f64 v[4:5], 0xc1f00000, v[6:7], v[4:5]
	v_cvt_u32_f64_e32 v6, v[6:7]
	v_cvt_u32_f64_e32 v5, v[4:5]
	global_store_b64 v[0:1], v[5:6], off
.LBB46_399:
	s_mov_b32 s11, 0
.LBB46_400:
	s_delay_alu instid0(SALU_CYCLE_1)
	s_and_b32 vcc_lo, exec_lo, s11
	s_cbranch_vccz .LBB46_461
; %bb.401:
	v_cmp_gt_i16_e32 vcc_lo, 27, v2
	s_mov_b32 s10, -1
	s_cbranch_vccnz .LBB46_407
; %bb.402:
	v_cmp_lt_i16_e32 vcc_lo, 27, v2
	s_cbranch_vccz .LBB46_404
; %bb.403:
	v_cvt_u32_f64_e32 v4, s[2:3]
	s_mov_b32 s10, 0
	global_store_b32 v[0:1], v4, off
.LBB46_404:
	s_and_not1_b32 vcc_lo, exec_lo, s10
	s_cbranch_vccnz .LBB46_406
; %bb.405:
	v_cvt_u32_f64_e32 v4, s[2:3]
	global_store_b16 v[0:1], v4, off
.LBB46_406:
	s_mov_b32 s10, 0
.LBB46_407:
	s_delay_alu instid0(SALU_CYCLE_1)
	s_and_not1_b32 vcc_lo, exec_lo, s10
	s_cbranch_vccnz .LBB46_460
; %bb.408:
	v_cvt_f32_f64_e32 v4, s[2:3]
	v_mov_b32_e32 v5, 0x80
	s_delay_alu instid0(VALU_DEP_2) | instskip(NEXT) | instid1(VALU_DEP_1)
	v_readfirstlane_b32 s10, v4
	s_and_b32 s11, s10, 0x7fffffff
	s_delay_alu instid0(SALU_CYCLE_1)
	s_cmp_gt_u32 s11, 0x437fffff
	s_cbranch_scc1 .LBB46_459
; %bb.409:
	s_cmp_gt_u32 s11, 0x3bffffff
	s_cbranch_scc0 .LBB46_454
; %bb.410:
	s_bfe_u32 s11, s10, 0x10014
	s_mov_b32 s12, 0
	s_add_i32 s11, s10, s11
	s_delay_alu instid0(SALU_CYCLE_1) | instskip(NEXT) | instid1(SALU_CYCLE_1)
	s_add_i32 s11, s11, 0x487ffff
	s_lshr_b32 s13, s11, 20
	s_mov_b32 s11, -1
	s_branch .LBB46_455
.LBB46_411:
	s_mov_b32 s10, 0
	s_cbranch_execz .LBB46_615
; %bb.412:
	v_cmp_gt_i16_e32 vcc_lo, 5, v2
	s_mov_b32 s0, -1
	s_cbranch_vccnz .LBB46_433
; %bb.413:
	v_cmp_gt_i16_e32 vcc_lo, 8, v2
	s_cbranch_vccnz .LBB46_423
; %bb.414:
	v_cmp_gt_i16_e32 vcc_lo, 9, v2
	s_cbranch_vccnz .LBB46_420
; %bb.415:
	v_cmp_lt_i16_e32 vcc_lo, 9, v2
	s_cbranch_vccz .LBB46_417
; %bb.416:
	v_dual_mov_b32 v6, 0 :: v_dual_mov_b32 v5, s3
	v_mov_b32_e32 v4, s2
	s_mov_b32 s0, 0
	s_delay_alu instid0(VALU_DEP_2)
	v_mov_b32_e32 v7, v6
	global_store_b128 v[0:1], v[4:7], off
.LBB46_417:
	s_and_not1_b32 vcc_lo, exec_lo, s0
	s_cbranch_vccnz .LBB46_419
; %bb.418:
	v_cvt_f32_f64_e32 v4, s[2:3]
	v_mov_b32_e32 v5, 0
	global_store_b64 v[0:1], v[4:5], off
.LBB46_419:
	s_mov_b32 s0, 0
.LBB46_420:
	s_delay_alu instid0(SALU_CYCLE_1)
	s_and_not1_b32 vcc_lo, exec_lo, s0
	s_cbranch_vccnz .LBB46_422
; %bb.421:
	v_cvt_f32_f64_e32 v4, s[2:3]
	s_delay_alu instid0(VALU_DEP_1) | instskip(NEXT) | instid1(VALU_DEP_1)
	v_cvt_f16_f32_e32 v4, v4
	v_and_b32_e32 v4, 0xffff, v4
	global_store_b32 v[0:1], v4, off
.LBB46_422:
	s_mov_b32 s0, 0
.LBB46_423:
	s_delay_alu instid0(SALU_CYCLE_1)
	s_and_not1_b32 vcc_lo, exec_lo, s0
	s_cbranch_vccnz .LBB46_432
; %bb.424:
	v_cmp_gt_i16_e32 vcc_lo, 6, v2
	s_mov_b32 s0, -1
	s_cbranch_vccnz .LBB46_430
; %bb.425:
	v_cmp_lt_i16_e32 vcc_lo, 6, v2
	s_cbranch_vccz .LBB46_427
; %bb.426:
	v_dual_mov_b32 v5, s3 :: v_dual_mov_b32 v4, s2
	s_mov_b32 s0, 0
	global_store_b64 v[0:1], v[4:5], off
.LBB46_427:
	s_and_not1_b32 vcc_lo, exec_lo, s0
	s_cbranch_vccnz .LBB46_429
; %bb.428:
	v_cvt_f32_f64_e32 v4, s[2:3]
	global_store_b32 v[0:1], v4, off
.LBB46_429:
	s_mov_b32 s0, 0
.LBB46_430:
	s_delay_alu instid0(SALU_CYCLE_1)
	s_and_not1_b32 vcc_lo, exec_lo, s0
	s_cbranch_vccnz .LBB46_432
; %bb.431:
	v_cvt_f32_f64_e32 v4, s[2:3]
	s_delay_alu instid0(VALU_DEP_1)
	v_cvt_f16_f32_e32 v4, v4
	global_store_b16 v[0:1], v4, off
.LBB46_432:
	s_mov_b32 s0, 0
.LBB46_433:
	s_delay_alu instid0(SALU_CYCLE_1)
	s_and_not1_b32 vcc_lo, exec_lo, s0
	s_cbranch_vccnz .LBB46_449
; %bb.434:
	v_cmp_gt_i16_e32 vcc_lo, 2, v2
	s_mov_b32 s0, -1
	s_cbranch_vccnz .LBB46_444
; %bb.435:
	v_cmp_gt_i16_e32 vcc_lo, 3, v2
	s_cbranch_vccnz .LBB46_441
; %bb.436:
	v_cmp_lt_i16_e32 vcc_lo, 3, v2
	s_cbranch_vccz .LBB46_438
; %bb.437:
	v_trunc_f64_e32 v[4:5], s[2:3]
	s_mov_b32 s0, 0
	s_delay_alu instid0(VALU_DEP_1) | instskip(NEXT) | instid1(VALU_DEP_1)
	v_ldexp_f64 v[6:7], v[4:5], 0xffffffe0
	v_floor_f64_e32 v[6:7], v[6:7]
	s_delay_alu instid0(VALU_DEP_1) | instskip(SKIP_1) | instid1(VALU_DEP_2)
	v_fma_f64 v[4:5], 0xc1f00000, v[6:7], v[4:5]
	v_cvt_i32_f64_e32 v6, v[6:7]
	v_cvt_u32_f64_e32 v5, v[4:5]
	global_store_b64 v[0:1], v[5:6], off
.LBB46_438:
	s_and_not1_b32 vcc_lo, exec_lo, s0
	s_cbranch_vccnz .LBB46_440
; %bb.439:
	v_cvt_i32_f64_e32 v4, s[2:3]
	global_store_b32 v[0:1], v4, off
.LBB46_440:
	s_mov_b32 s0, 0
.LBB46_441:
	s_delay_alu instid0(SALU_CYCLE_1)
	s_and_not1_b32 vcc_lo, exec_lo, s0
	s_cbranch_vccnz .LBB46_443
; %bb.442:
	v_cvt_i32_f64_e32 v4, s[2:3]
	global_store_b16 v[0:1], v4, off
.LBB46_443:
	s_mov_b32 s0, 0
.LBB46_444:
	s_delay_alu instid0(SALU_CYCLE_1)
	s_and_not1_b32 vcc_lo, exec_lo, s0
	s_cbranch_vccnz .LBB46_449
; %bb.445:
	v_cmp_lt_i16_e32 vcc_lo, 0, v2
	s_mov_b32 s0, -1
	s_cbranch_vccz .LBB46_447
; %bb.446:
	v_cvt_i32_f64_e32 v4, s[2:3]
	s_mov_b32 s0, 0
	global_store_b8 v[0:1], v4, off
.LBB46_447:
	s_and_not1_b32 vcc_lo, exec_lo, s0
	s_cbranch_vccnz .LBB46_449
; %bb.448:
	v_trunc_f64_e32 v[4:5], s[2:3]
	s_delay_alu instid0(VALU_DEP_1) | instskip(NEXT) | instid1(VALU_DEP_1)
	v_ldexp_f64 v[6:7], v[4:5], 0xffffffe0
	v_floor_f64_e32 v[6:7], v[6:7]
	s_delay_alu instid0(VALU_DEP_1) | instskip(NEXT) | instid1(VALU_DEP_1)
	v_fma_f64 v[4:5], 0xc1f00000, v[6:7], v[4:5]
	v_cvt_u32_f64_e32 v4, v[4:5]
	global_store_b8 v[0:1], v4, off
.LBB46_449:
	s_branch .LBB46_616
.LBB46_450:
	s_cbranch_execnz .LBB46_452
; %bb.451:
	s_or_b32 s8, s1, exec_lo
	s_cbranch_execz .LBB46_380
	s_branch .LBB46_381
.LBB46_452:
	s_trap 2
	s_sendmsg_rtn_b32 s0, sendmsg(MSG_RTN_GET_DOORBELL)
	s_mov_b32 ttmp2, m0
	s_waitcnt lgkmcnt(0)
	s_and_b32 s0, s0, 0x3ff
	s_delay_alu instid0(SALU_CYCLE_1) | instskip(NEXT) | instid1(SALU_CYCLE_1)
	s_bitset1_b32 s0, 10
	s_mov_b32 m0, s0
	s_sendmsg sendmsg(MSG_INTERRUPT)
	s_mov_b32 m0, ttmp2
.LBB46_453:                             ; =>This Inner Loop Header: Depth=1
	s_sethalt 5
	s_branch .LBB46_453
.LBB46_454:
	s_mov_b32 s12, -1
	s_mov_b32 s11, 0
                                        ; implicit-def: $sgpr13
.LBB46_455:
	v_mov_b32_e32 v4, s13
	s_and_not1_b32 vcc_lo, exec_lo, s12
                                        ; implicit-def: $sgpr12
	s_cbranch_vccnz .LBB46_457
; %bb.456:
	v_add_f32_e64 v4, 0x46000000, |s10|
	s_mov_b32 s12, 0
	s_delay_alu instid0(VALU_DEP_1) | instskip(NEXT) | instid1(VALU_DEP_1)
	v_and_b32_e32 v4, 0xff, v4
	v_cmp_ne_u32_e64 s11, 0, v4
.LBB46_457:
	v_mov_b32_e32 v5, s12
	s_delay_alu instid0(VALU_DEP_2)
	s_and_not1_b32 vcc_lo, exec_lo, s11
	s_cbranch_vccnz .LBB46_459
; %bb.458:
	s_lshr_b32 s10, s10, 24
	s_delay_alu instid0(SALU_CYCLE_1) | instskip(NEXT) | instid1(SALU_CYCLE_1)
	s_and_b32 s10, s10, 0x80
	v_or_b32_e32 v5, s10, v4
.LBB46_459:
	global_store_b8 v[0:1], v5, off
.LBB46_460:
	s_mov_b32 s10, -1
.LBB46_461:
	s_mov_b32 s11, 0
.LBB46_462:
	s_delay_alu instid0(SALU_CYCLE_1)
	s_and_b32 vcc_lo, exec_lo, s11
	s_cbranch_vccz .LBB46_611
; %bb.463:
	v_cmp_lt_i16_e32 vcc_lo, 22, v2
	s_mov_b32 s9, -1
	s_cbranch_vccz .LBB46_604
; %bb.464:
	v_cmp_gt_i16_e32 vcc_lo, 24, v2
	s_cbranch_vccnz .LBB46_591
; %bb.465:
	v_cmp_lt_i16_e32 vcc_lo, 24, v2
	s_cbranch_vccz .LBB46_578
; %bb.466:
	v_cvt_f32_f64_e32 v4, s[2:3]
	v_mov_b32_e32 v5, 0x80
	s_delay_alu instid0(VALU_DEP_2) | instskip(NEXT) | instid1(VALU_DEP_1)
	v_readfirstlane_b32 s9, v4
	s_and_b32 s10, s9, 0x7fffffff
	s_delay_alu instid0(SALU_CYCLE_1)
	s_cmp_gt_u32 s10, 0x477fffff
	s_cbranch_scc1 .LBB46_577
; %bb.467:
	s_cmp_gt_u32 s10, 0x37ffffff
	s_cbranch_scc0 .LBB46_572
; %bb.468:
	s_bfe_u32 s10, s9, 0x10015
	s_mov_b32 s11, 0
	s_add_i32 s10, s9, s10
	s_delay_alu instid0(SALU_CYCLE_1) | instskip(NEXT) | instid1(SALU_CYCLE_1)
	s_add_i32 s10, s10, 0x88fffff
	s_lshr_b32 s12, s10, 21
	s_mov_b32 s10, -1
	s_branch .LBB46_573
.LBB46_469:
	s_mov_b32 s36, -1
	s_mov_b32 s35, 0
	s_mov_b32 s1, s31
.LBB46_470:
	s_and_b32 vcc_lo, exec_lo, s36
	s_cbranch_vccz .LBB46_473
; %bb.471:
	v_cmp_eq_u16_e32 vcc_lo, 44, v19
	s_mov_b32 s1, -1
	s_cbranch_vccz .LBB46_473
; %bb.472:
	v_cndmask_b32_e64 v3, v18, 0xff, s0
	s_mov_b32 s35, -1
	s_mov_b32 s1, 0
	global_store_b8 v[6:7], v3, off
.LBB46_473:
	s_mov_b32 s36, 0
.LBB46_474:
	s_delay_alu instid0(SALU_CYCLE_1)
	s_and_b32 vcc_lo, exec_lo, s36
	s_cbranch_vccz .LBB46_477
; %bb.475:
	v_cmp_eq_u16_e32 vcc_lo, 29, v19
	s_mov_b32 s1, -1
	s_cbranch_vccz .LBB46_477
; %bb.476:
	s_mov_b32 s35, -1
	s_mov_b32 s1, 0
	global_store_b64 v[6:7], v[0:1], off
.LBB46_477:
	s_mov_b32 s36, 0
.LBB46_478:
	s_delay_alu instid0(SALU_CYCLE_1)
	s_and_b32 vcc_lo, exec_lo, s36
	s_cbranch_vccz .LBB46_491
; %bb.479:
	v_cmp_gt_i16_e32 vcc_lo, 27, v19
	s_mov_b32 s35, -1
	s_cbranch_vccnz .LBB46_485
; %bb.480:
	v_cmp_lt_i16_e32 vcc_lo, 27, v19
	s_cbranch_vccz .LBB46_482
; %bb.481:
	s_mov_b32 s35, 0
	global_store_b32 v[6:7], v15, off
.LBB46_482:
	s_and_not1_b32 vcc_lo, exec_lo, s35
	s_cbranch_vccnz .LBB46_484
; %bb.483:
	global_store_b16 v[6:7], v15, off
.LBB46_484:
	s_mov_b32 s35, 0
.LBB46_485:
	s_delay_alu instid0(SALU_CYCLE_1)
	s_and_not1_b32 vcc_lo, exec_lo, s35
	s_cbranch_vccnz .LBB46_490
; %bb.486:
	v_mov_b32_e32 v3, 0x80
	s_and_not1_b32 vcc_lo, exec_lo, s26
	s_cbranch_vccnz .LBB46_489
; %bb.487:
	v_mov_b32_e32 v3, 0
	s_or_b32 s35, s24, s27
	s_delay_alu instid0(SALU_CYCLE_1)
	s_and_not1_b32 vcc_lo, exec_lo, s35
	s_cbranch_vccnz .LBB46_489
; %bb.488:
	v_cndmask_b32_e64 v3, v16, s25, s24
	s_delay_alu instid0(VALU_DEP_1)
	v_or_b32_e32 v3, v3, v12
.LBB46_489:
	global_store_b8 v[6:7], v3, off
.LBB46_490:
	s_mov_b32 s35, -1
.LBB46_491:
	s_mov_b32 s36, 0
.LBB46_492:
	s_delay_alu instid0(SALU_CYCLE_1)
	s_and_b32 vcc_lo, exec_lo, s36
	s_cbranch_vccz .LBB46_514
; %bb.493:
	v_cmp_lt_i16_e32 vcc_lo, 22, v19
	s_mov_b32 s36, -1
	s_cbranch_vccz .LBB46_506
; %bb.494:
	v_cmp_gt_i16_e32 vcc_lo, 24, v19
	s_mov_b32 s35, -1
	s_cbranch_vccnz .LBB46_503
; %bb.495:
	v_cmp_lt_i16_e32 vcc_lo, 24, v19
	s_cbranch_vccz .LBB46_500
; %bb.496:
	v_mov_b32_e32 v3, 0x80
	s_and_not1_b32 vcc_lo, exec_lo, s22
	s_cbranch_vccnz .LBB46_499
; %bb.497:
	v_mov_b32_e32 v3, 0
	s_or_b32 s35, s18, s23
	s_delay_alu instid0(SALU_CYCLE_1)
	s_and_not1_b32 vcc_lo, exec_lo, s35
	s_cbranch_vccnz .LBB46_499
; %bb.498:
	v_cndmask_b32_e64 v3, v14, s20, s18
	s_delay_alu instid0(VALU_DEP_1)
	v_or_b32_e32 v3, v3, v12
.LBB46_499:
	s_mov_b32 s35, 0
	global_store_b8 v[6:7], v3, off
.LBB46_500:
	s_and_b32 vcc_lo, exec_lo, s35
	s_cbranch_vccz .LBB46_502
; %bb.501:
	s_and_b32 s35, s17, exec_lo
	s_cselect_b32 s35, s12, s19
	s_and_b32 s36, s15, exec_lo
	s_cselect_b32 s35, s21, s35
	s_delay_alu instid0(SALU_CYCLE_1)
	v_or_b32_e32 v3, s35, v12
	global_store_b8 v[6:7], v3, off
.LBB46_502:
	s_mov_b32 s35, 0
.LBB46_503:
	s_delay_alu instid0(SALU_CYCLE_1)
	s_and_not1_b32 vcc_lo, exec_lo, s35
	s_cbranch_vccnz .LBB46_505
; %bb.504:
	s_and_b32 s35, s13, exec_lo
	s_cselect_b32 s35, s11, s14
	s_and_b32 s36, s10, exec_lo
	s_cselect_b32 s35, s16, s35
	s_delay_alu instid0(SALU_CYCLE_1)
	v_or_b32_e32 v3, s35, v12
	global_store_b8 v[6:7], v3, off
.LBB46_505:
	s_mov_b32 s36, 0
	s_mov_b32 s35, -1
.LBB46_506:
	s_and_not1_b32 vcc_lo, exec_lo, s36
	s_cbranch_vccnz .LBB46_514
; %bb.507:
	v_cmp_lt_i16_e32 vcc_lo, 14, v19
	s_mov_b32 s36, -1
	s_cbranch_vccz .LBB46_511
; %bb.508:
	v_cmp_eq_u16_e32 vcc_lo, 15, v19
	s_mov_b32 s1, -1
	s_cbranch_vccz .LBB46_510
; %bb.509:
	s_mov_b32 s35, -1
	s_mov_b32 s1, 0
	global_store_b16 v[6:7], v13, off
.LBB46_510:
	s_mov_b32 s36, 0
.LBB46_511:
	s_delay_alu instid0(SALU_CYCLE_1)
	s_and_b32 vcc_lo, exec_lo, s36
	s_cbranch_vccz .LBB46_514
; %bb.512:
	v_cmp_eq_u16_e32 vcc_lo, 11, v19
	s_mov_b32 s1, -1
	s_cbranch_vccz .LBB46_514
; %bb.513:
	s_mov_b32 s35, -1
	s_mov_b32 s1, 0
	global_store_b8 v[6:7], v11, off
.LBB46_514:
	s_mov_b32 s36, 0
.LBB46_515:
	s_delay_alu instid0(SALU_CYCLE_1)
	s_and_b32 vcc_lo, exec_lo, s36
	s_cbranch_vccz .LBB46_554
; %bb.516:
	v_cmp_gt_i16_e32 vcc_lo, 5, v19
	s_mov_b32 s35, -1
	s_cbranch_vccnz .LBB46_537
; %bb.517:
	v_cmp_gt_i16_e32 vcc_lo, 8, v19
	s_cbranch_vccnz .LBB46_527
; %bb.518:
	v_cmp_gt_i16_e32 vcc_lo, 9, v19
	s_cbranch_vccnz .LBB46_524
; %bb.519:
	v_cmp_lt_i16_e32 vcc_lo, 9, v19
	s_cbranch_vccz .LBB46_521
; %bb.520:
	v_dual_mov_b32 v22, 0 :: v_dual_mov_b32 v21, s3
	v_mov_b32_e32 v20, s2
	s_mov_b32 s35, 0
	s_delay_alu instid0(VALU_DEP_2)
	v_mov_b32_e32 v23, v22
	global_store_b128 v[6:7], v[20:23], off
.LBB46_521:
	s_and_not1_b32 vcc_lo, exec_lo, s35
	s_cbranch_vccnz .LBB46_523
; %bb.522:
	v_mov_b32_e32 v3, 0
	global_store_b64 v[6:7], v[2:3], off
.LBB46_523:
	s_mov_b32 s35, 0
.LBB46_524:
	s_delay_alu instid0(SALU_CYCLE_1)
	s_and_not1_b32 vcc_lo, exec_lo, s35
	s_cbranch_vccnz .LBB46_526
; %bb.525:
	global_store_b32 v[6:7], v10, off
.LBB46_526:
	s_mov_b32 s35, 0
.LBB46_527:
	s_delay_alu instid0(SALU_CYCLE_1)
	s_and_not1_b32 vcc_lo, exec_lo, s35
	s_cbranch_vccnz .LBB46_536
; %bb.528:
	v_cmp_gt_i16_e32 vcc_lo, 6, v19
	s_mov_b32 s35, -1
	s_cbranch_vccnz .LBB46_534
; %bb.529:
	v_cmp_lt_i16_e32 vcc_lo, 6, v19
	s_cbranch_vccz .LBB46_531
; %bb.530:
	v_dual_mov_b32 v21, s3 :: v_dual_mov_b32 v20, s2
	s_mov_b32 s35, 0
	global_store_b64 v[6:7], v[20:21], off
.LBB46_531:
	s_and_not1_b32 vcc_lo, exec_lo, s35
	s_cbranch_vccnz .LBB46_533
; %bb.532:
	global_store_b32 v[6:7], v2, off
.LBB46_533:
	s_mov_b32 s35, 0
.LBB46_534:
	s_delay_alu instid0(SALU_CYCLE_1)
	s_and_not1_b32 vcc_lo, exec_lo, s35
	s_cbranch_vccnz .LBB46_536
; %bb.535:
	global_store_b16 v[6:7], v9, off
.LBB46_536:
	s_mov_b32 s35, 0
.LBB46_537:
	s_delay_alu instid0(SALU_CYCLE_1)
	s_and_not1_b32 vcc_lo, exec_lo, s35
	s_cbranch_vccnz .LBB46_553
; %bb.538:
	v_cmp_gt_i16_e32 vcc_lo, 2, v19
	s_mov_b32 s35, -1
	s_cbranch_vccnz .LBB46_548
; %bb.539:
	v_cmp_gt_i16_e32 vcc_lo, 3, v19
	s_cbranch_vccnz .LBB46_545
; %bb.540:
	v_cmp_lt_i16_e32 vcc_lo, 3, v19
	s_cbranch_vccz .LBB46_542
; %bb.541:
	s_mov_b32 s35, 0
	global_store_b64 v[6:7], v[4:5], off
.LBB46_542:
	s_and_not1_b32 vcc_lo, exec_lo, s35
	s_cbranch_vccnz .LBB46_544
; %bb.543:
	global_store_b32 v[6:7], v8, off
.LBB46_544:
	s_mov_b32 s35, 0
.LBB46_545:
	s_delay_alu instid0(SALU_CYCLE_1)
	s_and_not1_b32 vcc_lo, exec_lo, s35
	s_cbranch_vccnz .LBB46_547
; %bb.546:
	global_store_b16 v[6:7], v8, off
.LBB46_547:
	s_mov_b32 s35, 0
.LBB46_548:
	s_delay_alu instid0(SALU_CYCLE_1)
	s_and_not1_b32 vcc_lo, exec_lo, s35
	s_cbranch_vccnz .LBB46_553
; %bb.549:
	v_cmp_lt_i16_e32 vcc_lo, 0, v19
	s_mov_b32 s35, -1
	s_cbranch_vccz .LBB46_551
; %bb.550:
	s_mov_b32 s35, 0
	global_store_b8 v[6:7], v8, off
.LBB46_551:
	s_and_not1_b32 vcc_lo, exec_lo, s35
	s_cbranch_vccnz .LBB46_553
; %bb.552:
	global_store_b8 v[6:7], v0, off
.LBB46_553:
	s_mov_b32 s35, -1
.LBB46_554:
	s_delay_alu instid0(SALU_CYCLE_1)
	s_and_not1_b32 vcc_lo, exec_lo, s35
	s_cbranch_vccnz .LBB46_556
; %bb.555:
	v_add_nc_u32_e32 v17, 0x80, v17
	s_mov_b32 s36, -1
	s_branch .LBB46_557
.LBB46_556:
	s_mov_b32 s36, 0
                                        ; implicit-def: $vgpr17
.LBB46_557:
	s_and_not1_b32 s35, s31, exec_lo
	s_and_b32 s1, s1, exec_lo
	s_or_not1_b32 s37, s36, exec_lo
	s_or_b32 s35, s35, s1
.LBB46_558:
	s_or_b32 exec_lo, exec_lo, s34
	s_mov_b32 s1, 0
	s_mov_b32 s36, 0
                                        ; implicit-def: $vgpr19
                                        ; implicit-def: $vgpr6_vgpr7
	s_and_saveexec_b32 s34, s37
	s_cbranch_execz .LBB46_789
; %bb.559:
	v_cmp_gt_i32_e32 vcc_lo, s28, v17
	s_mov_b32 s37, s35
                                        ; implicit-def: $vgpr19
                                        ; implicit-def: $vgpr6_vgpr7
	s_and_saveexec_b32 s28, vcc_lo
	s_cbranch_execz .LBB46_788
; %bb.560:
	v_mul_lo_u32 v3, v17, s6
	v_and_b32_e64 v19, 0xff, s9
	s_delay_alu instid0(VALU_DEP_1) | instskip(NEXT) | instid1(VALU_DEP_3)
	v_cmp_gt_i16_e32 vcc_lo, 11, v19
	v_ashrrev_i32_e32 v7, 31, v3
	v_add_co_u32 v6, s1, s4, v3
	s_delay_alu instid0(VALU_DEP_1)
	v_add_co_ci_u32_e64 v7, s1, s5, v7, s1
	s_cbranch_vccnz .LBB46_571
; %bb.561:
	v_cmp_lt_i16_e32 vcc_lo, 25, v19
	s_mov_b32 s36, -1
	s_mov_b32 s1, s35
	s_cbranch_vccz .LBB46_765
; %bb.562:
	v_cmp_lt_i16_e32 vcc_lo, 28, v19
	s_mov_b32 s1, s35
	s_cbranch_vccz .LBB46_752
; %bb.563:
	v_cmp_lt_i16_e32 vcc_lo, 43, v19
	;; [unrolled: 4-line block ×3, first 2 shown]
	s_mov_b32 s1, s35
	s_cbranch_vccz .LBB46_568
; %bb.565:
	v_cmp_eq_u16_e32 vcc_lo, 46, v19
	s_mov_b32 s1, -1
	s_cbranch_vccz .LBB46_567
; %bb.566:
	s_mov_b32 s1, 0
	global_store_b32 v[6:7], v13, off
.LBB46_567:
	s_mov_b32 s36, 0
.LBB46_568:
	s_delay_alu instid0(SALU_CYCLE_1)
	s_and_b32 vcc_lo, exec_lo, s36
	s_cbranch_vccz .LBB46_747
; %bb.569:
	v_cmp_eq_u16_e32 vcc_lo, 44, v19
	s_mov_b32 s1, -1
	s_cbranch_vccz .LBB46_747
; %bb.570:
	v_cndmask_b32_e64 v3, v18, 0xff, s0
	s_mov_b32 s1, 0
	s_mov_b32 s36, 0
	global_store_b8 v[6:7], v3, off
	s_branch .LBB46_748
.LBB46_571:
	s_mov_b32 s10, 0
	s_mov_b32 s0, -1
	s_mov_b32 s1, s35
	s_branch .LBB46_787
.LBB46_572:
	s_mov_b32 s11, -1
	s_mov_b32 s10, 0
                                        ; implicit-def: $sgpr12
.LBB46_573:
	v_mov_b32_e32 v4, s12
	s_and_not1_b32 vcc_lo, exec_lo, s11
                                        ; implicit-def: $sgpr11
	s_cbranch_vccnz .LBB46_575
; %bb.574:
	v_add_f32_e64 v4, 0x42800000, |s9|
	s_mov_b32 s11, 0
	s_delay_alu instid0(VALU_DEP_1) | instskip(NEXT) | instid1(VALU_DEP_1)
	v_and_b32_e32 v4, 0xff, v4
	v_cmp_ne_u32_e64 s10, 0, v4
.LBB46_575:
	v_mov_b32_e32 v5, s11
	s_delay_alu instid0(VALU_DEP_2)
	s_and_not1_b32 vcc_lo, exec_lo, s10
	s_cbranch_vccnz .LBB46_577
; %bb.576:
	s_lshr_b32 s9, s9, 24
	s_delay_alu instid0(SALU_CYCLE_1) | instskip(NEXT) | instid1(SALU_CYCLE_1)
	s_and_b32 s9, s9, 0x80
	v_or_b32_e32 v5, s9, v4
.LBB46_577:
	s_mov_b32 s9, 0
	global_store_b8 v[0:1], v5, off
.LBB46_578:
	s_and_b32 vcc_lo, exec_lo, s9
	s_cbranch_vccz .LBB46_590
; %bb.579:
	v_cvt_f32_f64_e32 v4, s[2:3]
	s_delay_alu instid0(VALU_DEP_1) | instskip(NEXT) | instid1(VALU_DEP_1)
	v_readfirstlane_b32 s9, v4
	s_and_b32 s10, s9, 0x7fffffff
	s_delay_alu instid0(SALU_CYCLE_1)
	s_cmp_lt_u32 s10, 0x43f00000
	s_cbranch_scc0 .LBB46_582
; %bb.580:
	s_cmp_gt_u32 s10, 0x3c7fffff
	s_cbranch_scc0 .LBB46_583
; %bb.581:
	s_bfe_u32 s11, s9, 0x10014
	s_delay_alu instid0(SALU_CYCLE_1) | instskip(NEXT) | instid1(SALU_CYCLE_1)
	s_add_i32 s11, s9, s11
	s_add_i32 s11, s11, 0x407ffff
	s_delay_alu instid0(SALU_CYCLE_1)
	s_and_b32 s12, s11, 0xff00000
	s_lshr_b32 s11, s11, 20
	s_cmp_lg_u32 s12, 0x7f00000
	s_cselect_b32 s12, s11, 0x7e
	s_mov_b32 s11, 0
	s_branch .LBB46_584
.LBB46_582:
	s_mov_b32 s11, -1
                                        ; implicit-def: $vgpr5
	s_branch .LBB46_587
.LBB46_583:
	s_mov_b32 s11, -1
                                        ; implicit-def: $sgpr12
.LBB46_584:
	v_mov_b32_e32 v5, s12
	s_and_not1_b32 vcc_lo, exec_lo, s11
	s_cbranch_vccnz .LBB46_586
; %bb.585:
	v_add_f32_e64 v5, 0x46800000, |v4|
.LBB46_586:
	s_mov_b32 s11, 0
.LBB46_587:
	s_delay_alu instid0(SALU_CYCLE_1)
	s_and_not1_b32 vcc_lo, exec_lo, s11
	s_cbranch_vccnz .LBB46_589
; %bb.588:
	s_cmp_gt_u32 s10, 0x7f800000
	s_movk_i32 s10, 0x7f
	s_delay_alu instid0(SALU_CYCLE_1) | instskip(NEXT) | instid1(SALU_CYCLE_1)
	s_cselect_b32 s10, s10, 0x7e
	v_mov_b32_e32 v5, s10
.LBB46_589:
	s_lshr_b32 s9, s9, 24
	s_delay_alu instid0(SALU_CYCLE_1)
	s_and_b32 s9, s9, 0x80
	s_delay_alu instid0(VALU_DEP_1) | instid1(SALU_CYCLE_1)
	v_or_b32_e32 v4, s9, v5
	global_store_b8 v[0:1], v4, off
.LBB46_590:
	s_mov_b32 s9, 0
.LBB46_591:
	s_delay_alu instid0(SALU_CYCLE_1)
	s_and_not1_b32 vcc_lo, exec_lo, s9
	s_cbranch_vccnz .LBB46_603
; %bb.592:
	v_cvt_f32_f64_e32 v4, s[2:3]
	s_delay_alu instid0(VALU_DEP_1) | instskip(NEXT) | instid1(VALU_DEP_1)
	v_readfirstlane_b32 s9, v4
	s_and_b32 s10, s9, 0x7fffffff
	s_delay_alu instid0(SALU_CYCLE_1)
	s_cmp_lt_u32 s10, 0x47800000
	s_cbranch_scc0 .LBB46_595
; %bb.593:
	s_cmp_gt_u32 s10, 0x387fffff
	s_cbranch_scc0 .LBB46_596
; %bb.594:
	s_bfe_u32 s11, s9, 0x10015
	s_delay_alu instid0(SALU_CYCLE_1) | instskip(NEXT) | instid1(SALU_CYCLE_1)
	s_add_i32 s11, s9, s11
	s_add_i32 s11, s11, 0x80fffff
	s_delay_alu instid0(SALU_CYCLE_1)
	s_lshr_b32 s12, s11, 21
	s_mov_b32 s11, 0
	s_branch .LBB46_597
.LBB46_595:
	s_mov_b32 s11, -1
                                        ; implicit-def: $vgpr5
	s_branch .LBB46_600
.LBB46_596:
	s_mov_b32 s11, -1
                                        ; implicit-def: $sgpr12
.LBB46_597:
	v_mov_b32_e32 v5, s12
	s_and_not1_b32 vcc_lo, exec_lo, s11
	s_cbranch_vccnz .LBB46_599
; %bb.598:
	v_add_f32_e64 v5, 0x43000000, |v4|
.LBB46_599:
	s_mov_b32 s11, 0
.LBB46_600:
	s_delay_alu instid0(SALU_CYCLE_1)
	s_and_not1_b32 vcc_lo, exec_lo, s11
	s_cbranch_vccnz .LBB46_602
; %bb.601:
	s_cmp_gt_u32 s10, 0x7f800000
	s_movk_i32 s10, 0x7f
	s_delay_alu instid0(SALU_CYCLE_1) | instskip(NEXT) | instid1(SALU_CYCLE_1)
	s_cselect_b32 s10, s10, 0x7c
	v_mov_b32_e32 v5, s10
.LBB46_602:
	s_lshr_b32 s9, s9, 24
	s_delay_alu instid0(SALU_CYCLE_1)
	s_and_b32 s9, s9, 0x80
	s_delay_alu instid0(VALU_DEP_1) | instid1(SALU_CYCLE_1)
	v_or_b32_e32 v4, s9, v5
	global_store_b8 v[0:1], v4, off
.LBB46_603:
	s_mov_b32 s9, 0
	s_mov_b32 s10, -1
.LBB46_604:
	s_and_not1_b32 vcc_lo, exec_lo, s9
	s_mov_b32 s9, 0
	s_cbranch_vccnz .LBB46_611
; %bb.605:
	v_cmp_lt_i16_e32 vcc_lo, 14, v2
	s_mov_b32 s9, -1
	s_cbranch_vccz .LBB46_609
; %bb.606:
	v_cmp_eq_u16_e32 vcc_lo, 15, v2
	s_mov_b32 s0, -1
	s_cbranch_vccz .LBB46_608
; %bb.607:
	v_cvt_f32_f64_e32 v4, s[2:3]
	s_mov_b32 s0, 0
	s_mov_b32 s10, -1
	s_delay_alu instid0(VALU_DEP_1) | instskip(SKIP_1) | instid1(VALU_DEP_2)
	v_bfe_u32 v5, v4, 16, 1
	v_cmp_o_f32_e32 vcc_lo, v4, v4
	v_add_nc_u32_e32 v5, v4, v5
	s_delay_alu instid0(VALU_DEP_1) | instskip(NEXT) | instid1(VALU_DEP_1)
	v_add_nc_u32_e32 v5, 0x7fff, v5
	v_lshrrev_b32_e32 v5, 16, v5
	s_delay_alu instid0(VALU_DEP_1)
	v_cndmask_b32_e32 v4, 0x7fc0, v5, vcc_lo
	global_store_b16 v[0:1], v4, off
.LBB46_608:
	s_mov_b32 s9, 0
.LBB46_609:
	s_delay_alu instid0(SALU_CYCLE_1)
	s_and_b32 vcc_lo, exec_lo, s9
	s_mov_b32 s9, 0
	s_cbranch_vccz .LBB46_611
; %bb.610:
	v_cmp_ne_u16_e64 s0, 11, v2
	s_mov_b32 s9, -1
.LBB46_611:
	s_delay_alu instid0(VALU_DEP_1)
	s_and_b32 vcc_lo, exec_lo, s0
	s_cbranch_vccnz .LBB46_728
; %bb.612:
	s_and_not1_b32 vcc_lo, exec_lo, s9
	s_cbranch_vccnz .LBB46_614
.LBB46_613:
	v_cmp_neq_f64_e64 s0, s[2:3], 0
	s_mov_b32 s10, -1
	s_delay_alu instid0(VALU_DEP_1)
	v_cndmask_b32_e64 v4, 0, 1, s0
	global_store_b8 v[0:1], v4, off
.LBB46_614:
.LBB46_615:
	s_and_not1_b32 vcc_lo, exec_lo, s10
	s_cbranch_vccnz .LBB46_683
.LBB46_616:
	v_add_nc_u32_e32 v3, s6, v3
	v_cmp_gt_i16_e32 vcc_lo, 11, v2
	s_delay_alu instid0(VALU_DEP_2) | instskip(SKIP_1) | instid1(VALU_DEP_1)
	v_ashrrev_i32_e32 v1, 31, v3
	v_add_co_u32 v0, s0, s4, v3
	v_add_co_ci_u32_e64 v1, s0, s5, v1, s0
	s_cbranch_vccnz .LBB46_644
; %bb.617:
	v_cmp_lt_i16_e32 vcc_lo, 25, v2
	s_mov_b32 s11, -1
	s_mov_b32 s9, 0
	s_mov_b32 s10, 0
	s_mov_b32 s0, 0
	s_cbranch_vccz .LBB46_740
; %bb.618:
	v_cmp_lt_i16_e32 vcc_lo, 28, v2
	s_cbranch_vccz .LBB46_633
; %bb.619:
	v_cmp_lt_i16_e32 vcc_lo, 43, v2
	;; [unrolled: 3-line block ×3, first 2 shown]
	s_cbranch_vccz .LBB46_623
; %bb.621:
	v_cmp_eq_u16_e32 vcc_lo, 46, v2
	s_mov_b32 s0, -1
	s_mov_b32 s11, 0
	s_cbranch_vccz .LBB46_623
; %bb.622:
	v_cvt_f32_f64_e32 v4, s[2:3]
	s_mov_b32 s0, 0
	s_mov_b32 s10, -1
	s_delay_alu instid0(VALU_DEP_1) | instskip(SKIP_1) | instid1(VALU_DEP_2)
	v_bfe_u32 v5, v4, 16, 1
	v_cmp_o_f32_e32 vcc_lo, v4, v4
	v_add_nc_u32_e32 v5, v4, v5
	s_delay_alu instid0(VALU_DEP_1) | instskip(NEXT) | instid1(VALU_DEP_1)
	v_add_nc_u32_e32 v5, 0x7fff, v5
	v_lshrrev_b32_e32 v5, 16, v5
	s_delay_alu instid0(VALU_DEP_1)
	v_cndmask_b32_e32 v4, 0x7fc0, v5, vcc_lo
	global_store_b32 v[0:1], v4, off
.LBB46_623:
	s_and_b32 vcc_lo, exec_lo, s11
	s_cbranch_vccz .LBB46_628
; %bb.624:
	v_cmp_eq_u16_e32 vcc_lo, 44, v2
	s_mov_b32 s0, -1
	s_cbranch_vccz .LBB46_628
; %bb.625:
	v_cvt_f32_f64_e32 v4, s[2:3]
	v_mov_b32_e32 v5, 0xff
	s_delay_alu instid0(VALU_DEP_2) | instskip(NEXT) | instid1(VALU_DEP_1)
	v_readfirstlane_b32 s0, v4
	s_bfe_u32 s10, s0, 0x80017
	s_delay_alu instid0(SALU_CYCLE_1)
	s_cmpk_eq_i32 s10, 0xff
	s_cbranch_scc1 .LBB46_627
; %bb.626:
	s_bitcmp1_b32 s0, 22
	v_lshrrev_b32_e32 v4, 23, v4
	s_cselect_b32 s11, -1, 0
	s_and_b32 s0, s0, 0x3fffff
	s_delay_alu instid0(SALU_CYCLE_1) | instskip(NEXT) | instid1(SALU_CYCLE_1)
	s_or_b32 s0, s10, s0
	s_cmp_lg_u32 s0, 0
	s_cselect_b32 s0, -1, 0
	s_delay_alu instid0(SALU_CYCLE_1) | instskip(NEXT) | instid1(SALU_CYCLE_1)
	s_and_b32 s0, s11, s0
	v_cndmask_b32_e64 v5, 0, 1, s0
	s_delay_alu instid0(VALU_DEP_1)
	v_add_nc_u32_e32 v5, v4, v5
.LBB46_627:
	s_mov_b32 s0, 0
	s_mov_b32 s10, -1
	global_store_b8 v[0:1], v5, off
.LBB46_628:
	s_mov_b32 s11, 0
.LBB46_629:
	s_delay_alu instid0(SALU_CYCLE_1)
	s_and_b32 vcc_lo, exec_lo, s11
	s_cbranch_vccz .LBB46_632
; %bb.630:
	v_cmp_eq_u16_e32 vcc_lo, 29, v2
	s_mov_b32 s0, -1
	s_cbranch_vccz .LBB46_632
; %bb.631:
	v_trunc_f64_e32 v[4:5], s[2:3]
	s_mov_b32 s0, 0
	s_mov_b32 s10, -1
	s_delay_alu instid0(VALU_DEP_1) | instskip(NEXT) | instid1(VALU_DEP_1)
	v_ldexp_f64 v[6:7], v[4:5], 0xffffffe0
	v_floor_f64_e32 v[6:7], v[6:7]
	s_delay_alu instid0(VALU_DEP_1) | instskip(SKIP_1) | instid1(VALU_DEP_2)
	v_fma_f64 v[4:5], 0xc1f00000, v[6:7], v[4:5]
	v_cvt_u32_f64_e32 v6, v[6:7]
	v_cvt_u32_f64_e32 v5, v[4:5]
	global_store_b64 v[0:1], v[5:6], off
.LBB46_632:
	s_mov_b32 s11, 0
.LBB46_633:
	s_delay_alu instid0(SALU_CYCLE_1)
	s_and_b32 vcc_lo, exec_lo, s11
	s_cbranch_vccz .LBB46_739
; %bb.634:
	v_cmp_gt_i16_e32 vcc_lo, 27, v2
	s_mov_b32 s10, -1
	s_cbranch_vccnz .LBB46_640
; %bb.635:
	v_cmp_lt_i16_e32 vcc_lo, 27, v2
	s_cbranch_vccz .LBB46_637
; %bb.636:
	v_cvt_u32_f64_e32 v4, s[2:3]
	s_mov_b32 s10, 0
	global_store_b32 v[0:1], v4, off
.LBB46_637:
	s_and_not1_b32 vcc_lo, exec_lo, s10
	s_cbranch_vccnz .LBB46_639
; %bb.638:
	v_cvt_u32_f64_e32 v4, s[2:3]
	global_store_b16 v[0:1], v4, off
.LBB46_639:
	s_mov_b32 s10, 0
.LBB46_640:
	s_delay_alu instid0(SALU_CYCLE_1)
	s_and_not1_b32 vcc_lo, exec_lo, s10
	s_cbranch_vccnz .LBB46_738
; %bb.641:
	v_cvt_f32_f64_e32 v4, s[2:3]
	v_mov_b32_e32 v5, 0x80
	s_delay_alu instid0(VALU_DEP_2) | instskip(NEXT) | instid1(VALU_DEP_1)
	v_readfirstlane_b32 s10, v4
	s_and_b32 s11, s10, 0x7fffffff
	s_delay_alu instid0(SALU_CYCLE_1)
	s_cmp_gt_u32 s11, 0x437fffff
	s_cbranch_scc1 .LBB46_737
; %bb.642:
	s_cmp_gt_u32 s11, 0x3bffffff
	s_cbranch_scc0 .LBB46_732
; %bb.643:
	s_bfe_u32 s11, s10, 0x10014
	s_mov_b32 s12, 0
	s_add_i32 s11, s10, s11
	s_delay_alu instid0(SALU_CYCLE_1) | instskip(NEXT) | instid1(SALU_CYCLE_1)
	s_add_i32 s11, s11, 0x487ffff
	s_lshr_b32 s13, s11, 20
	s_mov_b32 s11, -1
	s_branch .LBB46_733
.LBB46_644:
	s_mov_b32 s10, 0
	s_cbranch_execz .LBB46_838
; %bb.645:
	v_cmp_gt_i16_e32 vcc_lo, 5, v2
	s_mov_b32 s0, -1
	s_cbranch_vccnz .LBB46_666
; %bb.646:
	v_cmp_gt_i16_e32 vcc_lo, 8, v2
	s_cbranch_vccnz .LBB46_656
; %bb.647:
	v_cmp_gt_i16_e32 vcc_lo, 9, v2
	s_cbranch_vccnz .LBB46_653
; %bb.648:
	v_cmp_lt_i16_e32 vcc_lo, 9, v2
	s_cbranch_vccz .LBB46_650
; %bb.649:
	v_dual_mov_b32 v6, 0 :: v_dual_mov_b32 v5, s3
	v_mov_b32_e32 v4, s2
	s_mov_b32 s0, 0
	s_delay_alu instid0(VALU_DEP_2)
	v_mov_b32_e32 v7, v6
	global_store_b128 v[0:1], v[4:7], off
.LBB46_650:
	s_and_not1_b32 vcc_lo, exec_lo, s0
	s_cbranch_vccnz .LBB46_652
; %bb.651:
	v_cvt_f32_f64_e32 v4, s[2:3]
	v_mov_b32_e32 v5, 0
	global_store_b64 v[0:1], v[4:5], off
.LBB46_652:
	s_mov_b32 s0, 0
.LBB46_653:
	s_delay_alu instid0(SALU_CYCLE_1)
	s_and_not1_b32 vcc_lo, exec_lo, s0
	s_cbranch_vccnz .LBB46_655
; %bb.654:
	v_cvt_f32_f64_e32 v4, s[2:3]
	s_delay_alu instid0(VALU_DEP_1) | instskip(NEXT) | instid1(VALU_DEP_1)
	v_cvt_f16_f32_e32 v4, v4
	v_and_b32_e32 v4, 0xffff, v4
	global_store_b32 v[0:1], v4, off
.LBB46_655:
	s_mov_b32 s0, 0
.LBB46_656:
	s_delay_alu instid0(SALU_CYCLE_1)
	s_and_not1_b32 vcc_lo, exec_lo, s0
	s_cbranch_vccnz .LBB46_665
; %bb.657:
	v_cmp_gt_i16_e32 vcc_lo, 6, v2
	s_mov_b32 s0, -1
	s_cbranch_vccnz .LBB46_663
; %bb.658:
	v_cmp_lt_i16_e32 vcc_lo, 6, v2
	s_cbranch_vccz .LBB46_660
; %bb.659:
	v_dual_mov_b32 v5, s3 :: v_dual_mov_b32 v4, s2
	s_mov_b32 s0, 0
	global_store_b64 v[0:1], v[4:5], off
.LBB46_660:
	s_and_not1_b32 vcc_lo, exec_lo, s0
	s_cbranch_vccnz .LBB46_662
; %bb.661:
	v_cvt_f32_f64_e32 v4, s[2:3]
	global_store_b32 v[0:1], v4, off
.LBB46_662:
	s_mov_b32 s0, 0
.LBB46_663:
	s_delay_alu instid0(SALU_CYCLE_1)
	s_and_not1_b32 vcc_lo, exec_lo, s0
	s_cbranch_vccnz .LBB46_665
; %bb.664:
	v_cvt_f32_f64_e32 v4, s[2:3]
	s_delay_alu instid0(VALU_DEP_1)
	v_cvt_f16_f32_e32 v4, v4
	global_store_b16 v[0:1], v4, off
.LBB46_665:
	s_mov_b32 s0, 0
.LBB46_666:
	s_delay_alu instid0(SALU_CYCLE_1)
	s_and_not1_b32 vcc_lo, exec_lo, s0
	s_cbranch_vccnz .LBB46_682
; %bb.667:
	v_cmp_gt_i16_e32 vcc_lo, 2, v2
	s_mov_b32 s0, -1
	s_cbranch_vccnz .LBB46_677
; %bb.668:
	v_cmp_gt_i16_e32 vcc_lo, 3, v2
	s_cbranch_vccnz .LBB46_674
; %bb.669:
	v_cmp_lt_i16_e32 vcc_lo, 3, v2
	s_cbranch_vccz .LBB46_671
; %bb.670:
	v_trunc_f64_e32 v[4:5], s[2:3]
	s_mov_b32 s0, 0
	s_delay_alu instid0(VALU_DEP_1) | instskip(NEXT) | instid1(VALU_DEP_1)
	v_ldexp_f64 v[6:7], v[4:5], 0xffffffe0
	v_floor_f64_e32 v[6:7], v[6:7]
	s_delay_alu instid0(VALU_DEP_1) | instskip(SKIP_1) | instid1(VALU_DEP_2)
	v_fma_f64 v[4:5], 0xc1f00000, v[6:7], v[4:5]
	v_cvt_i32_f64_e32 v6, v[6:7]
	v_cvt_u32_f64_e32 v5, v[4:5]
	global_store_b64 v[0:1], v[5:6], off
.LBB46_671:
	s_and_not1_b32 vcc_lo, exec_lo, s0
	s_cbranch_vccnz .LBB46_673
; %bb.672:
	v_cvt_i32_f64_e32 v4, s[2:3]
	global_store_b32 v[0:1], v4, off
.LBB46_673:
	s_mov_b32 s0, 0
.LBB46_674:
	s_delay_alu instid0(SALU_CYCLE_1)
	s_and_not1_b32 vcc_lo, exec_lo, s0
	s_cbranch_vccnz .LBB46_676
; %bb.675:
	v_cvt_i32_f64_e32 v4, s[2:3]
	global_store_b16 v[0:1], v4, off
.LBB46_676:
	s_mov_b32 s0, 0
.LBB46_677:
	s_delay_alu instid0(SALU_CYCLE_1)
	s_and_not1_b32 vcc_lo, exec_lo, s0
	s_cbranch_vccnz .LBB46_682
; %bb.678:
	v_cmp_lt_i16_e32 vcc_lo, 0, v2
	s_mov_b32 s0, -1
	s_cbranch_vccz .LBB46_680
; %bb.679:
	v_cvt_i32_f64_e32 v4, s[2:3]
	s_mov_b32 s0, 0
	global_store_b8 v[0:1], v4, off
.LBB46_680:
	s_and_not1_b32 vcc_lo, exec_lo, s0
	s_cbranch_vccnz .LBB46_682
; %bb.681:
	v_trunc_f64_e32 v[4:5], s[2:3]
	s_delay_alu instid0(VALU_DEP_1) | instskip(NEXT) | instid1(VALU_DEP_1)
	v_ldexp_f64 v[6:7], v[4:5], 0xffffffe0
	v_floor_f64_e32 v[6:7], v[6:7]
	s_delay_alu instid0(VALU_DEP_1) | instskip(NEXT) | instid1(VALU_DEP_1)
	v_fma_f64 v[4:5], 0xc1f00000, v[6:7], v[4:5]
	v_cvt_u32_f64_e32 v4, v[4:5]
	global_store_b8 v[0:1], v4, off
.LBB46_682:
	s_branch .LBB46_839
.LBB46_683:
	s_mov_b32 s0, 0
	s_mov_b32 s4, 0
                                        ; implicit-def: $vgpr2
                                        ; implicit-def: $vgpr0_vgpr1
.LBB46_684:
	s_and_not1_b32 s1, s1, exec_lo
	s_and_b32 s5, s8, exec_lo
	s_and_b32 s0, s0, exec_lo
	;; [unrolled: 1-line block ×3, first 2 shown]
	s_or_b32 s1, s1, s5
.LBB46_685:
	s_or_b32 exec_lo, exec_lo, s7
	s_and_saveexec_b32 s4, s1
	s_cbranch_execz .LBB46_688
; %bb.686:
	; divergent unreachable
	s_or_b32 exec_lo, exec_lo, s4
	s_and_saveexec_b32 s1, s8
	s_delay_alu instid0(SALU_CYCLE_1)
	s_xor_b32 s1, exec_lo, s1
	s_cbranch_execnz .LBB46_689
.LBB46_687:
	s_or_b32 exec_lo, exec_lo, s1
	s_and_saveexec_b32 s1, s0
	s_cbranch_execnz .LBB46_690
	s_branch .LBB46_727
.LBB46_688:
	s_or_b32 exec_lo, exec_lo, s4
	s_and_saveexec_b32 s1, s8
	s_delay_alu instid0(SALU_CYCLE_1)
	s_xor_b32 s1, exec_lo, s1
	s_cbranch_execz .LBB46_687
.LBB46_689:
	v_cmp_neq_f64_e64 s4, s[2:3], 0
	s_delay_alu instid0(VALU_DEP_1)
	v_cndmask_b32_e64 v3, 0, 1, s4
	global_store_b8 v[0:1], v3, off
	s_or_b32 exec_lo, exec_lo, s1
	s_and_saveexec_b32 s1, s0
	s_cbranch_execz .LBB46_727
.LBB46_690:
	v_cmp_gt_i16_e32 vcc_lo, 5, v2
	s_mov_b32 s0, -1
	s_cbranch_vccnz .LBB46_711
; %bb.691:
	v_cmp_gt_i16_e32 vcc_lo, 8, v2
	s_cbranch_vccnz .LBB46_701
; %bb.692:
	v_cmp_gt_i16_e32 vcc_lo, 9, v2
	s_cbranch_vccnz .LBB46_698
; %bb.693:
	v_cmp_lt_i16_e32 vcc_lo, 9, v2
	s_cbranch_vccz .LBB46_695
; %bb.694:
	v_dual_mov_b32 v5, 0 :: v_dual_mov_b32 v4, s3
	v_mov_b32_e32 v3, s2
	s_mov_b32 s0, 0
	s_delay_alu instid0(VALU_DEP_2)
	v_mov_b32_e32 v6, v5
	global_store_b128 v[0:1], v[3:6], off
.LBB46_695:
	s_and_not1_b32 vcc_lo, exec_lo, s0
	s_cbranch_vccnz .LBB46_697
; %bb.696:
	v_cvt_f32_f64_e32 v3, s[2:3]
	v_mov_b32_e32 v4, 0
	global_store_b64 v[0:1], v[3:4], off
.LBB46_697:
	s_mov_b32 s0, 0
.LBB46_698:
	s_delay_alu instid0(SALU_CYCLE_1)
	s_and_not1_b32 vcc_lo, exec_lo, s0
	s_cbranch_vccnz .LBB46_700
; %bb.699:
	v_cvt_f32_f64_e32 v3, s[2:3]
	s_delay_alu instid0(VALU_DEP_1) | instskip(NEXT) | instid1(VALU_DEP_1)
	v_cvt_f16_f32_e32 v3, v3
	v_and_b32_e32 v3, 0xffff, v3
	global_store_b32 v[0:1], v3, off
.LBB46_700:
	s_mov_b32 s0, 0
.LBB46_701:
	s_delay_alu instid0(SALU_CYCLE_1)
	s_and_not1_b32 vcc_lo, exec_lo, s0
	s_cbranch_vccnz .LBB46_710
; %bb.702:
	v_cmp_gt_i16_e32 vcc_lo, 6, v2
	s_mov_b32 s0, -1
	s_cbranch_vccnz .LBB46_708
; %bb.703:
	v_cmp_lt_i16_e32 vcc_lo, 6, v2
	s_cbranch_vccz .LBB46_705
; %bb.704:
	v_dual_mov_b32 v4, s3 :: v_dual_mov_b32 v3, s2
	s_mov_b32 s0, 0
	global_store_b64 v[0:1], v[3:4], off
.LBB46_705:
	s_and_not1_b32 vcc_lo, exec_lo, s0
	s_cbranch_vccnz .LBB46_707
; %bb.706:
	v_cvt_f32_f64_e32 v3, s[2:3]
	global_store_b32 v[0:1], v3, off
.LBB46_707:
	s_mov_b32 s0, 0
.LBB46_708:
	s_delay_alu instid0(SALU_CYCLE_1)
	s_and_not1_b32 vcc_lo, exec_lo, s0
	s_cbranch_vccnz .LBB46_710
; %bb.709:
	v_cvt_f32_f64_e32 v3, s[2:3]
	s_delay_alu instid0(VALU_DEP_1)
	v_cvt_f16_f32_e32 v3, v3
	global_store_b16 v[0:1], v3, off
.LBB46_710:
	s_mov_b32 s0, 0
.LBB46_711:
	s_delay_alu instid0(SALU_CYCLE_1)
	s_and_not1_b32 vcc_lo, exec_lo, s0
	s_cbranch_vccnz .LBB46_727
; %bb.712:
	v_cmp_gt_i16_e32 vcc_lo, 2, v2
	s_mov_b32 s0, -1
	s_cbranch_vccnz .LBB46_722
; %bb.713:
	v_cmp_gt_i16_e32 vcc_lo, 3, v2
	s_cbranch_vccnz .LBB46_719
; %bb.714:
	v_cmp_lt_i16_e32 vcc_lo, 3, v2
	s_cbranch_vccz .LBB46_716
; %bb.715:
	v_trunc_f64_e32 v[3:4], s[2:3]
	s_mov_b32 s0, 0
	s_delay_alu instid0(VALU_DEP_1) | instskip(NEXT) | instid1(VALU_DEP_1)
	v_ldexp_f64 v[5:6], v[3:4], 0xffffffe0
	v_floor_f64_e32 v[5:6], v[5:6]
	s_delay_alu instid0(VALU_DEP_1) | instskip(SKIP_1) | instid1(VALU_DEP_2)
	v_fma_f64 v[3:4], 0xc1f00000, v[5:6], v[3:4]
	v_cvt_i32_f64_e32 v5, v[5:6]
	v_cvt_u32_f64_e32 v4, v[3:4]
	global_store_b64 v[0:1], v[4:5], off
.LBB46_716:
	s_and_not1_b32 vcc_lo, exec_lo, s0
	s_cbranch_vccnz .LBB46_718
; %bb.717:
	v_cvt_i32_f64_e32 v3, s[2:3]
	global_store_b32 v[0:1], v3, off
.LBB46_718:
	s_mov_b32 s0, 0
.LBB46_719:
	s_delay_alu instid0(SALU_CYCLE_1)
	s_and_not1_b32 vcc_lo, exec_lo, s0
	s_cbranch_vccnz .LBB46_721
; %bb.720:
	v_cvt_i32_f64_e32 v3, s[2:3]
	global_store_b16 v[0:1], v3, off
.LBB46_721:
	s_mov_b32 s0, 0
.LBB46_722:
	s_delay_alu instid0(SALU_CYCLE_1)
	s_and_not1_b32 vcc_lo, exec_lo, s0
	s_cbranch_vccnz .LBB46_727
; %bb.723:
	v_cmp_lt_i16_e32 vcc_lo, 0, v2
	s_mov_b32 s0, -1
	s_cbranch_vccz .LBB46_725
; %bb.724:
	v_cvt_i32_f64_e32 v2, s[2:3]
	s_mov_b32 s0, 0
	global_store_b8 v[0:1], v2, off
.LBB46_725:
	s_and_not1_b32 vcc_lo, exec_lo, s0
	s_cbranch_vccnz .LBB46_727
; %bb.726:
	v_trunc_f64_e32 v[2:3], s[2:3]
	s_delay_alu instid0(VALU_DEP_1) | instskip(NEXT) | instid1(VALU_DEP_1)
	v_ldexp_f64 v[4:5], v[2:3], 0xffffffe0
	v_floor_f64_e32 v[4:5], v[4:5]
	s_delay_alu instid0(VALU_DEP_1) | instskip(NEXT) | instid1(VALU_DEP_1)
	v_fma_f64 v[2:3], 0xc1f00000, v[4:5], v[2:3]
	v_cvt_u32_f64_e32 v2, v[2:3]
	global_store_b8 v[0:1], v2, off
	s_nop 0
	s_sendmsg sendmsg(MSG_DEALLOC_VGPRS)
	s_endpgm
.LBB46_727:
	s_nop 0
	s_sendmsg sendmsg(MSG_DEALLOC_VGPRS)
	s_endpgm
.LBB46_728:
	s_cbranch_execnz .LBB46_730
; %bb.729:
	s_or_b32 s8, s8, exec_lo
	s_cbranch_execz .LBB46_613
	s_branch .LBB46_614
.LBB46_730:
	s_trap 2
	s_sendmsg_rtn_b32 s0, sendmsg(MSG_RTN_GET_DOORBELL)
	s_mov_b32 ttmp2, m0
	s_waitcnt lgkmcnt(0)
	s_and_b32 s0, s0, 0x3ff
	s_delay_alu instid0(SALU_CYCLE_1) | instskip(NEXT) | instid1(SALU_CYCLE_1)
	s_bitset1_b32 s0, 10
	s_mov_b32 m0, s0
	s_sendmsg sendmsg(MSG_INTERRUPT)
	s_mov_b32 m0, ttmp2
.LBB46_731:                             ; =>This Inner Loop Header: Depth=1
	s_sethalt 5
	s_branch .LBB46_731
.LBB46_732:
	s_mov_b32 s12, -1
	s_mov_b32 s11, 0
                                        ; implicit-def: $sgpr13
.LBB46_733:
	v_mov_b32_e32 v4, s13
	s_and_not1_b32 vcc_lo, exec_lo, s12
                                        ; implicit-def: $sgpr12
	s_cbranch_vccnz .LBB46_735
; %bb.734:
	v_add_f32_e64 v4, 0x46000000, |s10|
	s_mov_b32 s12, 0
	s_delay_alu instid0(VALU_DEP_1) | instskip(NEXT) | instid1(VALU_DEP_1)
	v_and_b32_e32 v4, 0xff, v4
	v_cmp_ne_u32_e64 s11, 0, v4
.LBB46_735:
	v_mov_b32_e32 v5, s12
	s_delay_alu instid0(VALU_DEP_2)
	s_and_not1_b32 vcc_lo, exec_lo, s11
	s_cbranch_vccnz .LBB46_737
; %bb.736:
	s_lshr_b32 s10, s10, 24
	s_delay_alu instid0(SALU_CYCLE_1) | instskip(NEXT) | instid1(SALU_CYCLE_1)
	s_and_b32 s10, s10, 0x80
	v_or_b32_e32 v5, s10, v4
.LBB46_737:
	global_store_b8 v[0:1], v5, off
.LBB46_738:
	s_mov_b32 s10, -1
.LBB46_739:
	s_mov_b32 s11, 0
.LBB46_740:
	s_delay_alu instid0(SALU_CYCLE_1)
	s_and_b32 vcc_lo, exec_lo, s11
	s_cbranch_vccz .LBB46_834
; %bb.741:
	v_cmp_lt_i16_e32 vcc_lo, 22, v2
	s_mov_b32 s9, -1
	s_cbranch_vccz .LBB46_827
; %bb.742:
	v_cmp_gt_i16_e32 vcc_lo, 24, v2
	s_cbranch_vccnz .LBB46_814
; %bb.743:
	v_cmp_lt_i16_e32 vcc_lo, 24, v2
	s_cbranch_vccz .LBB46_801
; %bb.744:
	v_cvt_f32_f64_e32 v4, s[2:3]
	v_mov_b32_e32 v5, 0x80
	s_delay_alu instid0(VALU_DEP_2) | instskip(NEXT) | instid1(VALU_DEP_1)
	v_readfirstlane_b32 s9, v4
	s_and_b32 s10, s9, 0x7fffffff
	s_delay_alu instid0(SALU_CYCLE_1)
	s_cmp_gt_u32 s10, 0x477fffff
	s_cbranch_scc1 .LBB46_800
; %bb.745:
	s_cmp_gt_u32 s10, 0x37ffffff
	s_cbranch_scc0 .LBB46_795
; %bb.746:
	s_bfe_u32 s10, s9, 0x10015
	s_mov_b32 s11, 0
	s_add_i32 s10, s9, s10
	s_delay_alu instid0(SALU_CYCLE_1) | instskip(NEXT) | instid1(SALU_CYCLE_1)
	s_add_i32 s10, s10, 0x88fffff
	s_lshr_b32 s12, s10, 21
	s_mov_b32 s10, -1
	s_branch .LBB46_796
.LBB46_747:
	s_mov_b32 s36, 0
.LBB46_748:
	s_delay_alu instid0(SALU_CYCLE_1)
	s_and_b32 vcc_lo, exec_lo, s36
	s_cbranch_vccz .LBB46_751
; %bb.749:
	v_cmp_eq_u16_e32 vcc_lo, 29, v19
	s_mov_b32 s1, -1
	s_cbranch_vccz .LBB46_751
; %bb.750:
	s_mov_b32 s1, 0
	global_store_b64 v[6:7], v[0:1], off
.LBB46_751:
	s_mov_b32 s36, 0
.LBB46_752:
	s_delay_alu instid0(SALU_CYCLE_1)
	s_and_b32 vcc_lo, exec_lo, s36
	s_cbranch_vccz .LBB46_764
; %bb.753:
	v_cmp_gt_i16_e32 vcc_lo, 27, v19
	s_mov_b32 s0, -1
	s_cbranch_vccnz .LBB46_759
; %bb.754:
	v_cmp_lt_i16_e32 vcc_lo, 27, v19
	s_cbranch_vccz .LBB46_756
; %bb.755:
	s_mov_b32 s0, 0
	global_store_b32 v[6:7], v15, off
.LBB46_756:
	s_and_not1_b32 vcc_lo, exec_lo, s0
	s_cbranch_vccnz .LBB46_758
; %bb.757:
	global_store_b16 v[6:7], v15, off
.LBB46_758:
	s_mov_b32 s0, 0
.LBB46_759:
	s_delay_alu instid0(SALU_CYCLE_1)
	s_and_not1_b32 vcc_lo, exec_lo, s0
	s_cbranch_vccnz .LBB46_764
; %bb.760:
	v_mov_b32_e32 v1, 0x80
	s_and_not1_b32 vcc_lo, exec_lo, s26
	s_cbranch_vccnz .LBB46_763
; %bb.761:
	v_mov_b32_e32 v1, 0
	s_or_b32 s0, s24, s27
	s_delay_alu instid0(SALU_CYCLE_1)
	s_and_not1_b32 vcc_lo, exec_lo, s0
	s_cbranch_vccnz .LBB46_763
; %bb.762:
	v_cndmask_b32_e64 v1, v16, s25, s24
	s_delay_alu instid0(VALU_DEP_1)
	v_or_b32_e32 v1, v1, v12
.LBB46_763:
	global_store_b8 v[6:7], v1, off
.LBB46_764:
	s_mov_b32 s36, 0
.LBB46_765:
	s_delay_alu instid0(SALU_CYCLE_1)
	s_and_b32 vcc_lo, exec_lo, s36
	s_mov_b32 s0, 0
	s_cbranch_vccz .LBB46_786
; %bb.766:
	v_cmp_lt_i16_e32 vcc_lo, 22, v19
	s_mov_b32 s24, -1
	s_cbranch_vccz .LBB46_779
; %bb.767:
	v_cmp_gt_i16_e32 vcc_lo, 24, v19
	s_cbranch_vccnz .LBB46_776
; %bb.768:
	v_cmp_lt_i16_e32 vcc_lo, 24, v19
	s_cbranch_vccz .LBB46_773
; %bb.769:
	v_mov_b32_e32 v1, 0x80
	s_and_not1_b32 vcc_lo, exec_lo, s22
	s_cbranch_vccnz .LBB46_772
; %bb.770:
	v_mov_b32_e32 v1, 0
	s_or_b32 s22, s18, s23
	s_delay_alu instid0(SALU_CYCLE_1)
	s_and_not1_b32 vcc_lo, exec_lo, s22
	s_cbranch_vccnz .LBB46_772
; %bb.771:
	v_cndmask_b32_e64 v1, v14, s20, s18
	s_delay_alu instid0(VALU_DEP_1)
	v_or_b32_e32 v1, v1, v12
.LBB46_772:
	s_mov_b32 s24, 0
	global_store_b8 v[6:7], v1, off
.LBB46_773:
	s_and_b32 vcc_lo, exec_lo, s24
	s_cbranch_vccz .LBB46_775
; %bb.774:
	s_and_b32 s17, s17, exec_lo
	s_cselect_b32 s12, s12, s19
	s_and_b32 s15, s15, exec_lo
	s_cselect_b32 s12, s21, s12
	s_delay_alu instid0(SALU_CYCLE_1)
	v_or_b32_e32 v1, s12, v12
	global_store_b8 v[6:7], v1, off
.LBB46_775:
	s_mov_b32 s24, 0
.LBB46_776:
	s_delay_alu instid0(SALU_CYCLE_1)
	s_and_not1_b32 vcc_lo, exec_lo, s24
	s_cbranch_vccnz .LBB46_778
; %bb.777:
	s_and_b32 s12, s13, exec_lo
	s_cselect_b32 s11, s11, s14
	s_and_b32 s10, s10, exec_lo
	s_cselect_b32 s10, s16, s11
	s_delay_alu instid0(SALU_CYCLE_1)
	v_or_b32_e32 v1, s10, v12
	global_store_b8 v[6:7], v1, off
.LBB46_778:
	s_mov_b32 s24, 0
.LBB46_779:
	s_delay_alu instid0(SALU_CYCLE_1)
	s_and_not1_b32 vcc_lo, exec_lo, s24
	s_mov_b32 s10, 0
	s_cbranch_vccnz .LBB46_787
; %bb.780:
	v_cmp_lt_i16_e32 vcc_lo, 14, v19
	s_mov_b32 s10, -1
	s_cbranch_vccz .LBB46_784
; %bb.781:
	v_cmp_eq_u16_e32 vcc_lo, 15, v19
	s_mov_b32 s1, -1
	s_cbranch_vccz .LBB46_783
; %bb.782:
	s_mov_b32 s1, 0
	global_store_b16 v[6:7], v13, off
.LBB46_783:
	s_mov_b32 s10, 0
.LBB46_784:
	s_delay_alu instid0(SALU_CYCLE_1)
	s_and_b32 vcc_lo, exec_lo, s10
	s_mov_b32 s10, 0
	s_cbranch_vccz .LBB46_787
; %bb.785:
	v_cmp_ne_u16_e32 vcc_lo, 11, v19
	s_and_not1_b32 s1, s1, exec_lo
	s_mov_b32 s10, -1
	s_and_b32 s11, vcc_lo, exec_lo
	s_delay_alu instid0(SALU_CYCLE_1)
	s_or_b32 s1, s1, s11
	s_branch .LBB46_787
.LBB46_786:
	s_mov_b32 s10, 0
.LBB46_787:
	s_and_b32 s36, s0, exec_lo
	s_and_not1_b32 s0, s35, exec_lo
	s_and_b32 s11, s1, exec_lo
	s_and_b32 s1, s10, exec_lo
	s_or_b32 s37, s0, s11
.LBB46_788:
	s_or_b32 exec_lo, exec_lo, s28
	s_delay_alu instid0(SALU_CYCLE_1)
	s_and_not1_b32 s0, s35, exec_lo
	s_and_b32 s10, s37, exec_lo
	s_and_b32 s36, s36, exec_lo
	s_and_b32 s1, s1, exec_lo
	s_or_b32 s35, s0, s10
.LBB46_789:
	s_or_b32 exec_lo, exec_lo, s34
	s_delay_alu instid0(SALU_CYCLE_1)
	s_and_not1_b32 s0, s31, exec_lo
	s_and_b32 s10, s35, exec_lo
	s_and_b32 s36, s36, exec_lo
	s_and_b32 s34, s1, exec_lo
	s_or_b32 s31, s0, s10
.LBB46_790:
	s_or_b32 exec_lo, exec_lo, s33
	s_delay_alu instid0(SALU_CYCLE_1)
	s_and_not1_b32 s0, s29, exec_lo
	s_and_b32 s10, s31, exec_lo
	s_and_b32 s1, s36, exec_lo
	;; [unrolled: 1-line block ×3, first 2 shown]
	s_or_b32 s29, s0, s10
	s_or_b32 exec_lo, exec_lo, s30
	s_mov_b32 s0, 0
	s_and_saveexec_b32 s10, s29
	s_cbranch_execz .LBB46_110
.LBB46_791:
	s_cbranch_execnz .LBB46_793
; %bb.792:
	s_mov_b32 s0, exec_lo
	s_and_not1_b32 s31, s31, exec_lo
	s_or_b32 exec_lo, exec_lo, s10
	s_and_saveexec_b32 s10, s31
	s_delay_alu instid0(SALU_CYCLE_1)
	s_xor_b32 s10, exec_lo, s10
	s_cbranch_execnz .LBB46_111
	s_branch .LBB46_112
.LBB46_793:
	s_trap 2
	s_sendmsg_rtn_b32 s0, sendmsg(MSG_RTN_GET_DOORBELL)
	s_mov_b32 ttmp2, m0
	s_waitcnt lgkmcnt(0)
	s_and_b32 s0, s0, 0x3ff
	s_delay_alu instid0(SALU_CYCLE_1) | instskip(NEXT) | instid1(SALU_CYCLE_1)
	s_bitset1_b32 s0, 10
	s_mov_b32 m0, s0
	s_sendmsg sendmsg(MSG_INTERRUPT)
	s_mov_b32 m0, ttmp2
.LBB46_794:                             ; =>This Inner Loop Header: Depth=1
	s_sethalt 5
	s_branch .LBB46_794
.LBB46_795:
	s_mov_b32 s11, -1
	s_mov_b32 s10, 0
                                        ; implicit-def: $sgpr12
.LBB46_796:
	v_mov_b32_e32 v4, s12
	s_and_not1_b32 vcc_lo, exec_lo, s11
                                        ; implicit-def: $sgpr11
	s_cbranch_vccnz .LBB46_798
; %bb.797:
	v_add_f32_e64 v4, 0x42800000, |s9|
	s_mov_b32 s11, 0
	s_delay_alu instid0(VALU_DEP_1) | instskip(NEXT) | instid1(VALU_DEP_1)
	v_and_b32_e32 v4, 0xff, v4
	v_cmp_ne_u32_e64 s10, 0, v4
.LBB46_798:
	v_mov_b32_e32 v5, s11
	s_delay_alu instid0(VALU_DEP_2)
	s_and_not1_b32 vcc_lo, exec_lo, s10
	s_cbranch_vccnz .LBB46_800
; %bb.799:
	s_lshr_b32 s9, s9, 24
	s_delay_alu instid0(SALU_CYCLE_1) | instskip(NEXT) | instid1(SALU_CYCLE_1)
	s_and_b32 s9, s9, 0x80
	v_or_b32_e32 v5, s9, v4
.LBB46_800:
	s_mov_b32 s9, 0
	global_store_b8 v[0:1], v5, off
.LBB46_801:
	s_and_b32 vcc_lo, exec_lo, s9
	s_cbranch_vccz .LBB46_813
; %bb.802:
	v_cvt_f32_f64_e32 v4, s[2:3]
	s_delay_alu instid0(VALU_DEP_1) | instskip(NEXT) | instid1(VALU_DEP_1)
	v_readfirstlane_b32 s9, v4
	s_and_b32 s10, s9, 0x7fffffff
	s_delay_alu instid0(SALU_CYCLE_1)
	s_cmp_lt_u32 s10, 0x43f00000
	s_cbranch_scc0 .LBB46_805
; %bb.803:
	s_cmp_gt_u32 s10, 0x3c7fffff
	s_cbranch_scc0 .LBB46_806
; %bb.804:
	s_bfe_u32 s11, s9, 0x10014
	s_delay_alu instid0(SALU_CYCLE_1) | instskip(NEXT) | instid1(SALU_CYCLE_1)
	s_add_i32 s11, s9, s11
	s_add_i32 s11, s11, 0x407ffff
	s_delay_alu instid0(SALU_CYCLE_1)
	s_and_b32 s12, s11, 0xff00000
	s_lshr_b32 s11, s11, 20
	s_cmp_lg_u32 s12, 0x7f00000
	s_cselect_b32 s12, s11, 0x7e
	s_mov_b32 s11, 0
	s_branch .LBB46_807
.LBB46_805:
	s_mov_b32 s11, -1
                                        ; implicit-def: $vgpr5
	s_branch .LBB46_810
.LBB46_806:
	s_mov_b32 s11, -1
                                        ; implicit-def: $sgpr12
.LBB46_807:
	v_mov_b32_e32 v5, s12
	s_and_not1_b32 vcc_lo, exec_lo, s11
	s_cbranch_vccnz .LBB46_809
; %bb.808:
	v_add_f32_e64 v5, 0x46800000, |v4|
.LBB46_809:
	s_mov_b32 s11, 0
.LBB46_810:
	s_delay_alu instid0(SALU_CYCLE_1)
	s_and_not1_b32 vcc_lo, exec_lo, s11
	s_cbranch_vccnz .LBB46_812
; %bb.811:
	s_cmp_gt_u32 s10, 0x7f800000
	s_movk_i32 s10, 0x7f
	s_delay_alu instid0(SALU_CYCLE_1) | instskip(NEXT) | instid1(SALU_CYCLE_1)
	s_cselect_b32 s10, s10, 0x7e
	v_mov_b32_e32 v5, s10
.LBB46_812:
	s_lshr_b32 s9, s9, 24
	s_delay_alu instid0(SALU_CYCLE_1)
	s_and_b32 s9, s9, 0x80
	s_delay_alu instid0(VALU_DEP_1) | instid1(SALU_CYCLE_1)
	v_or_b32_e32 v4, s9, v5
	global_store_b8 v[0:1], v4, off
.LBB46_813:
	s_mov_b32 s9, 0
.LBB46_814:
	s_delay_alu instid0(SALU_CYCLE_1)
	s_and_not1_b32 vcc_lo, exec_lo, s9
	s_cbranch_vccnz .LBB46_826
; %bb.815:
	v_cvt_f32_f64_e32 v4, s[2:3]
	s_delay_alu instid0(VALU_DEP_1) | instskip(NEXT) | instid1(VALU_DEP_1)
	v_readfirstlane_b32 s9, v4
	s_and_b32 s10, s9, 0x7fffffff
	s_delay_alu instid0(SALU_CYCLE_1)
	s_cmp_lt_u32 s10, 0x47800000
	s_cbranch_scc0 .LBB46_818
; %bb.816:
	s_cmp_gt_u32 s10, 0x387fffff
	s_cbranch_scc0 .LBB46_819
; %bb.817:
	s_bfe_u32 s11, s9, 0x10015
	s_delay_alu instid0(SALU_CYCLE_1) | instskip(NEXT) | instid1(SALU_CYCLE_1)
	s_add_i32 s11, s9, s11
	s_add_i32 s11, s11, 0x80fffff
	s_delay_alu instid0(SALU_CYCLE_1)
	s_lshr_b32 s12, s11, 21
	s_mov_b32 s11, 0
	s_branch .LBB46_820
.LBB46_818:
	s_mov_b32 s11, -1
                                        ; implicit-def: $vgpr5
	s_branch .LBB46_823
.LBB46_819:
	s_mov_b32 s11, -1
                                        ; implicit-def: $sgpr12
.LBB46_820:
	v_mov_b32_e32 v5, s12
	s_and_not1_b32 vcc_lo, exec_lo, s11
	s_cbranch_vccnz .LBB46_822
; %bb.821:
	v_add_f32_e64 v5, 0x43000000, |v4|
.LBB46_822:
	s_mov_b32 s11, 0
.LBB46_823:
	s_delay_alu instid0(SALU_CYCLE_1)
	s_and_not1_b32 vcc_lo, exec_lo, s11
	s_cbranch_vccnz .LBB46_825
; %bb.824:
	s_cmp_gt_u32 s10, 0x7f800000
	s_movk_i32 s10, 0x7f
	s_delay_alu instid0(SALU_CYCLE_1) | instskip(NEXT) | instid1(SALU_CYCLE_1)
	s_cselect_b32 s10, s10, 0x7c
	v_mov_b32_e32 v5, s10
.LBB46_825:
	s_lshr_b32 s9, s9, 24
	s_delay_alu instid0(SALU_CYCLE_1)
	s_and_b32 s9, s9, 0x80
	s_delay_alu instid0(VALU_DEP_1) | instid1(SALU_CYCLE_1)
	v_or_b32_e32 v4, s9, v5
	global_store_b8 v[0:1], v4, off
.LBB46_826:
	s_mov_b32 s9, 0
	s_mov_b32 s10, -1
.LBB46_827:
	s_and_not1_b32 vcc_lo, exec_lo, s9
	s_mov_b32 s9, 0
	s_cbranch_vccnz .LBB46_834
; %bb.828:
	v_cmp_lt_i16_e32 vcc_lo, 14, v2
	s_mov_b32 s9, -1
	s_cbranch_vccz .LBB46_832
; %bb.829:
	v_cmp_eq_u16_e32 vcc_lo, 15, v2
	s_mov_b32 s0, -1
	s_cbranch_vccz .LBB46_831
; %bb.830:
	v_cvt_f32_f64_e32 v4, s[2:3]
	s_mov_b32 s0, 0
	s_mov_b32 s10, -1
	s_delay_alu instid0(VALU_DEP_1) | instskip(SKIP_1) | instid1(VALU_DEP_2)
	v_bfe_u32 v5, v4, 16, 1
	v_cmp_o_f32_e32 vcc_lo, v4, v4
	v_add_nc_u32_e32 v5, v4, v5
	s_delay_alu instid0(VALU_DEP_1) | instskip(NEXT) | instid1(VALU_DEP_1)
	v_add_nc_u32_e32 v5, 0x7fff, v5
	v_lshrrev_b32_e32 v5, 16, v5
	s_delay_alu instid0(VALU_DEP_1)
	v_cndmask_b32_e32 v4, 0x7fc0, v5, vcc_lo
	global_store_b16 v[0:1], v4, off
.LBB46_831:
	s_mov_b32 s9, 0
.LBB46_832:
	s_delay_alu instid0(SALU_CYCLE_1)
	s_and_b32 vcc_lo, exec_lo, s9
	s_mov_b32 s9, 0
	s_cbranch_vccz .LBB46_834
; %bb.833:
	v_cmp_ne_u16_e64 s0, 11, v2
	s_mov_b32 s9, -1
.LBB46_834:
	s_delay_alu instid0(VALU_DEP_1)
	s_and_b32 vcc_lo, exec_lo, s0
	s_cbranch_vccnz .LBB46_869
; %bb.835:
	s_and_not1_b32 vcc_lo, exec_lo, s9
	s_cbranch_vccnz .LBB46_837
.LBB46_836:
	v_cmp_neq_f64_e64 s0, s[2:3], 0
	s_mov_b32 s10, -1
	s_delay_alu instid0(VALU_DEP_1)
	v_cndmask_b32_e64 v4, 0, 1, s0
	global_store_b8 v[0:1], v4, off
.LBB46_837:
.LBB46_838:
	s_and_not1_b32 vcc_lo, exec_lo, s10
	s_cbranch_vccnz .LBB46_683
.LBB46_839:
	v_add_nc_u32_e32 v0, s6, v3
	v_cmp_gt_i16_e32 vcc_lo, 11, v2
	s_delay_alu instid0(VALU_DEP_2) | instskip(SKIP_1) | instid1(VALU_DEP_1)
	v_ashrrev_i32_e32 v1, 31, v0
	v_add_co_u32 v0, s0, s4, v0
	v_add_co_ci_u32_e64 v1, s0, s5, v1, s0
	s_cbranch_vccnz .LBB46_868
; %bb.840:
	v_cmp_lt_i16_e32 vcc_lo, 25, v2
	s_mov_b32 s5, -1
	s_mov_b32 s4, 0
	s_mov_b32 s0, 0
	s_cbranch_vccz .LBB46_880
; %bb.841:
	v_cmp_lt_i16_e32 vcc_lo, 28, v2
	s_cbranch_vccz .LBB46_857
; %bb.842:
	v_cmp_lt_i16_e32 vcc_lo, 43, v2
	;; [unrolled: 3-line block ×3, first 2 shown]
	s_cbranch_vccz .LBB46_847
; %bb.844:
	v_cmp_eq_u16_e32 vcc_lo, 46, v2
	s_mov_b32 s0, -1
	s_cbranch_vccz .LBB46_846
; %bb.845:
	v_cvt_f32_f64_e32 v3, s[2:3]
	s_mov_b32 s0, 0
	s_delay_alu instid0(VALU_DEP_1) | instskip(SKIP_1) | instid1(VALU_DEP_2)
	v_bfe_u32 v4, v3, 16, 1
	v_cmp_o_f32_e32 vcc_lo, v3, v3
	v_add_nc_u32_e32 v4, v3, v4
	s_delay_alu instid0(VALU_DEP_1) | instskip(NEXT) | instid1(VALU_DEP_1)
	v_add_nc_u32_e32 v4, 0x7fff, v4
	v_lshrrev_b32_e32 v4, 16, v4
	s_delay_alu instid0(VALU_DEP_1)
	v_cndmask_b32_e32 v3, 0x7fc0, v4, vcc_lo
	global_store_b32 v[0:1], v3, off
.LBB46_846:
	s_mov_b32 s5, 0
.LBB46_847:
	s_delay_alu instid0(SALU_CYCLE_1)
	s_and_b32 vcc_lo, exec_lo, s5
	s_cbranch_vccz .LBB46_852
; %bb.848:
	v_cmp_eq_u16_e32 vcc_lo, 44, v2
	s_mov_b32 s0, -1
	s_cbranch_vccz .LBB46_852
; %bb.849:
	v_cvt_f32_f64_e32 v3, s[2:3]
	v_mov_b32_e32 v4, 0xff
	s_delay_alu instid0(VALU_DEP_2) | instskip(NEXT) | instid1(VALU_DEP_1)
	v_readfirstlane_b32 s0, v3
	s_bfe_u32 s5, s0, 0x80017
	s_delay_alu instid0(SALU_CYCLE_1)
	s_cmpk_eq_i32 s5, 0xff
	s_cbranch_scc1 .LBB46_851
; %bb.850:
	s_bitcmp1_b32 s0, 22
	v_lshrrev_b32_e32 v3, 23, v3
	s_cselect_b32 s6, -1, 0
	s_and_b32 s0, s0, 0x3fffff
	s_delay_alu instid0(SALU_CYCLE_1) | instskip(NEXT) | instid1(SALU_CYCLE_1)
	s_or_b32 s0, s5, s0
	s_cmp_lg_u32 s0, 0
	s_cselect_b32 s0, -1, 0
	s_delay_alu instid0(SALU_CYCLE_1) | instskip(NEXT) | instid1(SALU_CYCLE_1)
	s_and_b32 s0, s6, s0
	v_cndmask_b32_e64 v4, 0, 1, s0
	s_delay_alu instid0(VALU_DEP_1)
	v_add_nc_u32_e32 v4, v3, v4
.LBB46_851:
	s_mov_b32 s0, 0
	global_store_b8 v[0:1], v4, off
.LBB46_852:
	s_mov_b32 s5, 0
.LBB46_853:
	s_delay_alu instid0(SALU_CYCLE_1)
	s_and_b32 vcc_lo, exec_lo, s5
	s_cbranch_vccz .LBB46_856
; %bb.854:
	v_cmp_eq_u16_e32 vcc_lo, 29, v2
	s_mov_b32 s0, -1
	s_cbranch_vccz .LBB46_856
; %bb.855:
	v_trunc_f64_e32 v[3:4], s[2:3]
	s_mov_b32 s0, 0
	s_delay_alu instid0(VALU_DEP_1) | instskip(NEXT) | instid1(VALU_DEP_1)
	v_ldexp_f64 v[5:6], v[3:4], 0xffffffe0
	v_floor_f64_e32 v[5:6], v[5:6]
	s_delay_alu instid0(VALU_DEP_1) | instskip(SKIP_1) | instid1(VALU_DEP_2)
	v_fma_f64 v[3:4], 0xc1f00000, v[5:6], v[3:4]
	v_cvt_u32_f64_e32 v5, v[5:6]
	v_cvt_u32_f64_e32 v4, v[3:4]
	global_store_b64 v[0:1], v[4:5], off
.LBB46_856:
	s_mov_b32 s5, 0
.LBB46_857:
	s_delay_alu instid0(SALU_CYCLE_1)
	s_and_b32 vcc_lo, exec_lo, s5
	s_cbranch_vccz .LBB46_879
; %bb.858:
	v_cmp_gt_i16_e32 vcc_lo, 27, v2
	s_mov_b32 s5, -1
	s_cbranch_vccnz .LBB46_864
; %bb.859:
	v_cvt_u32_f64_e32 v3, s[2:3]
	v_cmp_lt_i16_e32 vcc_lo, 27, v2
	s_cbranch_vccz .LBB46_861
; %bb.860:
	s_mov_b32 s5, 0
	global_store_b32 v[0:1], v3, off
.LBB46_861:
	s_and_not1_b32 vcc_lo, exec_lo, s5
	s_cbranch_vccnz .LBB46_863
; %bb.862:
	global_store_b16 v[0:1], v3, off
.LBB46_863:
	s_mov_b32 s5, 0
.LBB46_864:
	s_delay_alu instid0(SALU_CYCLE_1)
	s_and_not1_b32 vcc_lo, exec_lo, s5
	s_cbranch_vccnz .LBB46_879
; %bb.865:
	v_cvt_f32_f64_e32 v3, s[2:3]
	v_mov_b32_e32 v4, 0x80
	s_delay_alu instid0(VALU_DEP_2) | instskip(NEXT) | instid1(VALU_DEP_1)
	v_readfirstlane_b32 s5, v3
	s_and_b32 s6, s5, 0x7fffffff
	s_delay_alu instid0(SALU_CYCLE_1)
	s_cmp_gt_u32 s6, 0x437fffff
	s_cbranch_scc1 .LBB46_878
; %bb.866:
	s_cmp_gt_u32 s6, 0x3bffffff
	s_cbranch_scc0 .LBB46_873
; %bb.867:
	s_bfe_u32 s6, s5, 0x10014
	s_mov_b32 s9, 0
	s_add_i32 s6, s5, s6
	s_delay_alu instid0(SALU_CYCLE_1) | instskip(NEXT) | instid1(SALU_CYCLE_1)
	s_add_i32 s6, s6, 0x487ffff
	s_lshr_b32 s10, s6, 20
	s_mov_b32 s6, -1
	s_branch .LBB46_874
.LBB46_868:
	s_mov_b32 s4, 0
	s_mov_b32 s0, -1
	s_branch .LBB46_684
.LBB46_869:
	s_cbranch_execnz .LBB46_871
; %bb.870:
	s_or_b32 s8, s8, exec_lo
	s_cbranch_execz .LBB46_836
	s_branch .LBB46_837
.LBB46_871:
	s_trap 2
	s_sendmsg_rtn_b32 s0, sendmsg(MSG_RTN_GET_DOORBELL)
	s_mov_b32 ttmp2, m0
	s_waitcnt lgkmcnt(0)
	s_and_b32 s0, s0, 0x3ff
	s_delay_alu instid0(SALU_CYCLE_1) | instskip(NEXT) | instid1(SALU_CYCLE_1)
	s_bitset1_b32 s0, 10
	s_mov_b32 m0, s0
	s_sendmsg sendmsg(MSG_INTERRUPT)
	s_mov_b32 m0, ttmp2
.LBB46_872:                             ; =>This Inner Loop Header: Depth=1
	s_sethalt 5
	s_branch .LBB46_872
.LBB46_873:
	s_mov_b32 s9, -1
	s_mov_b32 s6, 0
                                        ; implicit-def: $sgpr10
.LBB46_874:
	v_mov_b32_e32 v3, s10
	s_and_not1_b32 vcc_lo, exec_lo, s9
                                        ; implicit-def: $sgpr9
	s_cbranch_vccnz .LBB46_876
; %bb.875:
	v_add_f32_e64 v3, 0x46000000, |s5|
	s_mov_b32 s9, 0
	s_delay_alu instid0(VALU_DEP_1) | instskip(NEXT) | instid1(VALU_DEP_1)
	v_and_b32_e32 v3, 0xff, v3
	v_cmp_ne_u32_e64 s6, 0, v3
.LBB46_876:
	v_mov_b32_e32 v4, s9
	s_delay_alu instid0(VALU_DEP_2)
	s_and_not1_b32 vcc_lo, exec_lo, s6
	s_cbranch_vccnz .LBB46_878
; %bb.877:
	s_lshr_b32 s5, s5, 24
	s_delay_alu instid0(SALU_CYCLE_1) | instskip(NEXT) | instid1(SALU_CYCLE_1)
	s_and_b32 s5, s5, 0x80
	v_or_b32_e32 v4, s5, v3
.LBB46_878:
	global_store_b8 v[0:1], v4, off
.LBB46_879:
	s_mov_b32 s5, 0
.LBB46_880:
	s_delay_alu instid0(SALU_CYCLE_1)
	s_and_b32 vcc_lo, exec_lo, s5
	s_cbranch_vccz .LBB46_926
; %bb.881:
	v_cmp_lt_i16_e32 vcc_lo, 22, v2
	s_mov_b32 s4, -1
	s_cbranch_vccz .LBB46_919
; %bb.882:
	v_cmp_gt_i16_e32 vcc_lo, 24, v2
	s_cbranch_vccnz .LBB46_906
; %bb.883:
	v_cmp_lt_i16_e32 vcc_lo, 24, v2
	s_cbranch_vccz .LBB46_893
; %bb.884:
	v_cvt_f32_f64_e32 v3, s[2:3]
	v_mov_b32_e32 v4, 0x80
	s_delay_alu instid0(VALU_DEP_2) | instskip(NEXT) | instid1(VALU_DEP_1)
	v_readfirstlane_b32 s4, v3
	s_and_b32 s5, s4, 0x7fffffff
	s_delay_alu instid0(SALU_CYCLE_1)
	s_cmp_gt_u32 s5, 0x477fffff
	s_cbranch_scc1 .LBB46_892
; %bb.885:
	s_cmp_gt_u32 s5, 0x37ffffff
	s_cbranch_scc0 .LBB46_887
; %bb.886:
	s_bfe_u32 s5, s4, 0x10015
	s_mov_b32 s6, 0
	s_add_i32 s5, s4, s5
	s_delay_alu instid0(SALU_CYCLE_1) | instskip(NEXT) | instid1(SALU_CYCLE_1)
	s_add_i32 s5, s5, 0x88fffff
	s_lshr_b32 s9, s5, 21
	s_mov_b32 s5, -1
	s_branch .LBB46_888
.LBB46_887:
	s_mov_b32 s6, -1
	s_mov_b32 s5, 0
                                        ; implicit-def: $sgpr9
.LBB46_888:
	v_mov_b32_e32 v3, s9
	s_and_not1_b32 vcc_lo, exec_lo, s6
                                        ; implicit-def: $sgpr6
	s_cbranch_vccnz .LBB46_890
; %bb.889:
	v_add_f32_e64 v3, 0x42800000, |s4|
	s_mov_b32 s6, 0
	s_delay_alu instid0(VALU_DEP_1) | instskip(NEXT) | instid1(VALU_DEP_1)
	v_and_b32_e32 v3, 0xff, v3
	v_cmp_ne_u32_e64 s5, 0, v3
.LBB46_890:
	v_mov_b32_e32 v4, s6
	s_delay_alu instid0(VALU_DEP_2)
	s_and_not1_b32 vcc_lo, exec_lo, s5
	s_cbranch_vccnz .LBB46_892
; %bb.891:
	s_lshr_b32 s4, s4, 24
	s_delay_alu instid0(SALU_CYCLE_1) | instskip(NEXT) | instid1(SALU_CYCLE_1)
	s_and_b32 s4, s4, 0x80
	v_or_b32_e32 v4, s4, v3
.LBB46_892:
	s_mov_b32 s4, 0
	global_store_b8 v[0:1], v4, off
.LBB46_893:
	s_and_b32 vcc_lo, exec_lo, s4
	s_cbranch_vccz .LBB46_905
; %bb.894:
	v_cvt_f32_f64_e32 v3, s[2:3]
	s_delay_alu instid0(VALU_DEP_1) | instskip(NEXT) | instid1(VALU_DEP_1)
	v_readfirstlane_b32 s4, v3
	s_and_b32 s5, s4, 0x7fffffff
	s_delay_alu instid0(SALU_CYCLE_1)
	s_cmp_lt_u32 s5, 0x43f00000
	s_cbranch_scc0 .LBB46_897
; %bb.895:
	s_cmp_gt_u32 s5, 0x3c7fffff
	s_cbranch_scc0 .LBB46_898
; %bb.896:
	s_bfe_u32 s6, s4, 0x10014
	s_delay_alu instid0(SALU_CYCLE_1) | instskip(NEXT) | instid1(SALU_CYCLE_1)
	s_add_i32 s6, s4, s6
	s_add_i32 s6, s6, 0x407ffff
	s_delay_alu instid0(SALU_CYCLE_1)
	s_and_b32 s9, s6, 0xff00000
	s_lshr_b32 s6, s6, 20
	s_cmp_lg_u32 s9, 0x7f00000
	s_cselect_b32 s9, s6, 0x7e
	s_mov_b32 s6, 0
	s_branch .LBB46_899
.LBB46_897:
	s_mov_b32 s6, -1
                                        ; implicit-def: $vgpr4
	s_branch .LBB46_902
.LBB46_898:
	s_mov_b32 s6, -1
                                        ; implicit-def: $sgpr9
.LBB46_899:
	v_mov_b32_e32 v4, s9
	s_and_not1_b32 vcc_lo, exec_lo, s6
	s_cbranch_vccnz .LBB46_901
; %bb.900:
	v_add_f32_e64 v4, 0x46800000, |v3|
.LBB46_901:
	s_mov_b32 s6, 0
.LBB46_902:
	s_delay_alu instid0(SALU_CYCLE_1)
	s_and_not1_b32 vcc_lo, exec_lo, s6
	s_cbranch_vccnz .LBB46_904
; %bb.903:
	s_cmp_gt_u32 s5, 0x7f800000
	s_movk_i32 s5, 0x7f
	s_delay_alu instid0(SALU_CYCLE_1) | instskip(NEXT) | instid1(SALU_CYCLE_1)
	s_cselect_b32 s5, s5, 0x7e
	v_mov_b32_e32 v4, s5
.LBB46_904:
	s_lshr_b32 s4, s4, 24
	s_delay_alu instid0(SALU_CYCLE_1)
	s_and_b32 s4, s4, 0x80
	s_delay_alu instid0(VALU_DEP_1) | instid1(SALU_CYCLE_1)
	v_or_b32_e32 v3, s4, v4
	global_store_b8 v[0:1], v3, off
.LBB46_905:
	s_mov_b32 s4, 0
.LBB46_906:
	s_delay_alu instid0(SALU_CYCLE_1)
	s_and_not1_b32 vcc_lo, exec_lo, s4
	s_cbranch_vccnz .LBB46_918
; %bb.907:
	v_cvt_f32_f64_e32 v3, s[2:3]
	s_delay_alu instid0(VALU_DEP_1) | instskip(NEXT) | instid1(VALU_DEP_1)
	v_readfirstlane_b32 s4, v3
	s_and_b32 s5, s4, 0x7fffffff
	s_delay_alu instid0(SALU_CYCLE_1)
	s_cmp_lt_u32 s5, 0x47800000
	s_cbranch_scc0 .LBB46_910
; %bb.908:
	s_cmp_gt_u32 s5, 0x387fffff
	s_cbranch_scc0 .LBB46_911
; %bb.909:
	s_bfe_u32 s6, s4, 0x10015
	s_delay_alu instid0(SALU_CYCLE_1) | instskip(NEXT) | instid1(SALU_CYCLE_1)
	s_add_i32 s6, s4, s6
	s_add_i32 s6, s6, 0x80fffff
	s_delay_alu instid0(SALU_CYCLE_1)
	s_lshr_b32 s9, s6, 21
	s_mov_b32 s6, 0
	s_branch .LBB46_912
.LBB46_910:
	s_mov_b32 s6, -1
                                        ; implicit-def: $vgpr4
	s_branch .LBB46_915
.LBB46_911:
	s_mov_b32 s6, -1
                                        ; implicit-def: $sgpr9
.LBB46_912:
	v_mov_b32_e32 v4, s9
	s_and_not1_b32 vcc_lo, exec_lo, s6
	s_cbranch_vccnz .LBB46_914
; %bb.913:
	v_add_f32_e64 v4, 0x43000000, |v3|
.LBB46_914:
	s_mov_b32 s6, 0
.LBB46_915:
	s_delay_alu instid0(SALU_CYCLE_1)
	s_and_not1_b32 vcc_lo, exec_lo, s6
	s_cbranch_vccnz .LBB46_917
; %bb.916:
	s_cmp_gt_u32 s5, 0x7f800000
	s_movk_i32 s5, 0x7f
	s_delay_alu instid0(SALU_CYCLE_1) | instskip(NEXT) | instid1(SALU_CYCLE_1)
	s_cselect_b32 s5, s5, 0x7c
	v_mov_b32_e32 v4, s5
.LBB46_917:
	s_lshr_b32 s4, s4, 24
	s_delay_alu instid0(SALU_CYCLE_1)
	s_and_b32 s4, s4, 0x80
	s_delay_alu instid0(VALU_DEP_1) | instid1(SALU_CYCLE_1)
	v_or_b32_e32 v3, s4, v4
	global_store_b8 v[0:1], v3, off
.LBB46_918:
	s_mov_b32 s4, 0
.LBB46_919:
	s_delay_alu instid0(SALU_CYCLE_1)
	s_and_not1_b32 vcc_lo, exec_lo, s4
	s_mov_b32 s4, 0
	s_cbranch_vccnz .LBB46_926
; %bb.920:
	v_cmp_lt_i16_e32 vcc_lo, 14, v2
	s_mov_b32 s4, -1
	s_cbranch_vccz .LBB46_924
; %bb.921:
	v_cmp_eq_u16_e32 vcc_lo, 15, v2
	s_mov_b32 s0, -1
	s_cbranch_vccz .LBB46_923
; %bb.922:
	v_cvt_f32_f64_e32 v3, s[2:3]
	s_mov_b32 s0, 0
	s_delay_alu instid0(VALU_DEP_1) | instskip(SKIP_1) | instid1(VALU_DEP_2)
	v_bfe_u32 v4, v3, 16, 1
	v_cmp_o_f32_e32 vcc_lo, v3, v3
	v_add_nc_u32_e32 v4, v3, v4
	s_delay_alu instid0(VALU_DEP_1) | instskip(NEXT) | instid1(VALU_DEP_1)
	v_add_nc_u32_e32 v4, 0x7fff, v4
	v_lshrrev_b32_e32 v4, 16, v4
	s_delay_alu instid0(VALU_DEP_1)
	v_cndmask_b32_e32 v3, 0x7fc0, v4, vcc_lo
	global_store_b16 v[0:1], v3, off
.LBB46_923:
	s_mov_b32 s4, 0
.LBB46_924:
	s_delay_alu instid0(SALU_CYCLE_1)
	s_and_b32 vcc_lo, exec_lo, s4
	s_mov_b32 s4, 0
	s_cbranch_vccz .LBB46_926
; %bb.925:
	v_cmp_ne_u16_e64 s0, 11, v2
	s_mov_b32 s4, -1
.LBB46_926:
	s_delay_alu instid0(VALU_DEP_1)
	s_and_b32 vcc_lo, exec_lo, s0
	s_cbranch_vccnz .LBB46_928
.LBB46_927:
	s_mov_b32 s0, 0
	s_branch .LBB46_684
.LBB46_928:
	s_cbranch_execnz .LBB46_930
; %bb.929:
	s_mov_b32 s4, 0
	s_or_b32 s8, s8, exec_lo
	s_branch .LBB46_927
.LBB46_930:
	s_trap 2
	s_sendmsg_rtn_b32 s0, sendmsg(MSG_RTN_GET_DOORBELL)
	s_mov_b32 ttmp2, m0
	s_waitcnt lgkmcnt(0)
	s_and_b32 s0, s0, 0x3ff
	s_delay_alu instid0(SALU_CYCLE_1) | instskip(NEXT) | instid1(SALU_CYCLE_1)
	s_bitset1_b32 s0, 10
	s_mov_b32 m0, s0
	s_sendmsg sendmsg(MSG_INTERRUPT)
	s_mov_b32 m0, ttmp2
.LBB46_931:                             ; =>This Inner Loop Header: Depth=1
	s_sethalt 5
	s_branch .LBB46_931
	.section	.rodata,"a",@progbits
	.p2align	6, 0x0
	.amdhsa_kernel _ZN2at6native32elementwise_kernel_manual_unrollILi128ELi4EZNS0_15gpu_kernel_implINS0_11FillFunctorIdEEEEvRNS_18TensorIteratorBaseERKT_EUlibE_EEviT1_
		.amdhsa_group_segment_fixed_size 0
		.amdhsa_private_segment_fixed_size 0
		.amdhsa_kernarg_size 40
		.amdhsa_user_sgpr_count 15
		.amdhsa_user_sgpr_dispatch_ptr 0
		.amdhsa_user_sgpr_queue_ptr 0
		.amdhsa_user_sgpr_kernarg_segment_ptr 1
		.amdhsa_user_sgpr_dispatch_id 0
		.amdhsa_user_sgpr_private_segment_size 0
		.amdhsa_wavefront_size32 1
		.amdhsa_uses_dynamic_stack 0
		.amdhsa_enable_private_segment 0
		.amdhsa_system_sgpr_workgroup_id_x 1
		.amdhsa_system_sgpr_workgroup_id_y 0
		.amdhsa_system_sgpr_workgroup_id_z 0
		.amdhsa_system_sgpr_workgroup_info 0
		.amdhsa_system_vgpr_workitem_id 0
		.amdhsa_next_free_vgpr 24
		.amdhsa_next_free_sgpr 38
		.amdhsa_reserve_vcc 1
		.amdhsa_float_round_mode_32 0
		.amdhsa_float_round_mode_16_64 0
		.amdhsa_float_denorm_mode_32 3
		.amdhsa_float_denorm_mode_16_64 3
		.amdhsa_dx10_clamp 1
		.amdhsa_ieee_mode 1
		.amdhsa_fp16_overflow 0
		.amdhsa_workgroup_processor_mode 1
		.amdhsa_memory_ordered 1
		.amdhsa_forward_progress 0
		.amdhsa_shared_vgpr_count 0
		.amdhsa_exception_fp_ieee_invalid_op 0
		.amdhsa_exception_fp_denorm_src 0
		.amdhsa_exception_fp_ieee_div_zero 0
		.amdhsa_exception_fp_ieee_overflow 0
		.amdhsa_exception_fp_ieee_underflow 0
		.amdhsa_exception_fp_ieee_inexact 0
		.amdhsa_exception_int_div_zero 0
	.end_amdhsa_kernel
	.section	.text._ZN2at6native32elementwise_kernel_manual_unrollILi128ELi4EZNS0_15gpu_kernel_implINS0_11FillFunctorIdEEEEvRNS_18TensorIteratorBaseERKT_EUlibE_EEviT1_,"axG",@progbits,_ZN2at6native32elementwise_kernel_manual_unrollILi128ELi4EZNS0_15gpu_kernel_implINS0_11FillFunctorIdEEEEvRNS_18TensorIteratorBaseERKT_EUlibE_EEviT1_,comdat
.Lfunc_end46:
	.size	_ZN2at6native32elementwise_kernel_manual_unrollILi128ELi4EZNS0_15gpu_kernel_implINS0_11FillFunctorIdEEEEvRNS_18TensorIteratorBaseERKT_EUlibE_EEviT1_, .Lfunc_end46-_ZN2at6native32elementwise_kernel_manual_unrollILi128ELi4EZNS0_15gpu_kernel_implINS0_11FillFunctorIdEEEEvRNS_18TensorIteratorBaseERKT_EUlibE_EEviT1_
                                        ; -- End function
	.section	.AMDGPU.csdata,"",@progbits
; Kernel info:
; codeLenInByte = 14360
; NumSgprs: 40
; NumVgprs: 24
; ScratchSize: 0
; MemoryBound: 0
; FloatMode: 240
; IeeeMode: 1
; LDSByteSize: 0 bytes/workgroup (compile time only)
; SGPRBlocks: 4
; VGPRBlocks: 2
; NumSGPRsForWavesPerEU: 40
; NumVGPRsForWavesPerEU: 24
; Occupancy: 16
; WaveLimiterHint : 0
; COMPUTE_PGM_RSRC2:SCRATCH_EN: 0
; COMPUTE_PGM_RSRC2:USER_SGPR: 15
; COMPUTE_PGM_RSRC2:TRAP_HANDLER: 0
; COMPUTE_PGM_RSRC2:TGID_X_EN: 1
; COMPUTE_PGM_RSRC2:TGID_Y_EN: 0
; COMPUTE_PGM_RSRC2:TGID_Z_EN: 0
; COMPUTE_PGM_RSRC2:TIDIG_COMP_CNT: 0
	.section	.text._ZN2at6native32elementwise_kernel_manual_unrollILi128ELi4EZNS0_15gpu_kernel_implINS0_11FillFunctorIdEEEEvRNS_18TensorIteratorBaseERKT_EUlibE0_EEviT1_,"axG",@progbits,_ZN2at6native32elementwise_kernel_manual_unrollILi128ELi4EZNS0_15gpu_kernel_implINS0_11FillFunctorIdEEEEvRNS_18TensorIteratorBaseERKT_EUlibE0_EEviT1_,comdat
	.protected	_ZN2at6native32elementwise_kernel_manual_unrollILi128ELi4EZNS0_15gpu_kernel_implINS0_11FillFunctorIdEEEEvRNS_18TensorIteratorBaseERKT_EUlibE0_EEviT1_ ; -- Begin function _ZN2at6native32elementwise_kernel_manual_unrollILi128ELi4EZNS0_15gpu_kernel_implINS0_11FillFunctorIdEEEEvRNS_18TensorIteratorBaseERKT_EUlibE0_EEviT1_
	.globl	_ZN2at6native32elementwise_kernel_manual_unrollILi128ELi4EZNS0_15gpu_kernel_implINS0_11FillFunctorIdEEEEvRNS_18TensorIteratorBaseERKT_EUlibE0_EEviT1_
	.p2align	8
	.type	_ZN2at6native32elementwise_kernel_manual_unrollILi128ELi4EZNS0_15gpu_kernel_implINS0_11FillFunctorIdEEEEvRNS_18TensorIteratorBaseERKT_EUlibE0_EEviT1_,@function
_ZN2at6native32elementwise_kernel_manual_unrollILi128ELi4EZNS0_15gpu_kernel_implINS0_11FillFunctorIdEEEEvRNS_18TensorIteratorBaseERKT_EUlibE0_EEviT1_: ; @_ZN2at6native32elementwise_kernel_manual_unrollILi128ELi4EZNS0_15gpu_kernel_implINS0_11FillFunctorIdEEEEvRNS_18TensorIteratorBaseERKT_EUlibE0_EEviT1_
; %bb.0:
	s_clause 0x1
	s_load_b32 s22, s[0:1], 0x8
	s_load_b32 s47, s[0:1], 0x0
	v_lshl_or_b32 v10, s15, 9, v0
	s_or_b32 s0, s0, 8
	s_mov_b32 s18, -1
	s_mov_b32 s24, 0
	s_mov_b32 s6, 0
	v_or_b32_e32 v4, 0x180, v10
	s_mov_b32 s2, exec_lo
	s_waitcnt lgkmcnt(0)
	s_add_i32 s23, s22, -1
	s_delay_alu instid0(SALU_CYCLE_1)
	s_cmp_gt_u32 s23, 1
	s_cselect_b32 s25, -1, 0
	v_cmpx_le_i32_e64 s47, v4
	s_xor_b32 s3, exec_lo, s2
	s_cbranch_execz .LBB47_159
; %bb.1:
	s_clause 0x1
	s_load_b128 s[4:7], s[0:1], 0x108
	s_load_b64 s[12:13], s[0:1], 0xc4
	s_cmp_lg_u32 s22, 0
	s_clause 0x2
	s_load_b128 s[8:11], s[0:1], 0x4
	s_load_b64 s[14:15], s[0:1], 0x14
	s_load_b32 s45, s[0:1], 0x118
	s_cselect_b32 s49, -1, 0
	s_add_u32 s16, s0, 0xc4
	s_addc_u32 s17, s1, 0
	s_min_u32 s48, s23, 15
	s_cmp_gt_u32 s22, 1
	s_movk_i32 s19, 0x7f
	s_cselect_b32 s46, -1, 0
	s_movk_i32 s20, 0x7c
	s_mov_b32 s52, 0
	s_mov_b32 s50, 0
	s_mov_b32 s51, exec_lo
	s_waitcnt lgkmcnt(0)
	v_trunc_f64_e32 v[0:1], s[6:7]
	v_cmp_neq_f64_e64 s2, s[6:7], 0
	v_cvt_u32_f64_e32 v17, s[6:7]
	v_cvt_i32_f64_e32 v8, s[6:7]
	s_delay_alu instid0(VALU_DEP_4) | instskip(NEXT) | instid1(VALU_DEP_4)
	v_ldexp_f64 v[2:3], v[0:1], 0xffffffe0
	v_cndmask_b32_e64 v12, 0, 1, s2
	s_delay_alu instid0(VALU_DEP_2) | instskip(SKIP_1) | instid1(VALU_DEP_2)
	v_floor_f64_e32 v[3:4], v[2:3]
	v_cvt_f32_f64_e32 v2, s[6:7]
	v_fma_f64 v[0:1], 0xc1f00000, v[3:4], v[0:1]
	s_delay_alu instid0(VALU_DEP_2)
	v_bfe_u32 v5, v2, 23, 8
	v_and_b32_e32 v6, 0x3fffff, v2
	v_readfirstlane_b32 s21, v2
	v_add_f32_e64 v16, 0x46000000, |v2|
	v_add_f32_e64 v15, 0x42800000, |v2|
	v_bfe_u32 v18, v2, 16, 1
	v_or_b32_e32 v6, v5, v6
	s_and_b32 s33, s21, 0x7fffffff
	v_lshrrev_b32_e32 v14, 23, v2
	v_readfirstlane_b32 s31, v15
	v_add_f32_e64 v11, 0x43000000, |v2|
	v_cmp_ne_u32_e64 s2, 0, v6
	v_lshrrev_b32_e32 v6, 24, v2
	v_cvt_f16_f32_e32 v9, v2
	s_delay_alu instid0(VALU_DEP_2) | instskip(SKIP_3) | instid1(VALU_DEP_2)
	v_and_b32_e32 v13, 0x80, v6
	v_cvt_u32_f64_e32 v0, v[0:1]
	v_and_b32_e32 v7, 0x400000, v2
	v_cvt_u32_f64_e32 v1, v[3:4]
	v_cmp_ne_u32_e32 vcc_lo, 0, v7
	v_add_f32_e64 v7, 0x46800000, |v2|
	s_and_b32 s29, vcc_lo, s2
	s_cmp_lt_u32 s33, 0x43800000
	v_readfirstlane_b32 s2, v16
	s_cselect_b32 s43, -1, 0
	s_cmp_gt_u32 s33, 0x3bffffff
	v_cmp_o_f32_e32 vcc_lo, v2, v2
	s_cselect_b32 s41, -1, 0
	s_bfe_u32 s26, s21, 0x10014
	s_and_b32 s2, s2, 0xff
	s_add_i32 s30, s21, s26
	v_readfirstlane_b32 s28, v7
	s_add_i32 s26, s30, 0x487ffff
	s_delay_alu instid0(SALU_CYCLE_1)
	s_lshr_b32 s42, s26, 20
	s_cmp_lg_u32 s2, 0
	v_cmp_eq_u32_e64 s2, 0xff, v5
	v_cvt_i32_f64_e32 v5, v[3:4]
	s_cselect_b32 s44, -1, 0
	s_cmp_gt_u32 s33, 0x477fffff
	v_add_nc_u32_e32 v3, v2, v18
	s_cselect_b32 s26, -1, 0
	s_cmp_lt_u32 s33, 0x47800000
	v_cndmask_b32_e64 v4, 0, 1, s29
	s_cselect_b32 s39, -1, 0
	s_cmp_gt_u32 s33, 0x37ffffff
	v_add_nc_u32_e32 v3, 0x7fff, v3
	s_cselect_b32 s35, -1, 0
	s_bfe_u32 s27, s21, 0x10015
	s_and_b32 s31, s31, 0xff
	s_add_i32 s21, s21, s27
	v_lshrrev_b32_e32 v3, 16, v3
	s_add_i32 s34, s21, 0x88fffff
	v_readfirstlane_b32 s27, v11
	s_lshr_b32 s37, s34, 21
	s_cmp_lg_u32 s31, 0
	v_and_b32_e32 v11, 0xffff, v9
	s_cselect_b32 s40, -1, 0
	s_cmp_gt_u32 s33, 0x43efffff
	v_add_nc_u32_e32 v18, v14, v4
	v_mov_b32_e32 v4, v0
	s_cselect_b32 s31, -1, 0
	s_cmp_lt_u32 s33, 0x3c800000
	v_cndmask_b32_e32 v14, 0x7fc0, v3, vcc_lo
	s_cselect_b32 s34, -1, 0
	s_add_i32 s30, s30, 0x407ffff
	s_delay_alu instid0(SALU_CYCLE_1)
	s_and_b32 s29, s30, 0xff00000
	s_lshr_b32 s30, s30, 20
	s_cmp_lg_u32 s29, 0x7f00000
	s_cselect_b32 s36, s30, 0x7e
	s_cmp_lt_u32 s33, 0x38800000
	s_cselect_b32 s29, -1, 0
	s_add_i32 s21, s21, 0x80fffff
	s_delay_alu instid0(SALU_CYCLE_1)
	s_lshr_b32 s30, s21, 21
	s_cmp_gt_u32 s33, 0x7f800000
	s_cselect_b32 s38, s19, 0x7e
	s_cselect_b32 s33, 0x7f, s20
	v_cmpx_gt_i32_e64 s47, v10
	s_cbranch_execz .LBB47_110
; %bb.2:
	s_and_not1_b32 vcc_lo, exec_lo, s25
	s_cbranch_vccnz .LBB47_7
; %bb.3:
	v_mov_b32_e32 v3, 0
	s_and_not1_b32 vcc_lo, exec_lo, s49
	s_cbranch_vccnz .LBB47_12
; %bb.4:
	s_add_i32 s53, s48, 1
	s_cmp_eq_u32 s23, 2
	s_cbranch_scc1 .LBB47_8
; %bb.5:
	v_dual_mov_b32 v3, 0 :: v_dual_mov_b32 v6, v10
	s_and_b32 s50, s53, 28
	s_mov_b32 s54, 0
	s_mov_b64 s[18:19], s[0:1]
	s_mov_b64 s[20:21], s[16:17]
.LBB47_6:                               ; =>This Inner Loop Header: Depth=1
	s_clause 0x1
	s_load_b256 s[56:63], s[18:19], 0x4
	s_load_b128 s[64:67], s[18:19], 0x24
	s_load_b128 s[68:71], s[20:21], 0x0
	s_add_u32 s18, s18, 48
	s_addc_u32 s19, s19, 0
	s_add_i32 s54, s54, 4
	s_add_u32 s20, s20, 16
	s_addc_u32 s21, s21, 0
	s_cmp_lg_u32 s50, s54
	s_waitcnt lgkmcnt(0)
	v_mul_hi_u32 v7, s57, v6
	s_delay_alu instid0(VALU_DEP_1) | instskip(NEXT) | instid1(VALU_DEP_1)
	v_add_nc_u32_e32 v7, v6, v7
	v_lshrrev_b32_e32 v7, s58, v7
	s_delay_alu instid0(VALU_DEP_1) | instskip(SKIP_1) | instid1(VALU_DEP_2)
	v_mul_hi_u32 v19, s60, v7
	v_mul_lo_u32 v22, v7, s56
	v_add_nc_u32_e32 v19, v7, v19
	s_delay_alu instid0(VALU_DEP_2) | instskip(NEXT) | instid1(VALU_DEP_2)
	v_sub_nc_u32_e32 v22, v6, v22
	v_lshrrev_b32_e32 v19, s61, v19
	s_delay_alu instid0(VALU_DEP_2) | instskip(NEXT) | instid1(VALU_DEP_2)
	v_mul_lo_u32 v22, v22, s68
	v_mul_hi_u32 v20, s63, v19
	v_mul_lo_u32 v23, v19, s59
	s_delay_alu instid0(VALU_DEP_2) | instskip(NEXT) | instid1(VALU_DEP_2)
	v_add_nc_u32_e32 v20, v19, v20
	v_sub_nc_u32_e32 v7, v7, v23
	s_delay_alu instid0(VALU_DEP_2) | instskip(NEXT) | instid1(VALU_DEP_2)
	v_lshrrev_b32_e32 v20, s64, v20
	v_mul_lo_u32 v7, v7, s69
	s_delay_alu instid0(VALU_DEP_2) | instskip(NEXT) | instid1(VALU_DEP_2)
	v_mul_hi_u32 v21, s66, v20
	v_add3_u32 v3, v22, v3, v7
	s_delay_alu instid0(VALU_DEP_2) | instskip(NEXT) | instid1(VALU_DEP_1)
	v_add_nc_u32_e32 v21, v20, v21
	v_lshrrev_b32_e32 v6, s67, v21
	v_mul_lo_u32 v21, v20, s62
	s_delay_alu instid0(VALU_DEP_2) | instskip(NEXT) | instid1(VALU_DEP_2)
	v_mul_lo_u32 v24, v6, s65
	v_sub_nc_u32_e32 v19, v19, v21
	s_delay_alu instid0(VALU_DEP_2) | instskip(NEXT) | instid1(VALU_DEP_2)
	v_sub_nc_u32_e32 v20, v20, v24
	v_mul_lo_u32 v19, v19, s70
	s_delay_alu instid0(VALU_DEP_2) | instskip(NEXT) | instid1(VALU_DEP_1)
	v_mul_lo_u32 v20, v20, s71
	v_add3_u32 v3, v19, v3, v20
	s_cbranch_scc1 .LBB47_6
	s_branch .LBB47_9
.LBB47_7:
                                        ; implicit-def: $vgpr3
	s_and_not1_b32 vcc_lo, exec_lo, s18
	s_cbranch_vccz .LBB47_13
	s_branch .LBB47_15
.LBB47_8:
	v_mov_b32_e32 v6, v10
.LBB47_9:
	s_and_b32 s53, s53, 3
	s_delay_alu instid0(SALU_CYCLE_1)
	s_cmp_eq_u32 s53, 0
	s_cbranch_scc1 .LBB47_12
; %bb.10:
	s_lshl_b32 s18, s50, 2
	s_mul_i32 s20, s50, 12
	s_add_u32 s18, s18, s0
	s_addc_u32 s19, s1, 0
	s_add_u32 s18, s18, 0xc4
	s_addc_u32 s19, s19, 0
	;; [unrolled: 2-line block ×3, first 2 shown]
	.p2align	6
.LBB47_11:                              ; =>This Inner Loop Header: Depth=1
	s_clause 0x1
	s_load_b64 s[54:55], s[20:21], 0x4
	s_load_b32 s50, s[20:21], 0xc
	s_add_u32 s20, s20, 12
	s_addc_u32 s21, s21, 0
	s_waitcnt lgkmcnt(0)
	v_mul_hi_u32 v7, s55, v6
	s_load_b32 s55, s[18:19], 0x0
	s_add_u32 s18, s18, 4
	s_addc_u32 s19, s19, 0
	s_add_i32 s53, s53, -1
	s_delay_alu instid0(SALU_CYCLE_1) | instskip(NEXT) | instid1(VALU_DEP_1)
	s_cmp_lg_u32 s53, 0
	v_add_nc_u32_e32 v7, v6, v7
	s_delay_alu instid0(VALU_DEP_1) | instskip(NEXT) | instid1(VALU_DEP_1)
	v_lshrrev_b32_e32 v7, s50, v7
	v_mul_lo_u32 v19, v7, s54
	s_delay_alu instid0(VALU_DEP_1) | instskip(SKIP_1) | instid1(VALU_DEP_1)
	v_sub_nc_u32_e32 v6, v6, v19
	s_waitcnt lgkmcnt(0)
	v_mad_u64_u32 v[19:20], null, v6, s55, v[3:4]
	v_mov_b32_e32 v6, v7
	s_delay_alu instid0(VALU_DEP_2)
	v_mov_b32_e32 v3, v19
	s_cbranch_scc1 .LBB47_11
.LBB47_12:
	s_cbranch_execnz .LBB47_15
.LBB47_13:
	v_mul_hi_u32 v3, s9, v10
	s_and_not1_b32 vcc_lo, exec_lo, s46
	s_delay_alu instid0(VALU_DEP_1) | instskip(NEXT) | instid1(VALU_DEP_1)
	v_add_nc_u32_e32 v3, v10, v3
	v_lshrrev_b32_e32 v6, s10, v3
	s_delay_alu instid0(VALU_DEP_1) | instskip(NEXT) | instid1(VALU_DEP_1)
	v_mul_lo_u32 v3, v6, s8
	v_sub_nc_u32_e32 v3, v10, v3
	s_delay_alu instid0(VALU_DEP_1)
	v_mul_lo_u32 v3, v3, s12
	s_cbranch_vccnz .LBB47_15
; %bb.14:
	v_mul_hi_u32 v7, s14, v6
	s_delay_alu instid0(VALU_DEP_1) | instskip(NEXT) | instid1(VALU_DEP_1)
	v_add_nc_u32_e32 v7, v6, v7
	v_lshrrev_b32_e32 v7, s15, v7
	s_delay_alu instid0(VALU_DEP_1) | instskip(NEXT) | instid1(VALU_DEP_1)
	v_mul_lo_u32 v7, v7, s11
	v_sub_nc_u32_e32 v19, v6, v7
	s_delay_alu instid0(VALU_DEP_1) | instskip(NEXT) | instid1(VALU_DEP_1)
	v_mad_u64_u32 v[6:7], null, v19, s13, v[3:4]
	v_mov_b32_e32 v3, v6
.LBB47_15:
	v_and_b32_e64 v19, 0xff, s45
	s_delay_alu instid0(VALU_DEP_2) | instskip(NEXT) | instid1(VALU_DEP_1)
	v_add_co_u32 v6, s19, s4, v3
	v_add_co_ci_u32_e64 v7, null, s5, 0, s19
	s_delay_alu instid0(VALU_DEP_3)
	v_cmp_gt_i16_e32 vcc_lo, 11, v19
	s_mov_b32 s18, 0
	s_mov_b32 s20, -1
	s_mov_b32 s19, 0
	s_cbranch_vccnz .LBB47_69
; %bb.16:
	v_cmp_lt_i16_e32 vcc_lo, 25, v19
	s_cbranch_vccz .LBB47_44
; %bb.17:
	v_cmp_lt_i16_e32 vcc_lo, 28, v19
	s_cbranch_vccz .LBB47_30
	;; [unrolled: 3-line block ×4, first 2 shown]
; %bb.20:
	v_cmp_eq_u16_e32 vcc_lo, 46, v19
	s_mov_b32 s20, 0
	s_mov_b32 s18, -1
	s_cbranch_vccz .LBB47_22
; %bb.21:
	s_mov_b32 s19, -1
	s_mov_b32 s18, 0
	global_store_b32 v[6:7], v14, off
.LBB47_22:
	s_and_b32 vcc_lo, exec_lo, s20
	s_cbranch_vccz .LBB47_25
; %bb.23:
	v_cmp_eq_u16_e32 vcc_lo, 44, v19
	s_mov_b32 s18, -1
	s_cbranch_vccz .LBB47_25
; %bb.24:
	v_cndmask_b32_e64 v3, v18, 0xff, s2
	s_mov_b32 s19, -1
	s_mov_b32 s18, 0
	global_store_b8 v[6:7], v3, off
.LBB47_25:
	s_mov_b32 s20, 0
.LBB47_26:
	s_delay_alu instid0(SALU_CYCLE_1)
	s_and_b32 vcc_lo, exec_lo, s20
	s_cbranch_vccz .LBB47_29
; %bb.27:
	v_cmp_eq_u16_e32 vcc_lo, 29, v19
	s_mov_b32 s18, -1
	s_cbranch_vccz .LBB47_29
; %bb.28:
	s_mov_b32 s19, -1
	s_mov_b32 s18, 0
	global_store_b64 v[6:7], v[0:1], off
.LBB47_29:
	s_mov_b32 s20, 0
.LBB47_30:
	s_delay_alu instid0(SALU_CYCLE_1)
	s_and_b32 vcc_lo, exec_lo, s20
	s_cbranch_vccz .LBB47_43
; %bb.31:
	v_cmp_gt_i16_e32 vcc_lo, 27, v19
	s_mov_b32 s19, -1
	s_cbranch_vccnz .LBB47_37
; %bb.32:
	v_cmp_lt_i16_e32 vcc_lo, 27, v19
	s_cbranch_vccz .LBB47_34
; %bb.33:
	s_mov_b32 s19, 0
	global_store_b32 v[6:7], v17, off
.LBB47_34:
	s_and_not1_b32 vcc_lo, exec_lo, s19
	s_cbranch_vccnz .LBB47_36
; %bb.35:
	global_store_b16 v[6:7], v17, off
.LBB47_36:
	s_mov_b32 s19, 0
.LBB47_37:
	s_delay_alu instid0(SALU_CYCLE_1)
	s_and_not1_b32 vcc_lo, exec_lo, s19
	s_cbranch_vccnz .LBB47_42
; %bb.38:
	v_mov_b32_e32 v3, 0x80
	s_and_not1_b32 vcc_lo, exec_lo, s43
	s_cbranch_vccnz .LBB47_41
; %bb.39:
	v_mov_b32_e32 v3, 0
	s_or_b32 s19, s41, s44
	s_delay_alu instid0(SALU_CYCLE_1)
	s_and_not1_b32 vcc_lo, exec_lo, s19
	s_cbranch_vccnz .LBB47_41
; %bb.40:
	v_cndmask_b32_e64 v3, v16, s42, s41
	s_delay_alu instid0(VALU_DEP_1)
	v_or_b32_e32 v3, v3, v13
.LBB47_41:
	global_store_b8 v[6:7], v3, off
.LBB47_42:
	s_mov_b32 s19, -1
.LBB47_43:
	s_mov_b32 s20, 0
.LBB47_44:
	s_delay_alu instid0(SALU_CYCLE_1)
	s_and_b32 vcc_lo, exec_lo, s20
	s_cbranch_vccz .LBB47_66
; %bb.45:
	v_cmp_lt_i16_e32 vcc_lo, 22, v19
	s_mov_b32 s20, -1
	s_cbranch_vccz .LBB47_58
; %bb.46:
	v_cmp_gt_i16_e32 vcc_lo, 24, v19
	s_mov_b32 s19, -1
	s_cbranch_vccnz .LBB47_55
; %bb.47:
	v_cmp_lt_i16_e32 vcc_lo, 24, v19
	s_cbranch_vccz .LBB47_52
; %bb.48:
	v_mov_b32_e32 v3, 0x80
	s_and_not1_b32 vcc_lo, exec_lo, s39
	s_cbranch_vccnz .LBB47_51
; %bb.49:
	v_mov_b32_e32 v3, 0
	s_or_b32 s19, s35, s40
	s_delay_alu instid0(SALU_CYCLE_1)
	s_and_not1_b32 vcc_lo, exec_lo, s19
	s_cbranch_vccnz .LBB47_51
; %bb.50:
	v_cndmask_b32_e64 v3, v15, s37, s35
	s_delay_alu instid0(VALU_DEP_1)
	v_or_b32_e32 v3, v3, v13
.LBB47_51:
	s_mov_b32 s19, 0
	global_store_b8 v[6:7], v3, off
.LBB47_52:
	s_and_b32 vcc_lo, exec_lo, s19
	s_cbranch_vccz .LBB47_54
; %bb.53:
	s_and_b32 s19, s34, exec_lo
	s_cselect_b32 s19, s28, s36
	s_and_b32 s20, s31, exec_lo
	s_cselect_b32 s19, s38, s19
	s_delay_alu instid0(SALU_CYCLE_1)
	v_or_b32_e32 v3, s19, v13
	global_store_b8 v[6:7], v3, off
.LBB47_54:
	s_mov_b32 s19, 0
.LBB47_55:
	s_delay_alu instid0(SALU_CYCLE_1)
	s_and_not1_b32 vcc_lo, exec_lo, s19
	s_cbranch_vccnz .LBB47_57
; %bb.56:
	s_and_b32 s19, s29, exec_lo
	s_cselect_b32 s19, s27, s30
	s_and_b32 s20, s26, exec_lo
	s_cselect_b32 s19, s33, s19
	s_delay_alu instid0(SALU_CYCLE_1)
	v_or_b32_e32 v3, s19, v13
	global_store_b8 v[6:7], v3, off
.LBB47_57:
	s_mov_b32 s20, 0
	s_mov_b32 s19, -1
.LBB47_58:
	s_and_not1_b32 vcc_lo, exec_lo, s20
	s_cbranch_vccnz .LBB47_66
; %bb.59:
	v_cmp_lt_i16_e32 vcc_lo, 14, v19
	s_mov_b32 s20, -1
	s_cbranch_vccz .LBB47_63
; %bb.60:
	v_cmp_eq_u16_e32 vcc_lo, 15, v19
	s_mov_b32 s18, -1
	s_cbranch_vccz .LBB47_62
; %bb.61:
	s_mov_b32 s19, -1
	s_mov_b32 s18, 0
	global_store_b16 v[6:7], v14, off
.LBB47_62:
	s_mov_b32 s20, 0
.LBB47_63:
	s_delay_alu instid0(SALU_CYCLE_1)
	s_and_b32 vcc_lo, exec_lo, s20
	s_cbranch_vccz .LBB47_66
; %bb.64:
	v_cmp_eq_u16_e32 vcc_lo, 11, v19
	s_mov_b32 s18, -1
	s_cbranch_vccz .LBB47_66
; %bb.65:
	s_mov_b32 s19, -1
	s_mov_b32 s18, 0
	global_store_b8 v[6:7], v12, off
.LBB47_66:
.LBB47_67:
	s_and_not1_b32 vcc_lo, exec_lo, s19
	s_cbranch_vccnz .LBB47_108
.LBB47_68:
	v_add_nc_u32_e32 v10, 0x80, v10
	s_mov_b32 s19, -1
	s_branch .LBB47_109
.LBB47_69:
	s_and_b32 vcc_lo, exec_lo, s20
	s_cbranch_vccz .LBB47_67
; %bb.70:
	v_cmp_gt_i16_e32 vcc_lo, 5, v19
	s_mov_b32 s19, -1
	s_cbranch_vccnz .LBB47_91
; %bb.71:
	v_cmp_gt_i16_e32 vcc_lo, 8, v19
	s_cbranch_vccnz .LBB47_81
; %bb.72:
	v_cmp_gt_i16_e32 vcc_lo, 9, v19
	s_cbranch_vccnz .LBB47_78
; %bb.73:
	v_cmp_lt_i16_e32 vcc_lo, 9, v19
	s_cbranch_vccz .LBB47_75
; %bb.74:
	v_dual_mov_b32 v22, 0 :: v_dual_mov_b32 v21, s7
	v_mov_b32_e32 v20, s6
	s_mov_b32 s19, 0
	s_delay_alu instid0(VALU_DEP_2)
	v_mov_b32_e32 v23, v22
	global_store_b128 v[6:7], v[20:23], off
.LBB47_75:
	s_and_not1_b32 vcc_lo, exec_lo, s19
	s_cbranch_vccnz .LBB47_77
; %bb.76:
	v_mov_b32_e32 v3, 0
	global_store_b64 v[6:7], v[2:3], off
.LBB47_77:
	s_mov_b32 s19, 0
.LBB47_78:
	s_delay_alu instid0(SALU_CYCLE_1)
	s_and_not1_b32 vcc_lo, exec_lo, s19
	s_cbranch_vccnz .LBB47_80
; %bb.79:
	global_store_b32 v[6:7], v11, off
.LBB47_80:
	s_mov_b32 s19, 0
.LBB47_81:
	s_delay_alu instid0(SALU_CYCLE_1)
	s_and_not1_b32 vcc_lo, exec_lo, s19
	s_cbranch_vccnz .LBB47_90
; %bb.82:
	v_cmp_gt_i16_e32 vcc_lo, 6, v19
	s_mov_b32 s19, -1
	s_cbranch_vccnz .LBB47_88
; %bb.83:
	v_cmp_lt_i16_e32 vcc_lo, 6, v19
	s_cbranch_vccz .LBB47_85
; %bb.84:
	v_dual_mov_b32 v21, s7 :: v_dual_mov_b32 v20, s6
	s_mov_b32 s19, 0
	global_store_b64 v[6:7], v[20:21], off
.LBB47_85:
	s_and_not1_b32 vcc_lo, exec_lo, s19
	s_cbranch_vccnz .LBB47_87
; %bb.86:
	global_store_b32 v[6:7], v2, off
.LBB47_87:
	s_mov_b32 s19, 0
.LBB47_88:
	s_delay_alu instid0(SALU_CYCLE_1)
	s_and_not1_b32 vcc_lo, exec_lo, s19
	s_cbranch_vccnz .LBB47_90
; %bb.89:
	global_store_b16 v[6:7], v9, off
.LBB47_90:
	s_mov_b32 s19, 0
.LBB47_91:
	s_delay_alu instid0(SALU_CYCLE_1)
	s_and_not1_b32 vcc_lo, exec_lo, s19
	s_cbranch_vccnz .LBB47_107
; %bb.92:
	v_cmp_gt_i16_e32 vcc_lo, 2, v19
	s_mov_b32 s19, -1
	s_cbranch_vccnz .LBB47_102
; %bb.93:
	v_cmp_gt_i16_e32 vcc_lo, 3, v19
	s_cbranch_vccnz .LBB47_99
; %bb.94:
	v_cmp_lt_i16_e32 vcc_lo, 3, v19
	s_cbranch_vccz .LBB47_96
; %bb.95:
	s_mov_b32 s19, 0
	global_store_b64 v[6:7], v[4:5], off
.LBB47_96:
	s_and_not1_b32 vcc_lo, exec_lo, s19
	s_cbranch_vccnz .LBB47_98
; %bb.97:
	global_store_b32 v[6:7], v8, off
.LBB47_98:
	s_mov_b32 s19, 0
.LBB47_99:
	s_delay_alu instid0(SALU_CYCLE_1)
	s_and_not1_b32 vcc_lo, exec_lo, s19
	s_cbranch_vccnz .LBB47_101
; %bb.100:
	global_store_b16 v[6:7], v8, off
.LBB47_101:
	s_mov_b32 s19, 0
.LBB47_102:
	s_delay_alu instid0(SALU_CYCLE_1)
	s_and_not1_b32 vcc_lo, exec_lo, s19
	s_cbranch_vccnz .LBB47_107
; %bb.103:
	v_cmp_lt_i16_e32 vcc_lo, 0, v19
	s_mov_b32 s19, -1
	s_cbranch_vccz .LBB47_105
; %bb.104:
	s_mov_b32 s19, 0
	global_store_b8 v[6:7], v8, off
.LBB47_105:
	s_and_not1_b32 vcc_lo, exec_lo, s19
	s_cbranch_vccnz .LBB47_107
; %bb.106:
	global_store_b8 v[6:7], v0, off
.LBB47_107:
	s_branch .LBB47_68
.LBB47_108:
	s_mov_b32 s19, 0
                                        ; implicit-def: $vgpr10
.LBB47_109:
	s_and_b32 s50, s18, exec_lo
	s_or_not1_b32 s18, s19, exec_lo
.LBB47_110:
	s_or_b32 exec_lo, exec_lo, s51
	s_mov_b32 s19, 0
                                        ; implicit-def: $vgpr19
                                        ; implicit-def: $vgpr6_vgpr7
	s_and_saveexec_b32 s51, s18
	s_cbranch_execz .LBB47_117
; %bb.111:
	s_mov_b32 s20, -1
	s_mov_b32 s52, s50
	s_mov_b32 s53, exec_lo
	v_cmpx_gt_i32_e64 s47, v10
	s_cbranch_execz .LBB47_364
; %bb.112:
	s_and_not1_b32 vcc_lo, exec_lo, s25
	s_cbranch_vccnz .LBB47_219
; %bb.113:
	v_mov_b32_e32 v3, 0
	s_and_not1_b32 vcc_lo, exec_lo, s49
	s_cbranch_vccnz .LBB47_226
; %bb.114:
	s_add_i32 s54, s48, 1
	s_cmp_eq_u32 s23, 2
	s_mov_b32 s52, 0
	s_cbranch_scc1 .LBB47_222
; %bb.115:
	v_dual_mov_b32 v3, 0 :: v_dual_mov_b32 v6, v10
	s_and_b32 s52, s54, 28
	s_mov_b32 s55, 0
	s_mov_b64 s[18:19], s[0:1]
	s_mov_b64 s[20:21], s[16:17]
.LBB47_116:                             ; =>This Inner Loop Header: Depth=1
	s_clause 0x1
	s_load_b256 s[56:63], s[18:19], 0x4
	s_load_b128 s[64:67], s[18:19], 0x24
	s_load_b128 s[68:71], s[20:21], 0x0
	s_add_u32 s18, s18, 48
	s_addc_u32 s19, s19, 0
	s_add_i32 s55, s55, 4
	s_add_u32 s20, s20, 16
	s_addc_u32 s21, s21, 0
	s_cmp_eq_u32 s52, s55
	s_waitcnt lgkmcnt(0)
	v_mul_hi_u32 v7, s57, v6
	s_delay_alu instid0(VALU_DEP_1) | instskip(NEXT) | instid1(VALU_DEP_1)
	v_add_nc_u32_e32 v7, v6, v7
	v_lshrrev_b32_e32 v7, s58, v7
	s_delay_alu instid0(VALU_DEP_1) | instskip(SKIP_1) | instid1(VALU_DEP_2)
	v_mul_hi_u32 v19, s60, v7
	v_mul_lo_u32 v22, v7, s56
	v_add_nc_u32_e32 v19, v7, v19
	s_delay_alu instid0(VALU_DEP_2) | instskip(NEXT) | instid1(VALU_DEP_2)
	v_sub_nc_u32_e32 v22, v6, v22
	v_lshrrev_b32_e32 v19, s61, v19
	s_delay_alu instid0(VALU_DEP_2) | instskip(NEXT) | instid1(VALU_DEP_2)
	v_mul_lo_u32 v22, v22, s68
	v_mul_hi_u32 v20, s63, v19
	v_mul_lo_u32 v23, v19, s59
	s_delay_alu instid0(VALU_DEP_2) | instskip(NEXT) | instid1(VALU_DEP_2)
	v_add_nc_u32_e32 v20, v19, v20
	v_sub_nc_u32_e32 v7, v7, v23
	s_delay_alu instid0(VALU_DEP_2) | instskip(NEXT) | instid1(VALU_DEP_2)
	v_lshrrev_b32_e32 v20, s64, v20
	v_mul_lo_u32 v7, v7, s69
	s_delay_alu instid0(VALU_DEP_2) | instskip(NEXT) | instid1(VALU_DEP_2)
	v_mul_hi_u32 v21, s66, v20
	v_add3_u32 v3, v22, v3, v7
	s_delay_alu instid0(VALU_DEP_2) | instskip(NEXT) | instid1(VALU_DEP_1)
	v_add_nc_u32_e32 v21, v20, v21
	v_lshrrev_b32_e32 v6, s67, v21
	v_mul_lo_u32 v21, v20, s62
	s_delay_alu instid0(VALU_DEP_2) | instskip(NEXT) | instid1(VALU_DEP_2)
	v_mul_lo_u32 v24, v6, s65
	v_sub_nc_u32_e32 v19, v19, v21
	s_delay_alu instid0(VALU_DEP_2) | instskip(NEXT) | instid1(VALU_DEP_2)
	v_sub_nc_u32_e32 v20, v20, v24
	v_mul_lo_u32 v19, v19, s70
	s_delay_alu instid0(VALU_DEP_2) | instskip(NEXT) | instid1(VALU_DEP_1)
	v_mul_lo_u32 v20, v20, s71
	v_add3_u32 v3, v19, v3, v20
	s_cbranch_scc0 .LBB47_116
	s_branch .LBB47_223
.LBB47_117:
	s_or_b32 exec_lo, exec_lo, s51
	s_mov_b32 s2, 0
	s_and_saveexec_b32 s4, s50
	s_cbranch_execnz .LBB47_682
.LBB47_118:
	s_or_b32 exec_lo, exec_lo, s4
	s_and_saveexec_b32 s4, s52
	s_delay_alu instid0(SALU_CYCLE_1)
	s_xor_b32 s4, exec_lo, s4
	s_cbranch_execz .LBB47_120
.LBB47_119:
	global_store_b8 v[6:7], v12, off
.LBB47_120:
	s_or_b32 exec_lo, exec_lo, s4
	s_and_saveexec_b32 s4, s19
	s_delay_alu instid0(SALU_CYCLE_1)
	s_xor_b32 s4, exec_lo, s4
	s_cbranch_execz .LBB47_158
; %bb.121:
	v_cmp_gt_i16_e32 vcc_lo, 5, v19
	s_mov_b32 s5, -1
	s_cbranch_vccnz .LBB47_142
; %bb.122:
	v_cmp_gt_i16_e32 vcc_lo, 8, v19
	s_cbranch_vccnz .LBB47_132
; %bb.123:
	v_cmp_gt_i16_e32 vcc_lo, 9, v19
	s_cbranch_vccnz .LBB47_129
; %bb.124:
	v_cmp_lt_i16_e32 vcc_lo, 9, v19
	s_cbranch_vccz .LBB47_126
; %bb.125:
	v_dual_mov_b32 v14, 0 :: v_dual_mov_b32 v13, s7
	v_mov_b32_e32 v12, s6
	s_mov_b32 s5, 0
	s_delay_alu instid0(VALU_DEP_2)
	v_mov_b32_e32 v15, v14
	global_store_b128 v[6:7], v[12:15], off
.LBB47_126:
	s_and_not1_b32 vcc_lo, exec_lo, s5
	s_cbranch_vccnz .LBB47_128
; %bb.127:
	v_mov_b32_e32 v3, 0
	global_store_b64 v[6:7], v[2:3], off
.LBB47_128:
	s_mov_b32 s5, 0
.LBB47_129:
	s_delay_alu instid0(SALU_CYCLE_1)
	s_and_not1_b32 vcc_lo, exec_lo, s5
	s_cbranch_vccnz .LBB47_131
; %bb.130:
	global_store_b32 v[6:7], v11, off
.LBB47_131:
	s_mov_b32 s5, 0
.LBB47_132:
	s_delay_alu instid0(SALU_CYCLE_1)
	s_and_not1_b32 vcc_lo, exec_lo, s5
	s_cbranch_vccnz .LBB47_141
; %bb.133:
	v_cmp_gt_i16_e32 vcc_lo, 6, v19
	s_mov_b32 s5, -1
	s_cbranch_vccnz .LBB47_139
; %bb.134:
	v_cmp_lt_i16_e32 vcc_lo, 6, v19
	s_cbranch_vccz .LBB47_136
; %bb.135:
	v_dual_mov_b32 v11, s7 :: v_dual_mov_b32 v10, s6
	s_mov_b32 s5, 0
	global_store_b64 v[6:7], v[10:11], off
.LBB47_136:
	s_and_not1_b32 vcc_lo, exec_lo, s5
	s_cbranch_vccnz .LBB47_138
; %bb.137:
	global_store_b32 v[6:7], v2, off
.LBB47_138:
	s_mov_b32 s5, 0
.LBB47_139:
	s_delay_alu instid0(SALU_CYCLE_1)
	s_and_not1_b32 vcc_lo, exec_lo, s5
	s_cbranch_vccnz .LBB47_141
; %bb.140:
	global_store_b16 v[6:7], v9, off
.LBB47_141:
	s_mov_b32 s5, 0
.LBB47_142:
	s_delay_alu instid0(SALU_CYCLE_1)
	s_and_not1_b32 vcc_lo, exec_lo, s5
	s_cbranch_vccnz .LBB47_158
; %bb.143:
	v_cmp_gt_i16_e32 vcc_lo, 2, v19
	s_mov_b32 s5, -1
	s_cbranch_vccnz .LBB47_153
; %bb.144:
	v_cmp_gt_i16_e32 vcc_lo, 3, v19
	s_cbranch_vccnz .LBB47_150
; %bb.145:
	v_cmp_lt_i16_e32 vcc_lo, 3, v19
	s_cbranch_vccz .LBB47_147
; %bb.146:
	s_mov_b32 s5, 0
	global_store_b64 v[6:7], v[4:5], off
.LBB47_147:
	s_and_not1_b32 vcc_lo, exec_lo, s5
	s_cbranch_vccnz .LBB47_149
; %bb.148:
	global_store_b32 v[6:7], v8, off
.LBB47_149:
	s_mov_b32 s5, 0
.LBB47_150:
	s_delay_alu instid0(SALU_CYCLE_1)
	s_and_not1_b32 vcc_lo, exec_lo, s5
	s_cbranch_vccnz .LBB47_152
; %bb.151:
	global_store_b16 v[6:7], v8, off
.LBB47_152:
	s_mov_b32 s5, 0
.LBB47_153:
	s_delay_alu instid0(SALU_CYCLE_1)
	s_and_not1_b32 vcc_lo, exec_lo, s5
	s_cbranch_vccnz .LBB47_158
; %bb.154:
	v_cmp_lt_i16_e32 vcc_lo, 0, v19
	s_mov_b32 s5, -1
	s_cbranch_vccz .LBB47_156
; %bb.155:
	s_mov_b32 s5, 0
	global_store_b8 v[6:7], v8, off
.LBB47_156:
	s_and_not1_b32 vcc_lo, exec_lo, s5
	s_cbranch_vccnz .LBB47_158
; %bb.157:
	global_store_b8 v[6:7], v0, off
.LBB47_158:
	s_or_b32 exec_lo, exec_lo, s4
	s_delay_alu instid0(SALU_CYCLE_1)
	s_and_b32 s6, s2, exec_lo
                                        ; implicit-def: $vgpr4
                                        ; implicit-def: $vgpr10
.LBB47_159:
	s_or_saveexec_b32 s7, s3
	s_mov_b32 s9, 0
                                        ; implicit-def: $sgpr4
                                        ; implicit-def: $vgpr0_vgpr1
                                        ; implicit-def: $sgpr2_sgpr3
	s_xor_b32 exec_lo, exec_lo, s7
	s_cbranch_execz .LBB47_912
; %bb.160:
	v_cndmask_b32_e64 v0, 0, 1, s25
	s_and_not1_b32 vcc_lo, exec_lo, s25
	s_cbranch_vccnz .LBB47_166
; %bb.161:
	v_mov_b32_e32 v3, 0
	s_cmp_eq_u32 s22, 0
	s_mov_b32 s8, 0
	s_cbranch_scc1 .LBB47_170
; %bb.162:
	s_min_u32 s9, s23, 15
	v_mov_b32_e32 v3, 0
	s_add_i32 s9, s9, 1
	s_cmp_eq_u32 s23, 2
	s_mov_b32 s10, 0
	s_cbranch_scc1 .LBB47_167
; %bb.163:
	v_mov_b32_e32 v3, 0
	v_mov_b32_e32 v1, v10
	s_add_u32 s2, s0, 0xc4
	s_addc_u32 s3, s1, 0
	s_and_b32 s10, s9, 28
	s_mov_b32 s11, 0
	s_mov_b64 s[4:5], s[0:1]
.LBB47_164:                             ; =>This Inner Loop Header: Depth=1
	s_clause 0x1
	s_load_b256 s[12:19], s[4:5], 0x4
	s_load_b128 s[24:27], s[4:5], 0x24
	s_load_b128 s[28:31], s[2:3], 0x0
	s_add_u32 s4, s4, 48
	s_addc_u32 s5, s5, 0
	s_add_i32 s11, s11, 4
	s_add_u32 s2, s2, 16
	s_addc_u32 s3, s3, 0
	s_cmp_lg_u32 s10, s11
	s_waitcnt lgkmcnt(0)
	v_mul_hi_u32 v2, s13, v1
	s_delay_alu instid0(VALU_DEP_1) | instskip(NEXT) | instid1(VALU_DEP_1)
	v_add_nc_u32_e32 v2, v1, v2
	v_lshrrev_b32_e32 v2, s14, v2
	s_delay_alu instid0(VALU_DEP_1) | instskip(SKIP_1) | instid1(VALU_DEP_2)
	v_mul_hi_u32 v5, s16, v2
	v_mul_lo_u32 v8, v2, s12
	v_add_nc_u32_e32 v5, v2, v5
	s_delay_alu instid0(VALU_DEP_2) | instskip(NEXT) | instid1(VALU_DEP_2)
	v_sub_nc_u32_e32 v8, v1, v8
	v_lshrrev_b32_e32 v5, s17, v5
	s_delay_alu instid0(VALU_DEP_2) | instskip(NEXT) | instid1(VALU_DEP_2)
	v_mul_lo_u32 v8, v8, s28
	v_mul_hi_u32 v6, s19, v5
	v_mul_lo_u32 v9, v5, s15
	s_delay_alu instid0(VALU_DEP_2) | instskip(NEXT) | instid1(VALU_DEP_2)
	v_add_nc_u32_e32 v6, v5, v6
	v_sub_nc_u32_e32 v2, v2, v9
	s_delay_alu instid0(VALU_DEP_2) | instskip(NEXT) | instid1(VALU_DEP_2)
	v_lshrrev_b32_e32 v6, s24, v6
	v_mul_lo_u32 v2, v2, s29
	s_delay_alu instid0(VALU_DEP_2) | instskip(NEXT) | instid1(VALU_DEP_2)
	v_mul_hi_u32 v7, s26, v6
	v_add3_u32 v2, v8, v3, v2
	s_delay_alu instid0(VALU_DEP_2) | instskip(NEXT) | instid1(VALU_DEP_1)
	v_add_nc_u32_e32 v7, v6, v7
	v_lshrrev_b32_e32 v1, s27, v7
	v_mul_lo_u32 v7, v6, s18
	s_delay_alu instid0(VALU_DEP_2) | instskip(NEXT) | instid1(VALU_DEP_2)
	v_mul_lo_u32 v11, v1, s25
	v_sub_nc_u32_e32 v5, v5, v7
	s_delay_alu instid0(VALU_DEP_2) | instskip(NEXT) | instid1(VALU_DEP_2)
	v_sub_nc_u32_e32 v6, v6, v11
	v_mul_lo_u32 v5, v5, s30
	s_delay_alu instid0(VALU_DEP_2) | instskip(NEXT) | instid1(VALU_DEP_1)
	v_mul_lo_u32 v6, v6, s31
	v_add3_u32 v3, v5, v2, v6
	s_cbranch_scc1 .LBB47_164
; %bb.165:
	s_and_b32 s9, s9, 3
	s_delay_alu instid0(SALU_CYCLE_1)
	s_cmp_eq_u32 s9, 0
	s_cbranch_scc0 .LBB47_168
	s_branch .LBB47_170
.LBB47_166:
	s_mov_b32 s8, -1
                                        ; implicit-def: $vgpr3
	s_branch .LBB47_170
.LBB47_167:
	v_mov_b32_e32 v1, v10
	s_and_b32 s9, s9, 3
	s_delay_alu instid0(SALU_CYCLE_1)
	s_cmp_eq_u32 s9, 0
	s_cbranch_scc1 .LBB47_170
.LBB47_168:
	s_lshl_b32 s2, s10, 2
	s_mul_i32 s4, s10, 12
	s_add_u32 s2, s2, s0
	s_addc_u32 s3, 0, s1
	s_add_u32 s2, s2, 0xc4
	s_addc_u32 s3, s3, 0
	s_add_u32 s4, s0, s4
	s_addc_u32 s5, 0, s1
	.p2align	6
.LBB47_169:                             ; =>This Inner Loop Header: Depth=1
	s_clause 0x1
	s_load_b64 s[10:11], s[4:5], 0x4
	s_load_b32 s12, s[4:5], 0xc
	s_add_u32 s4, s4, 12
	s_addc_u32 s5, s5, 0
	s_waitcnt lgkmcnt(0)
	v_mul_hi_u32 v2, s11, v1
	s_load_b32 s11, s[2:3], 0x0
	s_add_u32 s2, s2, 4
	s_addc_u32 s3, s3, 0
	s_add_i32 s9, s9, -1
	s_delay_alu instid0(SALU_CYCLE_1) | instskip(NEXT) | instid1(VALU_DEP_1)
	s_cmp_lg_u32 s9, 0
	v_add_nc_u32_e32 v2, v1, v2
	s_delay_alu instid0(VALU_DEP_1) | instskip(NEXT) | instid1(VALU_DEP_1)
	v_lshrrev_b32_e32 v2, s12, v2
	v_mul_lo_u32 v5, v2, s10
	s_delay_alu instid0(VALU_DEP_1) | instskip(SKIP_1) | instid1(VALU_DEP_1)
	v_sub_nc_u32_e32 v1, v1, v5
	s_waitcnt lgkmcnt(0)
	v_mad_u64_u32 v[5:6], null, v1, s11, v[3:4]
	v_mov_b32_e32 v1, v2
	s_delay_alu instid0(VALU_DEP_2)
	v_mov_b32_e32 v3, v5
	s_cbranch_scc1 .LBB47_169
.LBB47_170:
	s_and_not1_b32 vcc_lo, exec_lo, s8
	s_cbranch_vccnz .LBB47_173
; %bb.171:
	s_clause 0x1
	s_load_b128 s[8:11], s[0:1], 0x4
	s_load_b32 s2, s[0:1], 0xc4
	s_cmp_lt_u32 s22, 2
	s_waitcnt lgkmcnt(0)
	v_mul_hi_u32 v1, s9, v10
	s_delay_alu instid0(VALU_DEP_1) | instskip(NEXT) | instid1(VALU_DEP_1)
	v_add_nc_u32_e32 v1, v10, v1
	v_lshrrev_b32_e32 v1, s10, v1
	s_delay_alu instid0(VALU_DEP_1) | instskip(NEXT) | instid1(VALU_DEP_1)
	v_mul_lo_u32 v2, v1, s8
	v_sub_nc_u32_e32 v2, v10, v2
	s_delay_alu instid0(VALU_DEP_1)
	v_mul_lo_u32 v3, v2, s2
	s_cbranch_scc1 .LBB47_173
; %bb.172:
	s_clause 0x1
	s_load_b128 s[8:11], s[0:1], 0x10
	s_load_b32 s2, s[0:1], 0xc8
	s_waitcnt lgkmcnt(0)
	v_mul_hi_u32 v2, s9, v1
	s_delay_alu instid0(VALU_DEP_1) | instskip(NEXT) | instid1(VALU_DEP_1)
	v_add_nc_u32_e32 v2, v1, v2
	v_lshrrev_b32_e32 v2, s10, v2
	s_delay_alu instid0(VALU_DEP_1) | instskip(NEXT) | instid1(VALU_DEP_1)
	v_mul_lo_u32 v2, v2, s8
	v_sub_nc_u32_e32 v5, v1, v2
	s_delay_alu instid0(VALU_DEP_1) | instskip(NEXT) | instid1(VALU_DEP_1)
	v_mad_u64_u32 v[1:2], null, v5, s2, v[3:4]
	v_mov_b32_e32 v3, v1
.LBB47_173:
	v_cmp_ne_u32_e32 vcc_lo, 1, v0
	v_add_nc_u32_e32 v1, 0x80, v10
	s_cbranch_vccnz .LBB47_179
; %bb.174:
	v_mov_b32_e32 v2, 0
	s_cmp_eq_u32 s22, 0
	s_mov_b32 s8, 0
	s_cbranch_scc1 .LBB47_183
; %bb.175:
	s_min_u32 s9, s23, 15
	v_mov_b32_e32 v2, 0
	s_add_i32 s9, s9, 1
	s_cmp_eq_u32 s23, 2
	s_mov_b32 s10, 0
	s_cbranch_scc1 .LBB47_180
; %bb.176:
	v_dual_mov_b32 v2, 0 :: v_dual_mov_b32 v5, v1
	s_add_u32 s2, s0, 0xc4
	s_addc_u32 s3, s1, 0
	s_and_b32 s10, s9, 28
	s_mov_b32 s11, 0
	s_mov_b64 s[4:5], s[0:1]
.LBB47_177:                             ; =>This Inner Loop Header: Depth=1
	s_clause 0x1
	s_load_b256 s[12:19], s[4:5], 0x4
	s_load_b128 s[24:27], s[4:5], 0x24
	s_load_b128 s[28:31], s[2:3], 0x0
	s_add_u32 s4, s4, 48
	s_addc_u32 s5, s5, 0
	s_add_i32 s11, s11, 4
	s_add_u32 s2, s2, 16
	s_addc_u32 s3, s3, 0
	s_cmp_lg_u32 s10, s11
	s_waitcnt lgkmcnt(0)
	v_mul_hi_u32 v6, s13, v5
	s_delay_alu instid0(VALU_DEP_1) | instskip(NEXT) | instid1(VALU_DEP_1)
	v_add_nc_u32_e32 v6, v5, v6
	v_lshrrev_b32_e32 v6, s14, v6
	s_delay_alu instid0(VALU_DEP_1) | instskip(SKIP_1) | instid1(VALU_DEP_2)
	v_mul_hi_u32 v7, s16, v6
	v_mul_lo_u32 v11, v6, s12
	v_add_nc_u32_e32 v7, v6, v7
	s_delay_alu instid0(VALU_DEP_2) | instskip(NEXT) | instid1(VALU_DEP_2)
	v_sub_nc_u32_e32 v11, v5, v11
	v_lshrrev_b32_e32 v7, s17, v7
	s_delay_alu instid0(VALU_DEP_2) | instskip(NEXT) | instid1(VALU_DEP_2)
	v_mul_lo_u32 v11, v11, s28
	v_mul_hi_u32 v8, s19, v7
	v_mul_lo_u32 v12, v7, s15
	s_delay_alu instid0(VALU_DEP_2) | instskip(NEXT) | instid1(VALU_DEP_2)
	v_add_nc_u32_e32 v8, v7, v8
	v_sub_nc_u32_e32 v6, v6, v12
	s_delay_alu instid0(VALU_DEP_2) | instskip(NEXT) | instid1(VALU_DEP_2)
	v_lshrrev_b32_e32 v8, s24, v8
	v_mul_lo_u32 v6, v6, s29
	s_delay_alu instid0(VALU_DEP_2) | instskip(NEXT) | instid1(VALU_DEP_2)
	v_mul_hi_u32 v9, s26, v8
	v_add3_u32 v2, v11, v2, v6
	s_delay_alu instid0(VALU_DEP_2) | instskip(NEXT) | instid1(VALU_DEP_1)
	v_add_nc_u32_e32 v9, v8, v9
	v_lshrrev_b32_e32 v5, s27, v9
	v_mul_lo_u32 v9, v8, s18
	s_delay_alu instid0(VALU_DEP_2) | instskip(NEXT) | instid1(VALU_DEP_2)
	v_mul_lo_u32 v13, v5, s25
	v_sub_nc_u32_e32 v7, v7, v9
	s_delay_alu instid0(VALU_DEP_2) | instskip(NEXT) | instid1(VALU_DEP_2)
	v_sub_nc_u32_e32 v8, v8, v13
	v_mul_lo_u32 v7, v7, s30
	s_delay_alu instid0(VALU_DEP_2) | instskip(NEXT) | instid1(VALU_DEP_1)
	v_mul_lo_u32 v8, v8, s31
	v_add3_u32 v2, v7, v2, v8
	s_cbranch_scc1 .LBB47_177
; %bb.178:
	s_and_b32 s9, s9, 3
	s_delay_alu instid0(SALU_CYCLE_1)
	s_cmp_eq_u32 s9, 0
	s_cbranch_scc0 .LBB47_181
	s_branch .LBB47_183
.LBB47_179:
	s_mov_b32 s8, -1
                                        ; implicit-def: $vgpr2
	s_branch .LBB47_183
.LBB47_180:
	v_mov_b32_e32 v5, v1
	s_and_b32 s9, s9, 3
	s_delay_alu instid0(SALU_CYCLE_1)
	s_cmp_eq_u32 s9, 0
	s_cbranch_scc1 .LBB47_183
.LBB47_181:
	s_lshl_b32 s2, s10, 2
	s_mul_i32 s4, s10, 12
	s_add_u32 s2, s2, s0
	s_addc_u32 s3, 0, s1
	s_add_u32 s2, s2, 0xc4
	s_addc_u32 s3, s3, 0
	;; [unrolled: 2-line block ×3, first 2 shown]
	.p2align	6
.LBB47_182:                             ; =>This Inner Loop Header: Depth=1
	s_clause 0x1
	s_load_b64 s[10:11], s[4:5], 0x4
	s_load_b32 s12, s[4:5], 0xc
	s_add_u32 s4, s4, 12
	s_addc_u32 s5, s5, 0
	s_waitcnt lgkmcnt(0)
	v_mul_hi_u32 v6, s11, v5
	s_load_b32 s11, s[2:3], 0x0
	s_add_u32 s2, s2, 4
	s_addc_u32 s3, s3, 0
	s_add_i32 s9, s9, -1
	s_delay_alu instid0(SALU_CYCLE_1) | instskip(NEXT) | instid1(VALU_DEP_1)
	s_cmp_lg_u32 s9, 0
	v_add_nc_u32_e32 v6, v5, v6
	s_delay_alu instid0(VALU_DEP_1) | instskip(NEXT) | instid1(VALU_DEP_1)
	v_lshrrev_b32_e32 v8, s12, v6
	v_mul_lo_u32 v6, v8, s10
	s_delay_alu instid0(VALU_DEP_1) | instskip(SKIP_1) | instid1(VALU_DEP_1)
	v_sub_nc_u32_e32 v5, v5, v6
	s_waitcnt lgkmcnt(0)
	v_mad_u64_u32 v[6:7], null, v5, s11, v[2:3]
	s_delay_alu instid0(VALU_DEP_1)
	v_dual_mov_b32 v5, v8 :: v_dual_mov_b32 v2, v6
	s_cbranch_scc1 .LBB47_182
.LBB47_183:
	s_and_not1_b32 vcc_lo, exec_lo, s8
	s_cbranch_vccnz .LBB47_186
; %bb.184:
	s_clause 0x1
	s_load_b128 s[8:11], s[0:1], 0x4
	s_load_b32 s2, s[0:1], 0xc4
	s_cmp_lt_u32 s22, 2
	s_waitcnt lgkmcnt(0)
	v_mul_hi_u32 v2, s9, v1
	s_delay_alu instid0(VALU_DEP_1) | instskip(NEXT) | instid1(VALU_DEP_1)
	v_add_nc_u32_e32 v2, v1, v2
	v_lshrrev_b32_e32 v5, s10, v2
	s_delay_alu instid0(VALU_DEP_1) | instskip(NEXT) | instid1(VALU_DEP_1)
	v_mul_lo_u32 v2, v5, s8
	v_sub_nc_u32_e32 v1, v1, v2
	s_delay_alu instid0(VALU_DEP_1)
	v_mul_lo_u32 v2, v1, s2
	s_cbranch_scc1 .LBB47_186
; %bb.185:
	s_clause 0x1
	s_load_b128 s[8:11], s[0:1], 0x10
	s_load_b32 s2, s[0:1], 0xc8
	s_waitcnt lgkmcnt(0)
	v_mul_hi_u32 v1, s9, v5
	s_delay_alu instid0(VALU_DEP_1) | instskip(NEXT) | instid1(VALU_DEP_1)
	v_add_nc_u32_e32 v1, v5, v1
	v_lshrrev_b32_e32 v1, s10, v1
	s_delay_alu instid0(VALU_DEP_1) | instskip(NEXT) | instid1(VALU_DEP_1)
	v_mul_lo_u32 v1, v1, s8
	v_sub_nc_u32_e32 v1, v5, v1
	s_delay_alu instid0(VALU_DEP_1) | instskip(NEXT) | instid1(VALU_DEP_1)
	v_mad_u64_u32 v[5:6], null, v1, s2, v[2:3]
	v_mov_b32_e32 v2, v5
.LBB47_186:
	v_cmp_ne_u32_e32 vcc_lo, 1, v0
	v_add_nc_u32_e32 v5, 0x100, v10
	s_cbranch_vccnz .LBB47_192
; %bb.187:
	v_mov_b32_e32 v1, 0
	s_cmp_eq_u32 s22, 0
	s_mov_b32 s8, 0
	s_cbranch_scc1 .LBB47_196
; %bb.188:
	s_min_u32 s9, s23, 15
	v_mov_b32_e32 v1, 0
	s_add_i32 s9, s9, 1
	s_cmp_eq_u32 s23, 2
	s_mov_b32 s10, 0
	s_cbranch_scc1 .LBB47_193
; %bb.189:
	v_dual_mov_b32 v1, 0 :: v_dual_mov_b32 v6, v5
	s_add_u32 s2, s0, 0xc4
	s_addc_u32 s3, s1, 0
	s_and_b32 s10, s9, 28
	s_mov_b32 s11, 0
	s_mov_b64 s[4:5], s[0:1]
.LBB47_190:                             ; =>This Inner Loop Header: Depth=1
	s_clause 0x1
	s_load_b256 s[12:19], s[4:5], 0x4
	s_load_b128 s[24:27], s[4:5], 0x24
	s_load_b128 s[28:31], s[2:3], 0x0
	s_add_u32 s4, s4, 48
	s_addc_u32 s5, s5, 0
	s_add_i32 s11, s11, 4
	s_add_u32 s2, s2, 16
	s_addc_u32 s3, s3, 0
	s_cmp_lg_u32 s10, s11
	s_waitcnt lgkmcnt(0)
	v_mul_hi_u32 v7, s13, v6
	s_delay_alu instid0(VALU_DEP_1) | instskip(NEXT) | instid1(VALU_DEP_1)
	v_add_nc_u32_e32 v7, v6, v7
	v_lshrrev_b32_e32 v7, s14, v7
	s_delay_alu instid0(VALU_DEP_1) | instskip(SKIP_1) | instid1(VALU_DEP_2)
	v_mul_hi_u32 v8, s16, v7
	v_mul_lo_u32 v11, v7, s12
	v_add_nc_u32_e32 v8, v7, v8
	s_delay_alu instid0(VALU_DEP_2) | instskip(NEXT) | instid1(VALU_DEP_2)
	v_sub_nc_u32_e32 v11, v6, v11
	v_lshrrev_b32_e32 v8, s17, v8
	s_delay_alu instid0(VALU_DEP_2) | instskip(NEXT) | instid1(VALU_DEP_2)
	v_mul_lo_u32 v11, v11, s28
	v_mul_hi_u32 v9, s19, v8
	v_mul_lo_u32 v12, v8, s15
	s_delay_alu instid0(VALU_DEP_2) | instskip(NEXT) | instid1(VALU_DEP_2)
	v_add_nc_u32_e32 v9, v8, v9
	v_sub_nc_u32_e32 v7, v7, v12
	s_delay_alu instid0(VALU_DEP_2) | instskip(NEXT) | instid1(VALU_DEP_2)
	v_lshrrev_b32_e32 v9, s24, v9
	v_mul_lo_u32 v7, v7, s29
	s_delay_alu instid0(VALU_DEP_2) | instskip(NEXT) | instid1(VALU_DEP_2)
	v_mul_hi_u32 v10, s26, v9
	v_add3_u32 v1, v11, v1, v7
	s_delay_alu instid0(VALU_DEP_2) | instskip(NEXT) | instid1(VALU_DEP_1)
	v_add_nc_u32_e32 v10, v9, v10
	v_lshrrev_b32_e32 v6, s27, v10
	v_mul_lo_u32 v10, v9, s18
	s_delay_alu instid0(VALU_DEP_2) | instskip(NEXT) | instid1(VALU_DEP_2)
	v_mul_lo_u32 v13, v6, s25
	v_sub_nc_u32_e32 v8, v8, v10
	s_delay_alu instid0(VALU_DEP_2) | instskip(NEXT) | instid1(VALU_DEP_2)
	v_sub_nc_u32_e32 v9, v9, v13
	v_mul_lo_u32 v8, v8, s30
	s_delay_alu instid0(VALU_DEP_2) | instskip(NEXT) | instid1(VALU_DEP_1)
	v_mul_lo_u32 v9, v9, s31
	v_add3_u32 v1, v8, v1, v9
	s_cbranch_scc1 .LBB47_190
; %bb.191:
	s_and_b32 s9, s9, 3
	s_delay_alu instid0(SALU_CYCLE_1)
	s_cmp_eq_u32 s9, 0
	s_cbranch_scc0 .LBB47_194
	s_branch .LBB47_196
.LBB47_192:
	s_mov_b32 s8, -1
                                        ; implicit-def: $vgpr1
	s_branch .LBB47_196
.LBB47_193:
	v_mov_b32_e32 v6, v5
	s_and_b32 s9, s9, 3
	s_delay_alu instid0(SALU_CYCLE_1)
	s_cmp_eq_u32 s9, 0
	s_cbranch_scc1 .LBB47_196
.LBB47_194:
	s_lshl_b32 s2, s10, 2
	s_mul_i32 s4, s10, 12
	s_add_u32 s2, s2, s0
	s_addc_u32 s3, 0, s1
	s_add_u32 s2, s2, 0xc4
	s_addc_u32 s3, s3, 0
	;; [unrolled: 2-line block ×3, first 2 shown]
	.p2align	6
.LBB47_195:                             ; =>This Inner Loop Header: Depth=1
	s_clause 0x1
	s_load_b64 s[10:11], s[4:5], 0x4
	s_load_b32 s12, s[4:5], 0xc
	s_add_u32 s4, s4, 12
	s_addc_u32 s5, s5, 0
	s_waitcnt lgkmcnt(0)
	v_mul_hi_u32 v7, s11, v6
	s_load_b32 s11, s[2:3], 0x0
	s_add_u32 s2, s2, 4
	s_addc_u32 s3, s3, 0
	s_add_i32 s9, s9, -1
	s_delay_alu instid0(SALU_CYCLE_1) | instskip(NEXT) | instid1(VALU_DEP_1)
	s_cmp_lg_u32 s9, 0
	v_add_nc_u32_e32 v7, v6, v7
	s_delay_alu instid0(VALU_DEP_1) | instskip(NEXT) | instid1(VALU_DEP_1)
	v_lshrrev_b32_e32 v9, s12, v7
	v_mul_lo_u32 v7, v9, s10
	s_delay_alu instid0(VALU_DEP_1) | instskip(SKIP_1) | instid1(VALU_DEP_1)
	v_sub_nc_u32_e32 v6, v6, v7
	s_waitcnt lgkmcnt(0)
	v_mad_u64_u32 v[7:8], null, v6, s11, v[1:2]
	s_delay_alu instid0(VALU_DEP_1)
	v_dual_mov_b32 v6, v9 :: v_dual_mov_b32 v1, v7
	s_cbranch_scc1 .LBB47_195
.LBB47_196:
	s_and_not1_b32 vcc_lo, exec_lo, s8
	s_cbranch_vccnz .LBB47_199
; %bb.197:
	s_clause 0x1
	s_load_b128 s[8:11], s[0:1], 0x4
	s_load_b32 s2, s[0:1], 0xc4
	s_cmp_lt_u32 s22, 2
	s_waitcnt lgkmcnt(0)
	v_mul_hi_u32 v1, s9, v5
	s_delay_alu instid0(VALU_DEP_1) | instskip(NEXT) | instid1(VALU_DEP_1)
	v_add_nc_u32_e32 v1, v5, v1
	v_lshrrev_b32_e32 v6, s10, v1
	s_delay_alu instid0(VALU_DEP_1) | instskip(NEXT) | instid1(VALU_DEP_1)
	v_mul_lo_u32 v1, v6, s8
	v_sub_nc_u32_e32 v1, v5, v1
	s_delay_alu instid0(VALU_DEP_1)
	v_mul_lo_u32 v1, v1, s2
	s_cbranch_scc1 .LBB47_199
; %bb.198:
	s_clause 0x1
	s_load_b128 s[8:11], s[0:1], 0x10
	s_load_b32 s2, s[0:1], 0xc8
	s_waitcnt lgkmcnt(0)
	v_mul_hi_u32 v5, s9, v6
	s_delay_alu instid0(VALU_DEP_1) | instskip(NEXT) | instid1(VALU_DEP_1)
	v_add_nc_u32_e32 v5, v6, v5
	v_lshrrev_b32_e32 v5, s10, v5
	s_delay_alu instid0(VALU_DEP_1) | instskip(NEXT) | instid1(VALU_DEP_1)
	v_mul_lo_u32 v5, v5, s8
	v_sub_nc_u32_e32 v7, v6, v5
	s_delay_alu instid0(VALU_DEP_1) | instskip(NEXT) | instid1(VALU_DEP_1)
	v_mad_u64_u32 v[5:6], null, v7, s2, v[1:2]
	v_mov_b32_e32 v1, v5
.LBB47_199:
	v_cmp_ne_u32_e32 vcc_lo, 1, v0
	s_cbranch_vccnz .LBB47_205
; %bb.200:
	v_mov_b32_e32 v0, 0
	s_cmp_eq_u32 s22, 0
	s_mov_b32 s8, 0
	s_cbranch_scc1 .LBB47_209
; %bb.201:
	s_min_u32 s9, s23, 15
	v_mov_b32_e32 v0, 0
	s_add_i32 s9, s9, 1
	s_cmp_eq_u32 s23, 2
	s_mov_b32 s10, 0
	s_cbranch_scc1 .LBB47_206
; %bb.202:
	v_dual_mov_b32 v0, 0 :: v_dual_mov_b32 v5, v4
	s_add_u32 s2, s0, 0xc4
	s_addc_u32 s3, s1, 0
	s_and_b32 s10, s9, 28
	s_mov_b32 s11, 0
	s_mov_b64 s[4:5], s[0:1]
.LBB47_203:                             ; =>This Inner Loop Header: Depth=1
	s_clause 0x1
	s_load_b256 s[12:19], s[4:5], 0x4
	s_load_b128 s[24:27], s[4:5], 0x24
	s_load_b128 s[28:31], s[2:3], 0x0
	s_add_u32 s4, s4, 48
	s_addc_u32 s5, s5, 0
	s_add_i32 s11, s11, 4
	s_add_u32 s2, s2, 16
	s_addc_u32 s3, s3, 0
	s_cmp_lg_u32 s10, s11
	s_waitcnt lgkmcnt(0)
	v_mul_hi_u32 v6, s13, v5
	s_delay_alu instid0(VALU_DEP_1) | instskip(NEXT) | instid1(VALU_DEP_1)
	v_add_nc_u32_e32 v6, v5, v6
	v_lshrrev_b32_e32 v6, s14, v6
	s_delay_alu instid0(VALU_DEP_1) | instskip(SKIP_1) | instid1(VALU_DEP_2)
	v_mul_hi_u32 v7, s16, v6
	v_mul_lo_u32 v10, v6, s12
	v_add_nc_u32_e32 v7, v6, v7
	s_delay_alu instid0(VALU_DEP_2) | instskip(NEXT) | instid1(VALU_DEP_2)
	v_sub_nc_u32_e32 v10, v5, v10
	v_lshrrev_b32_e32 v7, s17, v7
	s_delay_alu instid0(VALU_DEP_2) | instskip(NEXT) | instid1(VALU_DEP_2)
	v_mul_lo_u32 v10, v10, s28
	v_mul_hi_u32 v8, s19, v7
	v_mul_lo_u32 v11, v7, s15
	s_delay_alu instid0(VALU_DEP_2) | instskip(NEXT) | instid1(VALU_DEP_2)
	v_add_nc_u32_e32 v8, v7, v8
	v_sub_nc_u32_e32 v6, v6, v11
	s_delay_alu instid0(VALU_DEP_2) | instskip(NEXT) | instid1(VALU_DEP_2)
	v_lshrrev_b32_e32 v8, s24, v8
	v_mul_lo_u32 v6, v6, s29
	s_delay_alu instid0(VALU_DEP_2) | instskip(NEXT) | instid1(VALU_DEP_2)
	v_mul_hi_u32 v9, s26, v8
	v_add3_u32 v0, v10, v0, v6
	s_delay_alu instid0(VALU_DEP_2) | instskip(NEXT) | instid1(VALU_DEP_1)
	v_add_nc_u32_e32 v9, v8, v9
	v_lshrrev_b32_e32 v5, s27, v9
	v_mul_lo_u32 v9, v8, s18
	s_delay_alu instid0(VALU_DEP_2) | instskip(NEXT) | instid1(VALU_DEP_2)
	v_mul_lo_u32 v12, v5, s25
	v_sub_nc_u32_e32 v7, v7, v9
	s_delay_alu instid0(VALU_DEP_2) | instskip(NEXT) | instid1(VALU_DEP_2)
	v_sub_nc_u32_e32 v8, v8, v12
	v_mul_lo_u32 v7, v7, s30
	s_delay_alu instid0(VALU_DEP_2) | instskip(NEXT) | instid1(VALU_DEP_1)
	v_mul_lo_u32 v8, v8, s31
	v_add3_u32 v0, v7, v0, v8
	s_cbranch_scc1 .LBB47_203
; %bb.204:
	s_and_b32 s9, s9, 3
	s_delay_alu instid0(SALU_CYCLE_1)
	s_cmp_eq_u32 s9, 0
	s_cbranch_scc0 .LBB47_207
	s_branch .LBB47_209
.LBB47_205:
	s_mov_b32 s8, -1
                                        ; implicit-def: $vgpr0
	s_branch .LBB47_209
.LBB47_206:
	v_mov_b32_e32 v5, v4
	s_and_b32 s9, s9, 3
	s_delay_alu instid0(SALU_CYCLE_1)
	s_cmp_eq_u32 s9, 0
	s_cbranch_scc1 .LBB47_209
.LBB47_207:
	s_lshl_b32 s2, s10, 2
	s_mul_i32 s4, s10, 12
	s_add_u32 s2, s2, s0
	s_addc_u32 s3, 0, s1
	s_add_u32 s2, s2, 0xc4
	s_addc_u32 s3, s3, 0
	;; [unrolled: 2-line block ×3, first 2 shown]
	.p2align	6
.LBB47_208:                             ; =>This Inner Loop Header: Depth=1
	s_clause 0x1
	s_load_b64 s[10:11], s[4:5], 0x4
	s_load_b32 s12, s[4:5], 0xc
	s_add_u32 s4, s4, 12
	s_addc_u32 s5, s5, 0
	s_waitcnt lgkmcnt(0)
	v_mul_hi_u32 v6, s11, v5
	s_load_b32 s11, s[2:3], 0x0
	s_add_u32 s2, s2, 4
	s_addc_u32 s3, s3, 0
	s_add_i32 s9, s9, -1
	s_delay_alu instid0(SALU_CYCLE_1) | instskip(NEXT) | instid1(VALU_DEP_1)
	s_cmp_lg_u32 s9, 0
	v_add_nc_u32_e32 v6, v5, v6
	s_delay_alu instid0(VALU_DEP_1) | instskip(NEXT) | instid1(VALU_DEP_1)
	v_lshrrev_b32_e32 v8, s12, v6
	v_mul_lo_u32 v6, v8, s10
	s_delay_alu instid0(VALU_DEP_1) | instskip(SKIP_1) | instid1(VALU_DEP_1)
	v_sub_nc_u32_e32 v5, v5, v6
	s_waitcnt lgkmcnt(0)
	v_mad_u64_u32 v[6:7], null, v5, s11, v[0:1]
	s_delay_alu instid0(VALU_DEP_1)
	v_dual_mov_b32 v5, v8 :: v_dual_mov_b32 v0, v6
	s_cbranch_scc1 .LBB47_208
.LBB47_209:
	s_and_not1_b32 vcc_lo, exec_lo, s8
	s_cbranch_vccnz .LBB47_212
; %bb.210:
	s_clause 0x1
	s_load_b128 s[8:11], s[0:1], 0x4
	s_load_b32 s2, s[0:1], 0xc4
	s_cmp_lt_u32 s22, 2
	s_waitcnt lgkmcnt(0)
	v_mul_hi_u32 v0, s9, v4
	s_delay_alu instid0(VALU_DEP_1) | instskip(NEXT) | instid1(VALU_DEP_1)
	v_add_nc_u32_e32 v0, v4, v0
	v_lshrrev_b32_e32 v5, s10, v0
	s_delay_alu instid0(VALU_DEP_1) | instskip(NEXT) | instid1(VALU_DEP_1)
	v_mul_lo_u32 v0, v5, s8
	v_sub_nc_u32_e32 v0, v4, v0
	s_delay_alu instid0(VALU_DEP_1)
	v_mul_lo_u32 v0, v0, s2
	s_cbranch_scc1 .LBB47_212
; %bb.211:
	s_clause 0x1
	s_load_b128 s[8:11], s[0:1], 0x10
	s_load_b32 s2, s[0:1], 0xc8
	s_waitcnt lgkmcnt(0)
	v_mul_hi_u32 v4, s9, v5
	s_delay_alu instid0(VALU_DEP_1) | instskip(NEXT) | instid1(VALU_DEP_1)
	v_add_nc_u32_e32 v4, v5, v4
	v_lshrrev_b32_e32 v4, s10, v4
	s_delay_alu instid0(VALU_DEP_1) | instskip(NEXT) | instid1(VALU_DEP_1)
	v_mul_lo_u32 v4, v4, s8
	v_sub_nc_u32_e32 v6, v5, v4
	s_delay_alu instid0(VALU_DEP_1) | instskip(NEXT) | instid1(VALU_DEP_1)
	v_mad_u64_u32 v[4:5], null, v6, s2, v[0:1]
	v_mov_b32_e32 v0, v4
.LBB47_212:
	s_clause 0x1
	s_load_b32 s4, s[0:1], 0x118
	s_load_b128 s[0:3], s[0:1], 0x108
	s_mov_b32 s9, 0
	s_waitcnt lgkmcnt(0)
	s_and_b32 s4, s4, 0xff
	v_add_co_u32 v3, s8, s0, v3
	v_cmp_lt_i16_e64 s5, s4, 11
	v_add_co_ci_u32_e64 v4, null, s1, 0, s8
	s_mov_b32 s8, -1
	s_delay_alu instid0(VALU_DEP_2)
	s_and_b32 vcc_lo, exec_lo, s5
	s_mov_b32 s5, s6
	s_cbranch_vccnz .LBB47_473
; %bb.213:
	v_cmp_gt_i16_e64 s5, s4, 25
	s_mov_b32 s10, -1
	s_mov_b32 s8, 0
	s_delay_alu instid0(VALU_DEP_1)
	s_and_b32 vcc_lo, exec_lo, s5
	s_mov_b32 s5, 0
	s_cbranch_vccz .LBB47_308
; %bb.214:
	v_cmp_gt_i16_e64 s5, s4, 28
	s_delay_alu instid0(VALU_DEP_1)
	s_and_b32 vcc_lo, exec_lo, s5
	s_cbranch_vccz .LBB47_220
; %bb.215:
	v_cmp_gt_i16_e64 s5, s4, 43
	s_delay_alu instid0(VALU_DEP_1)
	s_and_b32 vcc_lo, exec_lo, s5
	;; [unrolled: 5-line block ×3, first 2 shown]
	s_cbranch_vccz .LBB47_278
; %bb.217:
	v_cmp_eq_u16_e64 s9, s4, 46
	s_mov_b32 s5, -1
	s_mov_b32 s10, 0
	s_delay_alu instid0(VALU_DEP_1)
	s_and_b32 vcc_lo, exec_lo, s9
	s_mov_b32 s9, 0
	s_cbranch_vccz .LBB47_279
; %bb.218:
	v_cvt_f32_f64_e32 v5, s[2:3]
	s_mov_b32 s5, 0
	s_mov_b32 s9, -1
	s_delay_alu instid0(VALU_DEP_1) | instskip(SKIP_1) | instid1(VALU_DEP_2)
	v_bfe_u32 v6, v5, 16, 1
	v_cmp_o_f32_e32 vcc_lo, v5, v5
	v_add_nc_u32_e32 v6, v5, v6
	s_delay_alu instid0(VALU_DEP_1) | instskip(NEXT) | instid1(VALU_DEP_1)
	v_add_nc_u32_e32 v6, 0x7fff, v6
	v_lshrrev_b32_e32 v6, 16, v6
	s_delay_alu instid0(VALU_DEP_1)
	v_cndmask_b32_e32 v5, 0x7fc0, v6, vcc_lo
	global_store_b32 v[3:4], v5, off
	s_branch .LBB47_279
.LBB47_219:
                                        ; implicit-def: $vgpr3
	s_branch .LBB47_227
.LBB47_220:
	s_mov_b32 s5, 0
	s_branch .LBB47_288
.LBB47_221:
	s_mov_b32 s5, 0
	s_and_b32 vcc_lo, exec_lo, s10
	s_cbranch_vccnz .LBB47_285
	s_branch .LBB47_287
.LBB47_222:
	v_mov_b32_e32 v6, v10
.LBB47_223:
	s_and_b32 s54, s54, 3
	s_delay_alu instid0(SALU_CYCLE_1)
	s_cmp_eq_u32 s54, 0
	s_cbranch_scc1 .LBB47_226
; %bb.224:
	s_lshl_b32 s18, s52, 2
	s_mul_i32 s20, s52, 12
	s_add_u32 s18, s18, s0
	s_addc_u32 s19, s1, 0
	s_add_u32 s18, s18, 0xc4
	s_addc_u32 s19, s19, 0
	;; [unrolled: 2-line block ×3, first 2 shown]
	.p2align	6
.LBB47_225:                             ; =>This Inner Loop Header: Depth=1
	s_clause 0x1
	s_load_b64 s[56:57], s[20:21], 0x4
	s_load_b32 s52, s[20:21], 0xc
	s_load_b32 s55, s[18:19], 0x0
	s_add_u32 s20, s20, 12
	s_addc_u32 s21, s21, 0
	s_add_u32 s18, s18, 4
	s_addc_u32 s19, s19, 0
	s_add_i32 s54, s54, -1
	s_delay_alu instid0(SALU_CYCLE_1) | instskip(SKIP_2) | instid1(VALU_DEP_1)
	s_cmp_lg_u32 s54, 0
	s_waitcnt lgkmcnt(0)
	v_mul_hi_u32 v7, s57, v6
	v_add_nc_u32_e32 v7, v6, v7
	s_delay_alu instid0(VALU_DEP_1) | instskip(NEXT) | instid1(VALU_DEP_1)
	v_lshrrev_b32_e32 v7, s52, v7
	v_mul_lo_u32 v19, v7, s56
	s_delay_alu instid0(VALU_DEP_1) | instskip(NEXT) | instid1(VALU_DEP_1)
	v_sub_nc_u32_e32 v6, v6, v19
	v_mad_u64_u32 v[19:20], null, v6, s55, v[3:4]
	v_mov_b32_e32 v6, v7
	s_delay_alu instid0(VALU_DEP_2)
	v_mov_b32_e32 v3, v19
	s_cbranch_scc1 .LBB47_225
.LBB47_226:
	s_cbranch_execnz .LBB47_229
.LBB47_227:
	v_mul_hi_u32 v3, s9, v10
	s_and_not1_b32 vcc_lo, exec_lo, s46
	s_delay_alu instid0(VALU_DEP_1) | instskip(NEXT) | instid1(VALU_DEP_1)
	v_add_nc_u32_e32 v3, v10, v3
	v_lshrrev_b32_e32 v6, s10, v3
	s_delay_alu instid0(VALU_DEP_1) | instskip(NEXT) | instid1(VALU_DEP_1)
	v_mul_lo_u32 v3, v6, s8
	v_sub_nc_u32_e32 v3, v10, v3
	s_delay_alu instid0(VALU_DEP_1)
	v_mul_lo_u32 v3, v3, s12
	s_cbranch_vccnz .LBB47_229
; %bb.228:
	v_mul_hi_u32 v7, s14, v6
	s_delay_alu instid0(VALU_DEP_1) | instskip(NEXT) | instid1(VALU_DEP_1)
	v_add_nc_u32_e32 v7, v6, v7
	v_lshrrev_b32_e32 v7, s15, v7
	s_delay_alu instid0(VALU_DEP_1) | instskip(NEXT) | instid1(VALU_DEP_1)
	v_mul_lo_u32 v7, v7, s11
	v_sub_nc_u32_e32 v19, v6, v7
	s_delay_alu instid0(VALU_DEP_1) | instskip(NEXT) | instid1(VALU_DEP_1)
	v_mad_u64_u32 v[6:7], null, v19, s13, v[3:4]
	v_mov_b32_e32 v3, v6
.LBB47_229:
	v_and_b32_e64 v19, 0xff, s45
	s_delay_alu instid0(VALU_DEP_2) | instskip(NEXT) | instid1(VALU_DEP_1)
	v_add_co_u32 v6, s18, s4, v3
	v_add_co_ci_u32_e64 v7, null, s5, 0, s18
	s_delay_alu instid0(VALU_DEP_3)
	v_cmp_gt_i16_e32 vcc_lo, 11, v19
	s_mov_b32 s19, 0
	s_mov_b32 s20, -1
	s_mov_b32 s18, s50
	s_cbranch_vccnz .LBB47_236
; %bb.230:
	v_cmp_lt_i16_e32 vcc_lo, 25, v19
	s_cbranch_vccz .LBB47_276
; %bb.231:
	v_cmp_lt_i16_e32 vcc_lo, 28, v19
	s_cbranch_vccz .LBB47_277
	;; [unrolled: 3-line block ×4, first 2 shown]
; %bb.234:
	v_cmp_eq_u16_e32 vcc_lo, 46, v19
	s_mov_b32 s20, 0
	s_mov_b32 s18, -1
	s_cbranch_vccz .LBB47_316
; %bb.235:
	s_mov_b32 s19, -1
	s_mov_b32 s18, 0
	global_store_b32 v[6:7], v14, off
	s_branch .LBB47_316
.LBB47_236:
	s_and_b32 vcc_lo, exec_lo, s20
	s_cbranch_vccz .LBB47_361
; %bb.237:
	v_cmp_gt_i16_e32 vcc_lo, 5, v19
	s_mov_b32 s19, -1
	s_cbranch_vccnz .LBB47_258
; %bb.238:
	v_cmp_gt_i16_e32 vcc_lo, 8, v19
	s_cbranch_vccnz .LBB47_248
; %bb.239:
	v_cmp_gt_i16_e32 vcc_lo, 9, v19
	s_cbranch_vccnz .LBB47_245
; %bb.240:
	v_cmp_lt_i16_e32 vcc_lo, 9, v19
	s_cbranch_vccz .LBB47_242
; %bb.241:
	v_dual_mov_b32 v22, 0 :: v_dual_mov_b32 v21, s7
	v_mov_b32_e32 v20, s6
	s_mov_b32 s19, 0
	s_delay_alu instid0(VALU_DEP_2)
	v_mov_b32_e32 v23, v22
	global_store_b128 v[6:7], v[20:23], off
.LBB47_242:
	s_and_not1_b32 vcc_lo, exec_lo, s19
	s_cbranch_vccnz .LBB47_244
; %bb.243:
	v_mov_b32_e32 v3, 0
	global_store_b64 v[6:7], v[2:3], off
.LBB47_244:
	s_mov_b32 s19, 0
.LBB47_245:
	s_delay_alu instid0(SALU_CYCLE_1)
	s_and_not1_b32 vcc_lo, exec_lo, s19
	s_cbranch_vccnz .LBB47_247
; %bb.246:
	global_store_b32 v[6:7], v11, off
.LBB47_247:
	s_mov_b32 s19, 0
.LBB47_248:
	s_delay_alu instid0(SALU_CYCLE_1)
	s_and_not1_b32 vcc_lo, exec_lo, s19
	s_cbranch_vccnz .LBB47_257
; %bb.249:
	v_cmp_gt_i16_e32 vcc_lo, 6, v19
	s_mov_b32 s19, -1
	s_cbranch_vccnz .LBB47_255
; %bb.250:
	v_cmp_lt_i16_e32 vcc_lo, 6, v19
	s_cbranch_vccz .LBB47_252
; %bb.251:
	v_dual_mov_b32 v21, s7 :: v_dual_mov_b32 v20, s6
	s_mov_b32 s19, 0
	global_store_b64 v[6:7], v[20:21], off
.LBB47_252:
	s_and_not1_b32 vcc_lo, exec_lo, s19
	s_cbranch_vccnz .LBB47_254
; %bb.253:
	global_store_b32 v[6:7], v2, off
.LBB47_254:
	s_mov_b32 s19, 0
.LBB47_255:
	s_delay_alu instid0(SALU_CYCLE_1)
	s_and_not1_b32 vcc_lo, exec_lo, s19
	s_cbranch_vccnz .LBB47_257
; %bb.256:
	global_store_b16 v[6:7], v9, off
.LBB47_257:
	s_mov_b32 s19, 0
.LBB47_258:
	s_delay_alu instid0(SALU_CYCLE_1)
	s_and_not1_b32 vcc_lo, exec_lo, s19
	s_cbranch_vccnz .LBB47_274
; %bb.259:
	v_cmp_gt_i16_e32 vcc_lo, 2, v19
	s_mov_b32 s19, -1
	s_cbranch_vccnz .LBB47_269
; %bb.260:
	v_cmp_gt_i16_e32 vcc_lo, 3, v19
	s_cbranch_vccnz .LBB47_266
; %bb.261:
	v_cmp_lt_i16_e32 vcc_lo, 3, v19
	s_cbranch_vccz .LBB47_263
; %bb.262:
	s_mov_b32 s19, 0
	global_store_b64 v[6:7], v[4:5], off
.LBB47_263:
	s_and_not1_b32 vcc_lo, exec_lo, s19
	s_cbranch_vccnz .LBB47_265
; %bb.264:
	global_store_b32 v[6:7], v8, off
.LBB47_265:
	s_mov_b32 s19, 0
.LBB47_266:
	s_delay_alu instid0(SALU_CYCLE_1)
	s_and_not1_b32 vcc_lo, exec_lo, s19
	s_cbranch_vccnz .LBB47_268
; %bb.267:
	global_store_b16 v[6:7], v8, off
.LBB47_268:
	s_mov_b32 s19, 0
.LBB47_269:
	s_delay_alu instid0(SALU_CYCLE_1)
	s_and_not1_b32 vcc_lo, exec_lo, s19
	s_cbranch_vccnz .LBB47_274
; %bb.270:
	v_cmp_lt_i16_e32 vcc_lo, 0, v19
	s_mov_b32 s19, -1
	s_cbranch_vccz .LBB47_272
; %bb.271:
	s_mov_b32 s19, 0
	global_store_b8 v[6:7], v8, off
.LBB47_272:
	s_and_not1_b32 vcc_lo, exec_lo, s19
	s_cbranch_vccnz .LBB47_274
; %bb.273:
	global_store_b8 v[6:7], v0, off
.LBB47_274:
	s_branch .LBB47_362
.LBB47_275:
	s_mov_b32 s19, 0
                                        ; implicit-def: $vgpr10
	s_branch .LBB47_363
.LBB47_276:
	s_mov_b32 s18, s50
	s_branch .LBB47_338
.LBB47_277:
	s_mov_b32 s18, s50
	s_branch .LBB47_324
.LBB47_278:
	s_mov_b32 s5, 0
.LBB47_279:
	s_and_b32 vcc_lo, exec_lo, s10
	s_cbranch_vccz .LBB47_284
; %bb.280:
	v_cmp_eq_u16_e64 s5, s4, 44
	s_delay_alu instid0(VALU_DEP_1)
	s_and_b32 vcc_lo, exec_lo, s5
	s_mov_b32 s5, -1
	s_cbranch_vccz .LBB47_284
; %bb.281:
	v_cvt_f32_f64_e32 v5, s[2:3]
	v_mov_b32_e32 v6, 0xff
	s_delay_alu instid0(VALU_DEP_2) | instskip(NEXT) | instid1(VALU_DEP_1)
	v_readfirstlane_b32 s5, v5
	s_bfe_u32 s9, s5, 0x80017
	s_delay_alu instid0(SALU_CYCLE_1)
	s_cmpk_eq_i32 s9, 0xff
	s_cbranch_scc1 .LBB47_283
; %bb.282:
	s_bitcmp1_b32 s5, 22
	v_lshrrev_b32_e32 v5, 23, v5
	s_cselect_b32 s10, -1, 0
	s_and_b32 s5, s5, 0x3fffff
	s_delay_alu instid0(SALU_CYCLE_1) | instskip(NEXT) | instid1(SALU_CYCLE_1)
	s_or_b32 s5, s9, s5
	s_cmp_lg_u32 s5, 0
	s_cselect_b32 s5, -1, 0
	s_delay_alu instid0(SALU_CYCLE_1) | instskip(NEXT) | instid1(SALU_CYCLE_1)
	s_and_b32 s5, s10, s5
	v_cndmask_b32_e64 v6, 0, 1, s5
	s_delay_alu instid0(VALU_DEP_1)
	v_add_nc_u32_e32 v6, v5, v6
.LBB47_283:
	s_mov_b32 s5, 0
	s_mov_b32 s9, -1
	global_store_b8 v[3:4], v6, off
.LBB47_284:
	s_branch .LBB47_287
.LBB47_285:
	v_cmp_eq_u16_e64 s5, s4, 29
	s_delay_alu instid0(VALU_DEP_1)
	s_and_b32 vcc_lo, exec_lo, s5
	s_mov_b32 s5, -1
	s_cbranch_vccz .LBB47_287
; %bb.286:
	v_trunc_f64_e32 v[5:6], s[2:3]
	s_mov_b32 s5, 0
	s_mov_b32 s9, -1
	s_mov_b32 s10, 0
	s_delay_alu instid0(VALU_DEP_1) | instskip(NEXT) | instid1(VALU_DEP_1)
	v_ldexp_f64 v[7:8], v[5:6], 0xffffffe0
	v_floor_f64_e32 v[7:8], v[7:8]
	s_delay_alu instid0(VALU_DEP_1) | instskip(SKIP_1) | instid1(VALU_DEP_2)
	v_fma_f64 v[5:6], 0xc1f00000, v[7:8], v[5:6]
	v_cvt_u32_f64_e32 v7, v[7:8]
	v_cvt_u32_f64_e32 v6, v[5:6]
	global_store_b64 v[3:4], v[6:7], off
	s_branch .LBB47_288
.LBB47_287:
	s_mov_b32 s10, 0
.LBB47_288:
	s_delay_alu instid0(SALU_CYCLE_1)
	s_and_b32 vcc_lo, exec_lo, s10
	s_cbranch_vccz .LBB47_307
; %bb.289:
	v_cmp_lt_i16_e64 s9, s4, 27
	s_delay_alu instid0(VALU_DEP_1)
	s_and_b32 vcc_lo, exec_lo, s9
	s_mov_b32 s9, -1
	s_cbranch_vccnz .LBB47_295
; %bb.290:
	v_cmp_gt_i16_e64 s9, s4, 27
	s_delay_alu instid0(VALU_DEP_1)
	s_and_b32 vcc_lo, exec_lo, s9
	s_mov_b32 s9, -1
	s_cbranch_vccz .LBB47_292
; %bb.291:
	v_cvt_u32_f64_e32 v5, s[2:3]
	s_mov_b32 s9, 0
	global_store_b32 v[3:4], v5, off
.LBB47_292:
	s_and_not1_b32 vcc_lo, exec_lo, s9
	s_cbranch_vccnz .LBB47_294
; %bb.293:
	v_cvt_u32_f64_e32 v5, s[2:3]
	global_store_b16 v[3:4], v5, off
.LBB47_294:
	s_mov_b32 s9, 0
.LBB47_295:
	s_delay_alu instid0(SALU_CYCLE_1)
	s_and_not1_b32 vcc_lo, exec_lo, s9
	s_cbranch_vccnz .LBB47_306
; %bb.296:
	v_cvt_f32_f64_e32 v5, s[2:3]
	v_mov_b32_e32 v6, 0x80
	s_delay_alu instid0(VALU_DEP_2) | instskip(NEXT) | instid1(VALU_DEP_1)
	v_readfirstlane_b32 s9, v5
	s_and_b32 s10, s9, 0x7fffffff
	s_delay_alu instid0(SALU_CYCLE_1)
	s_cmp_gt_u32 s10, 0x437fffff
	s_cbranch_scc1 .LBB47_305
; %bb.297:
	s_cmp_gt_u32 s10, 0x3bffffff
	s_cbranch_scc0 .LBB47_300
; %bb.298:
	s_bfe_u32 s10, s9, 0x10014
	s_mov_b32 s11, 0
	s_add_i32 s10, s9, s10
	s_delay_alu instid0(SALU_CYCLE_1) | instskip(NEXT) | instid1(SALU_CYCLE_1)
	s_add_i32 s10, s10, 0x487ffff
	s_lshr_b32 s12, s10, 20
	s_mov_b32 s10, -1
	s_branch .LBB47_301
.LBB47_299:
	s_mov_b32 s18, s50
	s_branch .LBB47_320
.LBB47_300:
	s_mov_b32 s11, -1
	s_mov_b32 s10, 0
                                        ; implicit-def: $sgpr12
.LBB47_301:
	v_mov_b32_e32 v5, s12
	s_and_not1_b32 vcc_lo, exec_lo, s11
                                        ; implicit-def: $sgpr11
	s_cbranch_vccnz .LBB47_303
; %bb.302:
	v_add_f32_e64 v5, 0x46000000, |s9|
	s_mov_b32 s11, 0
	s_delay_alu instid0(VALU_DEP_1) | instskip(NEXT) | instid1(VALU_DEP_1)
	v_and_b32_e32 v5, 0xff, v5
	v_cmp_ne_u32_e64 s10, 0, v5
.LBB47_303:
	v_mov_b32_e32 v6, s11
	s_delay_alu instid0(VALU_DEP_2)
	s_and_not1_b32 vcc_lo, exec_lo, s10
	s_cbranch_vccnz .LBB47_305
; %bb.304:
	s_lshr_b32 s9, s9, 24
	s_delay_alu instid0(SALU_CYCLE_1) | instskip(NEXT) | instid1(SALU_CYCLE_1)
	s_and_b32 s9, s9, 0x80
	v_or_b32_e32 v6, s9, v5
.LBB47_305:
	global_store_b8 v[3:4], v6, off
.LBB47_306:
	s_mov_b32 s9, -1
.LBB47_307:
	s_mov_b32 s10, 0
.LBB47_308:
	s_delay_alu instid0(SALU_CYCLE_1)
	s_and_b32 vcc_lo, exec_lo, s10
	s_cbranch_vccz .LBB47_469
; %bb.309:
	v_cmp_gt_i16_e64 s8, s4, 22
	s_delay_alu instid0(VALU_DEP_1)
	s_and_b32 vcc_lo, exec_lo, s8
	s_mov_b32 s8, -1
	s_cbranch_vccz .LBB47_462
; %bb.310:
	v_cmp_lt_i16_e64 s8, s4, 24
	s_delay_alu instid0(VALU_DEP_1)
	s_and_b32 vcc_lo, exec_lo, s8
	s_mov_b32 s8, -1
	s_cbranch_vccnz .LBB47_449
; %bb.311:
	v_cmp_gt_i16_e64 s8, s4, 24
	s_delay_alu instid0(VALU_DEP_1)
	s_and_b32 vcc_lo, exec_lo, s8
	s_mov_b32 s8, -1
	s_cbranch_vccz .LBB47_436
; %bb.312:
	v_cvt_f32_f64_e32 v5, s[2:3]
	v_mov_b32_e32 v6, 0x80
	s_delay_alu instid0(VALU_DEP_2) | instskip(NEXT) | instid1(VALU_DEP_1)
	v_readfirstlane_b32 s8, v5
	s_and_b32 s9, s8, 0x7fffffff
	s_delay_alu instid0(SALU_CYCLE_1)
	s_cmp_gt_u32 s9, 0x477fffff
	s_cbranch_scc1 .LBB47_435
; %bb.313:
	s_cmp_gt_u32 s9, 0x37ffffff
	s_cbranch_scc0 .LBB47_430
; %bb.314:
	s_bfe_u32 s9, s8, 0x10015
	s_mov_b32 s10, 0
	s_add_i32 s9, s8, s9
	s_delay_alu instid0(SALU_CYCLE_1) | instskip(NEXT) | instid1(SALU_CYCLE_1)
	s_add_i32 s9, s9, 0x88fffff
	s_lshr_b32 s11, s9, 21
	s_mov_b32 s9, -1
	s_branch .LBB47_431
.LBB47_315:
	s_mov_b32 s18, s50
.LBB47_316:
	s_and_b32 vcc_lo, exec_lo, s20
	s_cbranch_vccz .LBB47_319
; %bb.317:
	v_cmp_eq_u16_e32 vcc_lo, 44, v19
	s_mov_b32 s18, -1
	s_cbranch_vccz .LBB47_319
; %bb.318:
	v_cndmask_b32_e64 v3, v18, 0xff, s2
	s_mov_b32 s19, -1
	s_mov_b32 s18, 0
	global_store_b8 v[6:7], v3, off
.LBB47_319:
	s_mov_b32 s20, 0
.LBB47_320:
	s_delay_alu instid0(SALU_CYCLE_1)
	s_and_b32 vcc_lo, exec_lo, s20
	s_cbranch_vccz .LBB47_323
; %bb.321:
	v_cmp_eq_u16_e32 vcc_lo, 29, v19
	s_mov_b32 s18, -1
	s_cbranch_vccz .LBB47_323
; %bb.322:
	s_mov_b32 s19, -1
	s_mov_b32 s18, 0
	global_store_b64 v[6:7], v[0:1], off
.LBB47_323:
	s_mov_b32 s20, 0
.LBB47_324:
	s_delay_alu instid0(SALU_CYCLE_1)
	s_and_b32 vcc_lo, exec_lo, s20
	s_cbranch_vccz .LBB47_337
; %bb.325:
	v_cmp_gt_i16_e32 vcc_lo, 27, v19
	s_mov_b32 s19, -1
	s_cbranch_vccnz .LBB47_331
; %bb.326:
	v_cmp_lt_i16_e32 vcc_lo, 27, v19
	s_cbranch_vccz .LBB47_328
; %bb.327:
	s_mov_b32 s19, 0
	global_store_b32 v[6:7], v17, off
.LBB47_328:
	s_and_not1_b32 vcc_lo, exec_lo, s19
	s_cbranch_vccnz .LBB47_330
; %bb.329:
	global_store_b16 v[6:7], v17, off
.LBB47_330:
	s_mov_b32 s19, 0
.LBB47_331:
	s_delay_alu instid0(SALU_CYCLE_1)
	s_and_not1_b32 vcc_lo, exec_lo, s19
	s_cbranch_vccnz .LBB47_336
; %bb.332:
	v_mov_b32_e32 v3, 0x80
	s_and_not1_b32 vcc_lo, exec_lo, s43
	s_cbranch_vccnz .LBB47_335
; %bb.333:
	v_mov_b32_e32 v3, 0
	s_or_b32 s19, s41, s44
	s_delay_alu instid0(SALU_CYCLE_1)
	s_and_not1_b32 vcc_lo, exec_lo, s19
	s_cbranch_vccnz .LBB47_335
; %bb.334:
	v_cndmask_b32_e64 v3, v16, s42, s41
	s_delay_alu instid0(VALU_DEP_1)
	v_or_b32_e32 v3, v3, v13
.LBB47_335:
	global_store_b8 v[6:7], v3, off
.LBB47_336:
	s_mov_b32 s19, -1
.LBB47_337:
	s_mov_b32 s20, 0
.LBB47_338:
	s_delay_alu instid0(SALU_CYCLE_1)
	s_and_b32 vcc_lo, exec_lo, s20
	s_cbranch_vccz .LBB47_360
; %bb.339:
	v_cmp_lt_i16_e32 vcc_lo, 22, v19
	s_mov_b32 s20, -1
	s_cbranch_vccz .LBB47_352
; %bb.340:
	v_cmp_gt_i16_e32 vcc_lo, 24, v19
	s_mov_b32 s19, -1
	s_cbranch_vccnz .LBB47_349
; %bb.341:
	v_cmp_lt_i16_e32 vcc_lo, 24, v19
	s_cbranch_vccz .LBB47_346
; %bb.342:
	v_mov_b32_e32 v3, 0x80
	s_and_not1_b32 vcc_lo, exec_lo, s39
	s_cbranch_vccnz .LBB47_345
; %bb.343:
	v_mov_b32_e32 v3, 0
	s_or_b32 s19, s35, s40
	s_delay_alu instid0(SALU_CYCLE_1)
	s_and_not1_b32 vcc_lo, exec_lo, s19
	s_cbranch_vccnz .LBB47_345
; %bb.344:
	v_cndmask_b32_e64 v3, v15, s37, s35
	s_delay_alu instid0(VALU_DEP_1)
	v_or_b32_e32 v3, v3, v13
.LBB47_345:
	s_mov_b32 s19, 0
	global_store_b8 v[6:7], v3, off
.LBB47_346:
	s_and_b32 vcc_lo, exec_lo, s19
	s_cbranch_vccz .LBB47_348
; %bb.347:
	s_and_b32 s19, s34, exec_lo
	s_cselect_b32 s19, s28, s36
	s_and_b32 s20, s31, exec_lo
	s_cselect_b32 s19, s38, s19
	s_delay_alu instid0(SALU_CYCLE_1)
	v_or_b32_e32 v3, s19, v13
	global_store_b8 v[6:7], v3, off
.LBB47_348:
	s_mov_b32 s19, 0
.LBB47_349:
	s_delay_alu instid0(SALU_CYCLE_1)
	s_and_not1_b32 vcc_lo, exec_lo, s19
	s_cbranch_vccnz .LBB47_351
; %bb.350:
	s_and_b32 s19, s29, exec_lo
	s_cselect_b32 s19, s27, s30
	s_and_b32 s20, s26, exec_lo
	s_cselect_b32 s19, s33, s19
	s_delay_alu instid0(SALU_CYCLE_1)
	v_or_b32_e32 v3, s19, v13
	global_store_b8 v[6:7], v3, off
.LBB47_351:
	s_mov_b32 s20, 0
	s_mov_b32 s19, -1
.LBB47_352:
	s_and_not1_b32 vcc_lo, exec_lo, s20
	s_cbranch_vccnz .LBB47_360
; %bb.353:
	v_cmp_lt_i16_e32 vcc_lo, 14, v19
	s_mov_b32 s20, -1
	s_cbranch_vccz .LBB47_357
; %bb.354:
	v_cmp_eq_u16_e32 vcc_lo, 15, v19
	s_mov_b32 s18, -1
	s_cbranch_vccz .LBB47_356
; %bb.355:
	s_mov_b32 s19, -1
	s_mov_b32 s18, 0
	global_store_b16 v[6:7], v14, off
.LBB47_356:
	s_mov_b32 s20, 0
.LBB47_357:
	s_delay_alu instid0(SALU_CYCLE_1)
	s_and_b32 vcc_lo, exec_lo, s20
	s_cbranch_vccz .LBB47_360
; %bb.358:
	v_cmp_eq_u16_e32 vcc_lo, 11, v19
	s_mov_b32 s18, -1
	s_cbranch_vccz .LBB47_360
; %bb.359:
	s_mov_b32 s19, -1
	s_mov_b32 s18, 0
	global_store_b8 v[6:7], v12, off
.LBB47_360:
.LBB47_361:
	s_and_not1_b32 vcc_lo, exec_lo, s19
	s_cbranch_vccnz .LBB47_275
.LBB47_362:
	v_add_nc_u32_e32 v10, 0x80, v10
	s_mov_b32 s19, -1
.LBB47_363:
	s_and_not1_b32 s20, s50, exec_lo
	s_and_b32 s18, s18, exec_lo
	s_delay_alu instid0(SALU_CYCLE_1)
	s_or_b32 s52, s20, s18
	s_or_not1_b32 s20, s19, exec_lo
.LBB47_364:
	s_or_b32 exec_lo, exec_lo, s53
	s_mov_b32 s18, 0
	s_mov_b32 s19, 0
                                        ; implicit-def: $vgpr19
                                        ; implicit-def: $vgpr6_vgpr7
	s_and_saveexec_b32 s53, s20
	s_cbranch_execz .LBB47_681
; %bb.365:
	s_mov_b32 s55, -1
	s_mov_b32 s20, s52
	s_mov_b32 s54, exec_lo
	v_cmpx_gt_i32_e64 s47, v10
	s_cbranch_execz .LBB47_612
; %bb.366:
	s_and_not1_b32 vcc_lo, exec_lo, s25
	s_cbranch_vccnz .LBB47_371
; %bb.367:
	v_mov_b32_e32 v3, 0
	s_and_not1_b32 vcc_lo, exec_lo, s49
	s_cbranch_vccnz .LBB47_376
; %bb.368:
	s_add_i32 s56, s48, 1
	s_cmp_eq_u32 s23, 2
	s_mov_b32 s55, 0
	s_cbranch_scc1 .LBB47_372
; %bb.369:
	v_dual_mov_b32 v3, 0 :: v_dual_mov_b32 v6, v10
	s_and_b32 s55, s56, 28
	s_mov_b32 s57, 0
	s_mov_b64 s[18:19], s[0:1]
	s_mov_b64 s[20:21], s[16:17]
.LBB47_370:                             ; =>This Inner Loop Header: Depth=1
	s_clause 0x1
	s_load_b256 s[60:67], s[18:19], 0x4
	s_load_b128 s[68:71], s[18:19], 0x24
	s_load_b128 s[72:75], s[20:21], 0x0
	s_add_u32 s18, s18, 48
	s_addc_u32 s19, s19, 0
	s_add_i32 s57, s57, 4
	s_add_u32 s20, s20, 16
	s_addc_u32 s21, s21, 0
	s_cmp_eq_u32 s55, s57
	s_waitcnt lgkmcnt(0)
	v_mul_hi_u32 v7, s61, v6
	s_delay_alu instid0(VALU_DEP_1) | instskip(NEXT) | instid1(VALU_DEP_1)
	v_add_nc_u32_e32 v7, v6, v7
	v_lshrrev_b32_e32 v7, s62, v7
	s_delay_alu instid0(VALU_DEP_1) | instskip(SKIP_1) | instid1(VALU_DEP_2)
	v_mul_hi_u32 v19, s64, v7
	v_mul_lo_u32 v22, v7, s60
	v_add_nc_u32_e32 v19, v7, v19
	s_delay_alu instid0(VALU_DEP_2) | instskip(NEXT) | instid1(VALU_DEP_2)
	v_sub_nc_u32_e32 v22, v6, v22
	v_lshrrev_b32_e32 v19, s65, v19
	s_delay_alu instid0(VALU_DEP_2) | instskip(NEXT) | instid1(VALU_DEP_2)
	v_mul_lo_u32 v22, v22, s72
	v_mul_hi_u32 v20, s67, v19
	v_mul_lo_u32 v23, v19, s63
	s_delay_alu instid0(VALU_DEP_2) | instskip(NEXT) | instid1(VALU_DEP_2)
	v_add_nc_u32_e32 v20, v19, v20
	v_sub_nc_u32_e32 v7, v7, v23
	s_delay_alu instid0(VALU_DEP_2) | instskip(NEXT) | instid1(VALU_DEP_2)
	v_lshrrev_b32_e32 v20, s68, v20
	v_mul_lo_u32 v7, v7, s73
	s_delay_alu instid0(VALU_DEP_2) | instskip(NEXT) | instid1(VALU_DEP_2)
	v_mul_hi_u32 v21, s70, v20
	v_add3_u32 v3, v22, v3, v7
	s_delay_alu instid0(VALU_DEP_2) | instskip(NEXT) | instid1(VALU_DEP_1)
	v_add_nc_u32_e32 v21, v20, v21
	v_lshrrev_b32_e32 v6, s71, v21
	v_mul_lo_u32 v21, v20, s66
	s_delay_alu instid0(VALU_DEP_2) | instskip(NEXT) | instid1(VALU_DEP_2)
	v_mul_lo_u32 v24, v6, s69
	v_sub_nc_u32_e32 v19, v19, v21
	s_delay_alu instid0(VALU_DEP_2) | instskip(NEXT) | instid1(VALU_DEP_2)
	v_sub_nc_u32_e32 v20, v20, v24
	v_mul_lo_u32 v19, v19, s74
	s_delay_alu instid0(VALU_DEP_2) | instskip(NEXT) | instid1(VALU_DEP_1)
	v_mul_lo_u32 v20, v20, s75
	v_add3_u32 v3, v19, v3, v20
	s_cbranch_scc0 .LBB47_370
	s_branch .LBB47_373
.LBB47_371:
	s_mov_b32 s18, -1
                                        ; implicit-def: $vgpr3
	s_branch .LBB47_377
.LBB47_372:
	v_mov_b32_e32 v6, v10
.LBB47_373:
	s_and_b32 s56, s56, 3
	s_delay_alu instid0(SALU_CYCLE_1)
	s_cmp_eq_u32 s56, 0
	s_cbranch_scc1 .LBB47_376
; %bb.374:
	s_lshl_b32 s18, s55, 2
	s_mul_i32 s20, s55, 12
	s_add_u32 s18, s18, s0
	s_addc_u32 s19, s1, 0
	s_add_u32 s18, s18, 0xc4
	s_addc_u32 s19, s19, 0
	;; [unrolled: 2-line block ×3, first 2 shown]
	.p2align	6
.LBB47_375:                             ; =>This Inner Loop Header: Depth=1
	s_clause 0x1
	s_load_b64 s[58:59], s[20:21], 0x4
	s_load_b32 s55, s[20:21], 0xc
	s_load_b32 s57, s[18:19], 0x0
	s_add_u32 s20, s20, 12
	s_addc_u32 s21, s21, 0
	s_add_u32 s18, s18, 4
	s_addc_u32 s19, s19, 0
	s_add_i32 s56, s56, -1
	s_delay_alu instid0(SALU_CYCLE_1) | instskip(SKIP_2) | instid1(VALU_DEP_1)
	s_cmp_lg_u32 s56, 0
	s_waitcnt lgkmcnt(0)
	v_mul_hi_u32 v7, s59, v6
	v_add_nc_u32_e32 v7, v6, v7
	s_delay_alu instid0(VALU_DEP_1) | instskip(NEXT) | instid1(VALU_DEP_1)
	v_lshrrev_b32_e32 v7, s55, v7
	v_mul_lo_u32 v19, v7, s58
	s_delay_alu instid0(VALU_DEP_1) | instskip(NEXT) | instid1(VALU_DEP_1)
	v_sub_nc_u32_e32 v6, v6, v19
	v_mad_u64_u32 v[19:20], null, v6, s57, v[3:4]
	v_mov_b32_e32 v6, v7
	s_delay_alu instid0(VALU_DEP_2)
	v_mov_b32_e32 v3, v19
	s_cbranch_scc1 .LBB47_375
.LBB47_376:
	s_mov_b32 s18, 0
.LBB47_377:
	s_delay_alu instid0(SALU_CYCLE_1)
	s_and_not1_b32 vcc_lo, exec_lo, s18
	s_cbranch_vccnz .LBB47_380
; %bb.378:
	v_mul_hi_u32 v3, s9, v10
	s_and_not1_b32 vcc_lo, exec_lo, s46
	s_delay_alu instid0(VALU_DEP_1) | instskip(NEXT) | instid1(VALU_DEP_1)
	v_add_nc_u32_e32 v3, v10, v3
	v_lshrrev_b32_e32 v6, s10, v3
	s_delay_alu instid0(VALU_DEP_1) | instskip(NEXT) | instid1(VALU_DEP_1)
	v_mul_lo_u32 v3, v6, s8
	v_sub_nc_u32_e32 v3, v10, v3
	s_delay_alu instid0(VALU_DEP_1)
	v_mul_lo_u32 v3, v3, s12
	s_cbranch_vccnz .LBB47_380
; %bb.379:
	v_mul_hi_u32 v7, s14, v6
	s_delay_alu instid0(VALU_DEP_1) | instskip(NEXT) | instid1(VALU_DEP_1)
	v_add_nc_u32_e32 v7, v6, v7
	v_lshrrev_b32_e32 v7, s15, v7
	s_delay_alu instid0(VALU_DEP_1) | instskip(NEXT) | instid1(VALU_DEP_1)
	v_mul_lo_u32 v7, v7, s11
	v_sub_nc_u32_e32 v19, v6, v7
	s_delay_alu instid0(VALU_DEP_1) | instskip(NEXT) | instid1(VALU_DEP_1)
	v_mad_u64_u32 v[6:7], null, v19, s13, v[3:4]
	v_mov_b32_e32 v3, v6
.LBB47_380:
	v_and_b32_e64 v19, 0xff, s45
	s_delay_alu instid0(VALU_DEP_2) | instskip(NEXT) | instid1(VALU_DEP_1)
	v_add_co_u32 v6, s18, s4, v3
	v_add_co_ci_u32_e64 v7, null, s5, 0, s18
	s_delay_alu instid0(VALU_DEP_3)
	v_cmp_gt_i16_e32 vcc_lo, 11, v19
	s_mov_b32 s19, 0
	s_mov_b32 s20, -1
	s_mov_b32 s18, s52
	s_cbranch_vccnz .LBB47_387
; %bb.381:
	v_cmp_lt_i16_e32 vcc_lo, 25, v19
	s_cbranch_vccz .LBB47_427
; %bb.382:
	v_cmp_lt_i16_e32 vcc_lo, 28, v19
	s_cbranch_vccz .LBB47_428
	;; [unrolled: 3-line block ×4, first 2 shown]
; %bb.385:
	v_cmp_eq_u16_e32 vcc_lo, 46, v19
	s_mov_b32 s20, 0
	s_mov_b32 s18, -1
	s_cbranch_vccz .LBB47_564
; %bb.386:
	s_mov_b32 s19, -1
	s_mov_b32 s18, 0
	global_store_b32 v[6:7], v14, off
	s_branch .LBB47_564
.LBB47_387:
	s_and_b32 vcc_lo, exec_lo, s20
	s_cbranch_vccz .LBB47_609
; %bb.388:
	v_cmp_gt_i16_e32 vcc_lo, 5, v19
	s_mov_b32 s19, -1
	s_cbranch_vccnz .LBB47_409
; %bb.389:
	v_cmp_gt_i16_e32 vcc_lo, 8, v19
	s_cbranch_vccnz .LBB47_399
; %bb.390:
	v_cmp_gt_i16_e32 vcc_lo, 9, v19
	s_cbranch_vccnz .LBB47_396
; %bb.391:
	v_cmp_lt_i16_e32 vcc_lo, 9, v19
	s_cbranch_vccz .LBB47_393
; %bb.392:
	v_dual_mov_b32 v22, 0 :: v_dual_mov_b32 v21, s7
	v_mov_b32_e32 v20, s6
	s_mov_b32 s19, 0
	s_delay_alu instid0(VALU_DEP_2)
	v_mov_b32_e32 v23, v22
	global_store_b128 v[6:7], v[20:23], off
.LBB47_393:
	s_and_not1_b32 vcc_lo, exec_lo, s19
	s_cbranch_vccnz .LBB47_395
; %bb.394:
	v_mov_b32_e32 v3, 0
	global_store_b64 v[6:7], v[2:3], off
.LBB47_395:
	s_mov_b32 s19, 0
.LBB47_396:
	s_delay_alu instid0(SALU_CYCLE_1)
	s_and_not1_b32 vcc_lo, exec_lo, s19
	s_cbranch_vccnz .LBB47_398
; %bb.397:
	global_store_b32 v[6:7], v11, off
.LBB47_398:
	s_mov_b32 s19, 0
.LBB47_399:
	s_delay_alu instid0(SALU_CYCLE_1)
	s_and_not1_b32 vcc_lo, exec_lo, s19
	s_cbranch_vccnz .LBB47_408
; %bb.400:
	v_cmp_gt_i16_e32 vcc_lo, 6, v19
	s_mov_b32 s19, -1
	s_cbranch_vccnz .LBB47_406
; %bb.401:
	v_cmp_lt_i16_e32 vcc_lo, 6, v19
	s_cbranch_vccz .LBB47_403
; %bb.402:
	v_dual_mov_b32 v21, s7 :: v_dual_mov_b32 v20, s6
	s_mov_b32 s19, 0
	global_store_b64 v[6:7], v[20:21], off
.LBB47_403:
	s_and_not1_b32 vcc_lo, exec_lo, s19
	s_cbranch_vccnz .LBB47_405
; %bb.404:
	global_store_b32 v[6:7], v2, off
.LBB47_405:
	s_mov_b32 s19, 0
.LBB47_406:
	s_delay_alu instid0(SALU_CYCLE_1)
	s_and_not1_b32 vcc_lo, exec_lo, s19
	s_cbranch_vccnz .LBB47_408
; %bb.407:
	global_store_b16 v[6:7], v9, off
.LBB47_408:
	s_mov_b32 s19, 0
.LBB47_409:
	s_delay_alu instid0(SALU_CYCLE_1)
	s_and_not1_b32 vcc_lo, exec_lo, s19
	s_cbranch_vccnz .LBB47_425
; %bb.410:
	v_cmp_gt_i16_e32 vcc_lo, 2, v19
	s_mov_b32 s19, -1
	s_cbranch_vccnz .LBB47_420
; %bb.411:
	v_cmp_gt_i16_e32 vcc_lo, 3, v19
	s_cbranch_vccnz .LBB47_417
; %bb.412:
	v_cmp_lt_i16_e32 vcc_lo, 3, v19
	s_cbranch_vccz .LBB47_414
; %bb.413:
	s_mov_b32 s19, 0
	global_store_b64 v[6:7], v[4:5], off
.LBB47_414:
	s_and_not1_b32 vcc_lo, exec_lo, s19
	s_cbranch_vccnz .LBB47_416
; %bb.415:
	global_store_b32 v[6:7], v8, off
.LBB47_416:
	s_mov_b32 s19, 0
.LBB47_417:
	s_delay_alu instid0(SALU_CYCLE_1)
	s_and_not1_b32 vcc_lo, exec_lo, s19
	s_cbranch_vccnz .LBB47_419
; %bb.418:
	global_store_b16 v[6:7], v8, off
.LBB47_419:
	s_mov_b32 s19, 0
.LBB47_420:
	s_delay_alu instid0(SALU_CYCLE_1)
	s_and_not1_b32 vcc_lo, exec_lo, s19
	s_cbranch_vccnz .LBB47_425
; %bb.421:
	v_cmp_lt_i16_e32 vcc_lo, 0, v19
	s_mov_b32 s19, -1
	s_cbranch_vccz .LBB47_423
; %bb.422:
	s_mov_b32 s19, 0
	global_store_b8 v[6:7], v8, off
.LBB47_423:
	s_and_not1_b32 vcc_lo, exec_lo, s19
	s_cbranch_vccnz .LBB47_425
; %bb.424:
	global_store_b8 v[6:7], v0, off
.LBB47_425:
	s_branch .LBB47_610
.LBB47_426:
	s_mov_b32 s19, 0
                                        ; implicit-def: $vgpr10
	s_branch .LBB47_611
.LBB47_427:
	s_mov_b32 s18, s52
	s_branch .LBB47_586
.LBB47_428:
	s_mov_b32 s18, s52
	s_branch .LBB47_572
.LBB47_429:
	s_mov_b32 s18, s52
	s_branch .LBB47_568
.LBB47_430:
	s_mov_b32 s10, -1
	s_mov_b32 s9, 0
                                        ; implicit-def: $sgpr11
.LBB47_431:
	v_mov_b32_e32 v5, s11
	s_and_not1_b32 vcc_lo, exec_lo, s10
                                        ; implicit-def: $sgpr10
	s_cbranch_vccnz .LBB47_433
; %bb.432:
	v_add_f32_e64 v5, 0x42800000, |s8|
	s_mov_b32 s10, 0
	s_delay_alu instid0(VALU_DEP_1) | instskip(NEXT) | instid1(VALU_DEP_1)
	v_and_b32_e32 v5, 0xff, v5
	v_cmp_ne_u32_e64 s9, 0, v5
.LBB47_433:
	v_mov_b32_e32 v6, s10
	s_delay_alu instid0(VALU_DEP_2)
	s_and_not1_b32 vcc_lo, exec_lo, s9
	s_cbranch_vccnz .LBB47_435
; %bb.434:
	s_lshr_b32 s8, s8, 24
	s_delay_alu instid0(SALU_CYCLE_1) | instskip(NEXT) | instid1(SALU_CYCLE_1)
	s_and_b32 s8, s8, 0x80
	v_or_b32_e32 v6, s8, v5
.LBB47_435:
	s_mov_b32 s8, 0
	global_store_b8 v[3:4], v6, off
.LBB47_436:
	s_and_b32 vcc_lo, exec_lo, s8
	s_cbranch_vccz .LBB47_448
; %bb.437:
	v_cvt_f32_f64_e32 v5, s[2:3]
	s_delay_alu instid0(VALU_DEP_1) | instskip(NEXT) | instid1(VALU_DEP_1)
	v_readfirstlane_b32 s8, v5
	s_and_b32 s9, s8, 0x7fffffff
	s_delay_alu instid0(SALU_CYCLE_1)
	s_cmp_lt_u32 s9, 0x43f00000
	s_cbranch_scc0 .LBB47_440
; %bb.438:
	s_cmp_gt_u32 s9, 0x3c7fffff
	s_cbranch_scc0 .LBB47_441
; %bb.439:
	s_bfe_u32 s10, s8, 0x10014
	s_delay_alu instid0(SALU_CYCLE_1) | instskip(NEXT) | instid1(SALU_CYCLE_1)
	s_add_i32 s10, s8, s10
	s_add_i32 s10, s10, 0x407ffff
	s_delay_alu instid0(SALU_CYCLE_1)
	s_and_b32 s11, s10, 0xff00000
	s_lshr_b32 s10, s10, 20
	s_cmp_lg_u32 s11, 0x7f00000
	s_cselect_b32 s11, s10, 0x7e
	s_mov_b32 s10, 0
	s_branch .LBB47_442
.LBB47_440:
	s_mov_b32 s10, -1
                                        ; implicit-def: $vgpr6
	s_branch .LBB47_445
.LBB47_441:
	s_mov_b32 s10, -1
                                        ; implicit-def: $sgpr11
.LBB47_442:
	v_mov_b32_e32 v6, s11
	s_and_not1_b32 vcc_lo, exec_lo, s10
	s_cbranch_vccnz .LBB47_444
; %bb.443:
	v_add_f32_e64 v6, 0x46800000, |v5|
.LBB47_444:
	s_mov_b32 s10, 0
.LBB47_445:
	s_delay_alu instid0(SALU_CYCLE_1)
	s_and_not1_b32 vcc_lo, exec_lo, s10
	s_cbranch_vccnz .LBB47_447
; %bb.446:
	s_cmp_gt_u32 s9, 0x7f800000
	s_movk_i32 s9, 0x7f
	s_delay_alu instid0(SALU_CYCLE_1) | instskip(NEXT) | instid1(SALU_CYCLE_1)
	s_cselect_b32 s9, s9, 0x7e
	v_mov_b32_e32 v6, s9
.LBB47_447:
	s_lshr_b32 s8, s8, 24
	s_delay_alu instid0(SALU_CYCLE_1)
	s_and_b32 s8, s8, 0x80
	s_delay_alu instid0(VALU_DEP_1) | instid1(SALU_CYCLE_1)
	v_or_b32_e32 v5, s8, v6
	global_store_b8 v[3:4], v5, off
.LBB47_448:
	s_mov_b32 s8, 0
.LBB47_449:
	s_delay_alu instid0(SALU_CYCLE_1)
	s_and_not1_b32 vcc_lo, exec_lo, s8
	s_cbranch_vccnz .LBB47_461
; %bb.450:
	v_cvt_f32_f64_e32 v5, s[2:3]
	s_delay_alu instid0(VALU_DEP_1) | instskip(NEXT) | instid1(VALU_DEP_1)
	v_readfirstlane_b32 s8, v5
	s_and_b32 s9, s8, 0x7fffffff
	s_delay_alu instid0(SALU_CYCLE_1)
	s_cmp_lt_u32 s9, 0x47800000
	s_cbranch_scc0 .LBB47_453
; %bb.451:
	s_cmp_gt_u32 s9, 0x387fffff
	s_cbranch_scc0 .LBB47_454
; %bb.452:
	s_bfe_u32 s10, s8, 0x10015
	s_delay_alu instid0(SALU_CYCLE_1) | instskip(NEXT) | instid1(SALU_CYCLE_1)
	s_add_i32 s10, s8, s10
	s_add_i32 s10, s10, 0x80fffff
	s_delay_alu instid0(SALU_CYCLE_1)
	s_lshr_b32 s11, s10, 21
	s_mov_b32 s10, 0
	s_branch .LBB47_455
.LBB47_453:
	s_mov_b32 s10, -1
                                        ; implicit-def: $vgpr6
	s_branch .LBB47_458
.LBB47_454:
	s_mov_b32 s10, -1
                                        ; implicit-def: $sgpr11
.LBB47_455:
	v_mov_b32_e32 v6, s11
	s_and_not1_b32 vcc_lo, exec_lo, s10
	s_cbranch_vccnz .LBB47_457
; %bb.456:
	v_add_f32_e64 v6, 0x43000000, |v5|
.LBB47_457:
	s_mov_b32 s10, 0
.LBB47_458:
	s_delay_alu instid0(SALU_CYCLE_1)
	s_and_not1_b32 vcc_lo, exec_lo, s10
	s_cbranch_vccnz .LBB47_460
; %bb.459:
	s_cmp_gt_u32 s9, 0x7f800000
	s_movk_i32 s9, 0x7f
	s_delay_alu instid0(SALU_CYCLE_1) | instskip(NEXT) | instid1(SALU_CYCLE_1)
	s_cselect_b32 s9, s9, 0x7c
	v_mov_b32_e32 v6, s9
.LBB47_460:
	s_lshr_b32 s8, s8, 24
	s_delay_alu instid0(SALU_CYCLE_1)
	s_and_b32 s8, s8, 0x80
	s_delay_alu instid0(VALU_DEP_1) | instid1(SALU_CYCLE_1)
	v_or_b32_e32 v5, s8, v6
	global_store_b8 v[3:4], v5, off
.LBB47_461:
	s_mov_b32 s8, 0
	s_mov_b32 s9, -1
.LBB47_462:
	s_and_not1_b32 vcc_lo, exec_lo, s8
	s_mov_b32 s8, 0
	s_cbranch_vccnz .LBB47_469
; %bb.463:
	v_cmp_gt_i16_e64 s8, s4, 14
	s_delay_alu instid0(VALU_DEP_1)
	s_and_b32 vcc_lo, exec_lo, s8
	s_mov_b32 s8, -1
	s_cbranch_vccz .LBB47_467
; %bb.464:
	v_cmp_eq_u16_e64 s5, s4, 15
	s_delay_alu instid0(VALU_DEP_1)
	s_and_b32 vcc_lo, exec_lo, s5
	s_mov_b32 s5, -1
	s_cbranch_vccz .LBB47_466
; %bb.465:
	v_cvt_f32_f64_e32 v5, s[2:3]
	s_mov_b32 s5, 0
	s_mov_b32 s9, -1
	s_delay_alu instid0(VALU_DEP_1) | instskip(SKIP_1) | instid1(VALU_DEP_2)
	v_bfe_u32 v6, v5, 16, 1
	v_cmp_o_f32_e32 vcc_lo, v5, v5
	v_add_nc_u32_e32 v6, v5, v6
	s_delay_alu instid0(VALU_DEP_1) | instskip(NEXT) | instid1(VALU_DEP_1)
	v_add_nc_u32_e32 v6, 0x7fff, v6
	v_lshrrev_b32_e32 v6, 16, v6
	s_delay_alu instid0(VALU_DEP_1)
	v_cndmask_b32_e32 v5, 0x7fc0, v6, vcc_lo
	global_store_b16 v[3:4], v5, off
.LBB47_466:
	s_mov_b32 s8, 0
.LBB47_467:
	s_delay_alu instid0(SALU_CYCLE_1)
	s_and_b32 vcc_lo, exec_lo, s8
	s_mov_b32 s8, 0
	s_cbranch_vccz .LBB47_469
; %bb.468:
	v_cmp_ne_u16_e64 s5, s4, 11
	s_mov_b32 s8, -1
.LBB47_469:
	s_delay_alu instid0(VALU_DEP_1)
	s_and_b32 vcc_lo, exec_lo, s5
	s_mov_b32 s5, s6
	s_cbranch_vccnz .LBB47_522
; %bb.470:
	s_and_not1_b32 vcc_lo, exec_lo, s8
	s_cbranch_vccnz .LBB47_472
.LBB47_471:
	v_cmp_neq_f64_e64 s8, s[2:3], 0
	s_mov_b32 s9, -1
	s_delay_alu instid0(VALU_DEP_1)
	v_cndmask_b32_e64 v5, 0, 1, s8
	global_store_b8 v[3:4], v5, off
.LBB47_472:
	s_mov_b32 s8, 0
.LBB47_473:
	s_delay_alu instid0(SALU_CYCLE_1)
	s_and_b32 vcc_lo, exec_lo, s8
	s_cbranch_vccz .LBB47_512
; %bb.474:
	v_cmp_lt_i16_e64 s8, s4, 5
	s_delay_alu instid0(VALU_DEP_1)
	s_and_b32 vcc_lo, exec_lo, s8
	s_mov_b32 s8, -1
	s_cbranch_vccnz .LBB47_495
; %bb.475:
	v_cmp_lt_i16_e64 s8, s4, 8
	s_delay_alu instid0(VALU_DEP_1)
	s_and_b32 vcc_lo, exec_lo, s8
	s_mov_b32 s8, -1
	s_cbranch_vccnz .LBB47_485
	;; [unrolled: 6-line block ×3, first 2 shown]
; %bb.477:
	v_cmp_gt_i16_e64 s8, s4, 9
	s_delay_alu instid0(VALU_DEP_1)
	s_and_b32 vcc_lo, exec_lo, s8
	s_mov_b32 s8, -1
	s_cbranch_vccz .LBB47_479
; %bb.478:
	v_dual_mov_b32 v7, 0 :: v_dual_mov_b32 v6, s3
	v_mov_b32_e32 v5, s2
	s_mov_b32 s8, 0
	s_delay_alu instid0(VALU_DEP_2)
	v_mov_b32_e32 v8, v7
	global_store_b128 v[3:4], v[5:8], off
.LBB47_479:
	s_and_not1_b32 vcc_lo, exec_lo, s8
	s_cbranch_vccnz .LBB47_481
; %bb.480:
	v_cvt_f32_f64_e32 v5, s[2:3]
	v_mov_b32_e32 v6, 0
	global_store_b64 v[3:4], v[5:6], off
.LBB47_481:
	s_mov_b32 s8, 0
.LBB47_482:
	s_delay_alu instid0(SALU_CYCLE_1)
	s_and_not1_b32 vcc_lo, exec_lo, s8
	s_cbranch_vccnz .LBB47_484
; %bb.483:
	v_cvt_f32_f64_e32 v5, s[2:3]
	s_delay_alu instid0(VALU_DEP_1) | instskip(NEXT) | instid1(VALU_DEP_1)
	v_cvt_f16_f32_e32 v5, v5
	v_and_b32_e32 v5, 0xffff, v5
	global_store_b32 v[3:4], v5, off
.LBB47_484:
	s_mov_b32 s8, 0
.LBB47_485:
	s_delay_alu instid0(SALU_CYCLE_1)
	s_and_not1_b32 vcc_lo, exec_lo, s8
	s_cbranch_vccnz .LBB47_494
; %bb.486:
	v_cmp_lt_i16_e64 s8, s4, 6
	s_delay_alu instid0(VALU_DEP_1)
	s_and_b32 vcc_lo, exec_lo, s8
	s_mov_b32 s8, -1
	s_cbranch_vccnz .LBB47_492
; %bb.487:
	v_cmp_gt_i16_e64 s8, s4, 6
	s_delay_alu instid0(VALU_DEP_1)
	s_and_b32 vcc_lo, exec_lo, s8
	s_mov_b32 s8, -1
	s_cbranch_vccz .LBB47_489
; %bb.488:
	v_dual_mov_b32 v6, s3 :: v_dual_mov_b32 v5, s2
	s_mov_b32 s8, 0
	global_store_b64 v[3:4], v[5:6], off
.LBB47_489:
	s_and_not1_b32 vcc_lo, exec_lo, s8
	s_cbranch_vccnz .LBB47_491
; %bb.490:
	v_cvt_f32_f64_e32 v5, s[2:3]
	global_store_b32 v[3:4], v5, off
.LBB47_491:
	s_mov_b32 s8, 0
.LBB47_492:
	s_delay_alu instid0(SALU_CYCLE_1)
	s_and_not1_b32 vcc_lo, exec_lo, s8
	s_cbranch_vccnz .LBB47_494
; %bb.493:
	v_cvt_f32_f64_e32 v5, s[2:3]
	s_delay_alu instid0(VALU_DEP_1)
	v_cvt_f16_f32_e32 v5, v5
	global_store_b16 v[3:4], v5, off
.LBB47_494:
	s_mov_b32 s8, 0
.LBB47_495:
	s_delay_alu instid0(SALU_CYCLE_1)
	s_and_not1_b32 vcc_lo, exec_lo, s8
	s_cbranch_vccnz .LBB47_511
; %bb.496:
	v_cmp_lt_i16_e64 s8, s4, 2
	s_delay_alu instid0(VALU_DEP_1)
	s_and_b32 vcc_lo, exec_lo, s8
	s_mov_b32 s8, -1
	s_cbranch_vccnz .LBB47_506
; %bb.497:
	v_cmp_lt_i16_e64 s8, s4, 3
	s_delay_alu instid0(VALU_DEP_1)
	s_and_b32 vcc_lo, exec_lo, s8
	s_mov_b32 s8, -1
	s_cbranch_vccnz .LBB47_503
; %bb.498:
	v_cmp_gt_i16_e64 s8, s4, 3
	s_delay_alu instid0(VALU_DEP_1)
	s_and_b32 vcc_lo, exec_lo, s8
	s_mov_b32 s8, -1
	s_cbranch_vccz .LBB47_500
; %bb.499:
	v_trunc_f64_e32 v[5:6], s[2:3]
	s_mov_b32 s8, 0
	s_delay_alu instid0(VALU_DEP_1) | instskip(NEXT) | instid1(VALU_DEP_1)
	v_ldexp_f64 v[7:8], v[5:6], 0xffffffe0
	v_floor_f64_e32 v[7:8], v[7:8]
	s_delay_alu instid0(VALU_DEP_1) | instskip(SKIP_1) | instid1(VALU_DEP_2)
	v_fma_f64 v[5:6], 0xc1f00000, v[7:8], v[5:6]
	v_cvt_i32_f64_e32 v7, v[7:8]
	v_cvt_u32_f64_e32 v6, v[5:6]
	global_store_b64 v[3:4], v[6:7], off
.LBB47_500:
	s_and_not1_b32 vcc_lo, exec_lo, s8
	s_cbranch_vccnz .LBB47_502
; %bb.501:
	v_cvt_i32_f64_e32 v5, s[2:3]
	global_store_b32 v[3:4], v5, off
.LBB47_502:
	s_mov_b32 s8, 0
.LBB47_503:
	s_delay_alu instid0(SALU_CYCLE_1)
	s_and_not1_b32 vcc_lo, exec_lo, s8
	s_cbranch_vccnz .LBB47_505
; %bb.504:
	v_cvt_i32_f64_e32 v5, s[2:3]
	global_store_b16 v[3:4], v5, off
.LBB47_505:
	s_mov_b32 s8, 0
.LBB47_506:
	s_delay_alu instid0(SALU_CYCLE_1)
	s_and_not1_b32 vcc_lo, exec_lo, s8
	s_cbranch_vccnz .LBB47_511
; %bb.507:
	v_cmp_gt_i16_e64 s8, s4, 0
	s_delay_alu instid0(VALU_DEP_1)
	s_and_b32 vcc_lo, exec_lo, s8
	s_mov_b32 s8, -1
	s_cbranch_vccz .LBB47_509
; %bb.508:
	v_cvt_i32_f64_e32 v5, s[2:3]
	s_mov_b32 s8, 0
	global_store_b8 v[3:4], v5, off
.LBB47_509:
	s_and_not1_b32 vcc_lo, exec_lo, s8
	s_cbranch_vccnz .LBB47_511
; %bb.510:
	v_trunc_f64_e32 v[5:6], s[2:3]
	s_delay_alu instid0(VALU_DEP_1) | instskip(NEXT) | instid1(VALU_DEP_1)
	v_ldexp_f64 v[7:8], v[5:6], 0xffffffe0
	v_floor_f64_e32 v[7:8], v[7:8]
	s_delay_alu instid0(VALU_DEP_1) | instskip(NEXT) | instid1(VALU_DEP_1)
	v_fma_f64 v[5:6], 0xc1f00000, v[7:8], v[5:6]
	v_cvt_u32_f64_e32 v5, v[5:6]
	global_store_b8 v[3:4], v5, off
.LBB47_511:
	s_mov_b32 s9, -1
.LBB47_512:
	s_delay_alu instid0(SALU_CYCLE_1)
	s_and_not1_b32 vcc_lo, exec_lo, s9
	s_cbranch_vccnz .LBB47_910
; %bb.513:
	v_cmp_lt_i16_e64 s8, s4, 11
	v_add_co_u32 v2, s9, s0, v2
	s_delay_alu instid0(VALU_DEP_1) | instskip(SKIP_1) | instid1(VALU_DEP_3)
	v_add_co_ci_u32_e64 v3, null, s1, 0, s9
	s_mov_b32 s10, 0
	s_and_b32 vcc_lo, exec_lo, s8
	s_mov_b32 s8, -1
	s_cbranch_vccnz .LBB47_729
; %bb.514:
	v_cmp_gt_i16_e64 s8, s4, 25
	s_mov_b32 s11, -1
	s_mov_b32 s9, 0
	s_delay_alu instid0(VALU_DEP_1)
	s_and_b32 vcc_lo, exec_lo, s8
	s_mov_b32 s8, 0
	s_cbranch_vccz .LBB47_556
; %bb.515:
	v_cmp_gt_i16_e64 s8, s4, 28
	s_delay_alu instid0(VALU_DEP_1)
	s_and_b32 vcc_lo, exec_lo, s8
	s_cbranch_vccz .LBB47_520
; %bb.516:
	v_cmp_gt_i16_e64 s8, s4, 43
	s_delay_alu instid0(VALU_DEP_1)
	s_and_b32 vcc_lo, exec_lo, s8
	;; [unrolled: 5-line block ×3, first 2 shown]
	s_cbranch_vccz .LBB47_524
; %bb.518:
	v_cmp_eq_u16_e64 s10, s4, 46
	s_mov_b32 s8, -1
	s_mov_b32 s11, 0
	s_delay_alu instid0(VALU_DEP_1)
	s_and_b32 vcc_lo, exec_lo, s10
	s_mov_b32 s10, 0
	s_cbranch_vccz .LBB47_525
; %bb.519:
	v_cvt_f32_f64_e32 v4, s[2:3]
	s_mov_b32 s8, 0
	s_mov_b32 s10, -1
	s_delay_alu instid0(VALU_DEP_1) | instskip(SKIP_1) | instid1(VALU_DEP_2)
	v_bfe_u32 v5, v4, 16, 1
	v_cmp_o_f32_e32 vcc_lo, v4, v4
	v_add_nc_u32_e32 v5, v4, v5
	s_delay_alu instid0(VALU_DEP_1) | instskip(NEXT) | instid1(VALU_DEP_1)
	v_add_nc_u32_e32 v5, 0x7fff, v5
	v_lshrrev_b32_e32 v5, 16, v5
	s_delay_alu instid0(VALU_DEP_1)
	v_cndmask_b32_e32 v4, 0x7fc0, v5, vcc_lo
	global_store_b32 v[2:3], v4, off
	s_branch .LBB47_525
.LBB47_520:
	s_mov_b32 s8, 0
	s_branch .LBB47_535
.LBB47_521:
	s_mov_b32 s8, 0
	s_branch .LBB47_531
.LBB47_522:
	s_cbranch_execnz .LBB47_546
; %bb.523:
	s_or_b32 s5, s6, exec_lo
	s_cbranch_execz .LBB47_471
	s_branch .LBB47_472
.LBB47_524:
	s_mov_b32 s8, 0
.LBB47_525:
	s_and_b32 vcc_lo, exec_lo, s11
	s_cbranch_vccz .LBB47_530
; %bb.526:
	v_cmp_eq_u16_e64 s8, s4, 44
	s_delay_alu instid0(VALU_DEP_1)
	s_and_b32 vcc_lo, exec_lo, s8
	s_mov_b32 s8, -1
	s_cbranch_vccz .LBB47_530
; %bb.527:
	v_cvt_f32_f64_e32 v4, s[2:3]
	v_mov_b32_e32 v5, 0xff
	s_delay_alu instid0(VALU_DEP_2) | instskip(NEXT) | instid1(VALU_DEP_1)
	v_readfirstlane_b32 s8, v4
	s_bfe_u32 s10, s8, 0x80017
	s_delay_alu instid0(SALU_CYCLE_1)
	s_cmpk_eq_i32 s10, 0xff
	s_cbranch_scc1 .LBB47_529
; %bb.528:
	s_bitcmp1_b32 s8, 22
	v_lshrrev_b32_e32 v4, 23, v4
	s_cselect_b32 s11, -1, 0
	s_and_b32 s8, s8, 0x3fffff
	s_delay_alu instid0(SALU_CYCLE_1) | instskip(NEXT) | instid1(SALU_CYCLE_1)
	s_or_b32 s8, s10, s8
	s_cmp_lg_u32 s8, 0
	s_cselect_b32 s8, -1, 0
	s_delay_alu instid0(SALU_CYCLE_1) | instskip(NEXT) | instid1(SALU_CYCLE_1)
	s_and_b32 s8, s11, s8
	v_cndmask_b32_e64 v5, 0, 1, s8
	s_delay_alu instid0(VALU_DEP_1)
	v_add_nc_u32_e32 v5, v4, v5
.LBB47_529:
	s_mov_b32 s8, 0
	s_mov_b32 s10, -1
	global_store_b8 v[2:3], v5, off
.LBB47_530:
	s_mov_b32 s11, 0
.LBB47_531:
	s_delay_alu instid0(SALU_CYCLE_1)
	s_and_b32 vcc_lo, exec_lo, s11
	s_cbranch_vccz .LBB47_534
; %bb.532:
	v_cmp_eq_u16_e64 s8, s4, 29
	s_delay_alu instid0(VALU_DEP_1)
	s_and_b32 vcc_lo, exec_lo, s8
	s_mov_b32 s8, -1
	s_cbranch_vccz .LBB47_534
; %bb.533:
	v_trunc_f64_e32 v[4:5], s[2:3]
	s_mov_b32 s8, 0
	s_mov_b32 s10, -1
	s_mov_b32 s11, 0
	s_delay_alu instid0(VALU_DEP_1) | instskip(NEXT) | instid1(VALU_DEP_1)
	v_ldexp_f64 v[6:7], v[4:5], 0xffffffe0
	v_floor_f64_e32 v[6:7], v[6:7]
	s_delay_alu instid0(VALU_DEP_1) | instskip(SKIP_1) | instid1(VALU_DEP_2)
	v_fma_f64 v[4:5], 0xc1f00000, v[6:7], v[4:5]
	v_cvt_u32_f64_e32 v6, v[6:7]
	v_cvt_u32_f64_e32 v5, v[4:5]
	global_store_b64 v[2:3], v[5:6], off
	s_branch .LBB47_535
.LBB47_534:
	s_mov_b32 s11, 0
.LBB47_535:
	s_delay_alu instid0(SALU_CYCLE_1)
	s_and_b32 vcc_lo, exec_lo, s11
	s_cbranch_vccz .LBB47_555
; %bb.536:
	v_cmp_lt_i16_e64 s10, s4, 27
	s_delay_alu instid0(VALU_DEP_1)
	s_and_b32 vcc_lo, exec_lo, s10
	s_mov_b32 s10, -1
	s_cbranch_vccnz .LBB47_542
; %bb.537:
	v_cmp_gt_i16_e64 s10, s4, 27
	s_delay_alu instid0(VALU_DEP_1)
	s_and_b32 vcc_lo, exec_lo, s10
	s_mov_b32 s10, -1
	s_cbranch_vccz .LBB47_539
; %bb.538:
	v_cvt_u32_f64_e32 v4, s[2:3]
	s_mov_b32 s10, 0
	global_store_b32 v[2:3], v4, off
.LBB47_539:
	s_and_not1_b32 vcc_lo, exec_lo, s10
	s_cbranch_vccnz .LBB47_541
; %bb.540:
	v_cvt_u32_f64_e32 v4, s[2:3]
	global_store_b16 v[2:3], v4, off
.LBB47_541:
	s_mov_b32 s10, 0
.LBB47_542:
	s_delay_alu instid0(SALU_CYCLE_1)
	s_and_not1_b32 vcc_lo, exec_lo, s10
	s_cbranch_vccnz .LBB47_554
; %bb.543:
	v_cvt_f32_f64_e32 v4, s[2:3]
	v_mov_b32_e32 v5, 0x80
	s_delay_alu instid0(VALU_DEP_2) | instskip(NEXT) | instid1(VALU_DEP_1)
	v_readfirstlane_b32 s10, v4
	s_and_b32 s11, s10, 0x7fffffff
	s_delay_alu instid0(SALU_CYCLE_1)
	s_cmp_gt_u32 s11, 0x437fffff
	s_cbranch_scc1 .LBB47_553
; %bb.544:
	s_cmp_gt_u32 s11, 0x3bffffff
	s_cbranch_scc0 .LBB47_548
; %bb.545:
	s_bfe_u32 s11, s10, 0x10014
	s_mov_b32 s12, 0
	s_add_i32 s11, s10, s11
	s_delay_alu instid0(SALU_CYCLE_1) | instskip(NEXT) | instid1(SALU_CYCLE_1)
	s_add_i32 s11, s11, 0x487ffff
	s_lshr_b32 s13, s11, 20
	s_mov_b32 s11, -1
	s_branch .LBB47_549
.LBB47_546:
	s_trap 2
	s_sendmsg_rtn_b32 s0, sendmsg(MSG_RTN_GET_DOORBELL)
	s_mov_b32 ttmp2, m0
	s_waitcnt lgkmcnt(0)
	s_and_b32 s0, s0, 0x3ff
	s_delay_alu instid0(SALU_CYCLE_1) | instskip(NEXT) | instid1(SALU_CYCLE_1)
	s_bitset1_b32 s0, 10
	s_mov_b32 m0, s0
	s_sendmsg sendmsg(MSG_INTERRUPT)
	s_mov_b32 m0, ttmp2
.LBB47_547:                             ; =>This Inner Loop Header: Depth=1
	s_sethalt 5
	s_branch .LBB47_547
.LBB47_548:
	s_mov_b32 s12, -1
	s_mov_b32 s11, 0
                                        ; implicit-def: $sgpr13
.LBB47_549:
	v_mov_b32_e32 v4, s13
	s_and_not1_b32 vcc_lo, exec_lo, s12
                                        ; implicit-def: $sgpr12
	s_cbranch_vccnz .LBB47_551
; %bb.550:
	v_add_f32_e64 v4, 0x46000000, |s10|
	s_mov_b32 s12, 0
	s_delay_alu instid0(VALU_DEP_1) | instskip(NEXT) | instid1(VALU_DEP_1)
	v_and_b32_e32 v4, 0xff, v4
	v_cmp_ne_u32_e64 s11, 0, v4
.LBB47_551:
	v_mov_b32_e32 v5, s12
	s_delay_alu instid0(VALU_DEP_2)
	s_and_not1_b32 vcc_lo, exec_lo, s11
	s_cbranch_vccnz .LBB47_553
; %bb.552:
	s_lshr_b32 s10, s10, 24
	s_delay_alu instid0(SALU_CYCLE_1) | instskip(NEXT) | instid1(SALU_CYCLE_1)
	s_and_b32 s10, s10, 0x80
	v_or_b32_e32 v5, s10, v4
.LBB47_553:
	global_store_b8 v[2:3], v5, off
.LBB47_554:
	s_mov_b32 s10, -1
.LBB47_555:
	s_mov_b32 s11, 0
.LBB47_556:
	s_delay_alu instid0(SALU_CYCLE_1)
	s_and_b32 vcc_lo, exec_lo, s11
	s_cbranch_vccz .LBB47_725
; %bb.557:
	v_cmp_gt_i16_e64 s9, s4, 22
	s_delay_alu instid0(VALU_DEP_1)
	s_and_b32 vcc_lo, exec_lo, s9
	s_mov_b32 s9, -1
	s_cbranch_vccz .LBB47_718
; %bb.558:
	v_cmp_lt_i16_e64 s9, s4, 24
	s_delay_alu instid0(VALU_DEP_1)
	s_and_b32 vcc_lo, exec_lo, s9
	s_mov_b32 s9, -1
	s_cbranch_vccnz .LBB47_705
; %bb.559:
	v_cmp_gt_i16_e64 s9, s4, 24
	s_delay_alu instid0(VALU_DEP_1)
	s_and_b32 vcc_lo, exec_lo, s9
	s_mov_b32 s9, -1
	s_cbranch_vccz .LBB47_692
; %bb.560:
	v_cvt_f32_f64_e32 v4, s[2:3]
	v_mov_b32_e32 v5, 0x80
	s_delay_alu instid0(VALU_DEP_2) | instskip(NEXT) | instid1(VALU_DEP_1)
	v_readfirstlane_b32 s9, v4
	s_and_b32 s10, s9, 0x7fffffff
	s_delay_alu instid0(SALU_CYCLE_1)
	s_cmp_gt_u32 s10, 0x477fffff
	s_cbranch_scc1 .LBB47_691
; %bb.561:
	s_cmp_gt_u32 s10, 0x37ffffff
	s_cbranch_scc0 .LBB47_686
; %bb.562:
	s_bfe_u32 s10, s9, 0x10015
	s_mov_b32 s11, 0
	s_add_i32 s10, s9, s10
	s_delay_alu instid0(SALU_CYCLE_1) | instskip(NEXT) | instid1(SALU_CYCLE_1)
	s_add_i32 s10, s10, 0x88fffff
	s_lshr_b32 s12, s10, 21
	s_mov_b32 s10, -1
	s_branch .LBB47_687
.LBB47_563:
	s_mov_b32 s18, s52
.LBB47_564:
	s_and_b32 vcc_lo, exec_lo, s20
	s_cbranch_vccz .LBB47_567
; %bb.565:
	v_cmp_eq_u16_e32 vcc_lo, 44, v19
	s_mov_b32 s18, -1
	s_cbranch_vccz .LBB47_567
; %bb.566:
	v_cndmask_b32_e64 v3, v18, 0xff, s2
	s_mov_b32 s19, -1
	s_mov_b32 s18, 0
	global_store_b8 v[6:7], v3, off
.LBB47_567:
	s_mov_b32 s20, 0
.LBB47_568:
	s_delay_alu instid0(SALU_CYCLE_1)
	s_and_b32 vcc_lo, exec_lo, s20
	s_cbranch_vccz .LBB47_571
; %bb.569:
	v_cmp_eq_u16_e32 vcc_lo, 29, v19
	s_mov_b32 s18, -1
	s_cbranch_vccz .LBB47_571
; %bb.570:
	s_mov_b32 s19, -1
	s_mov_b32 s18, 0
	global_store_b64 v[6:7], v[0:1], off
.LBB47_571:
	s_mov_b32 s20, 0
.LBB47_572:
	s_delay_alu instid0(SALU_CYCLE_1)
	s_and_b32 vcc_lo, exec_lo, s20
	s_cbranch_vccz .LBB47_585
; %bb.573:
	v_cmp_gt_i16_e32 vcc_lo, 27, v19
	s_mov_b32 s19, -1
	s_cbranch_vccnz .LBB47_579
; %bb.574:
	v_cmp_lt_i16_e32 vcc_lo, 27, v19
	s_cbranch_vccz .LBB47_576
; %bb.575:
	s_mov_b32 s19, 0
	global_store_b32 v[6:7], v17, off
.LBB47_576:
	s_and_not1_b32 vcc_lo, exec_lo, s19
	s_cbranch_vccnz .LBB47_578
; %bb.577:
	global_store_b16 v[6:7], v17, off
.LBB47_578:
	s_mov_b32 s19, 0
.LBB47_579:
	s_delay_alu instid0(SALU_CYCLE_1)
	s_and_not1_b32 vcc_lo, exec_lo, s19
	s_cbranch_vccnz .LBB47_584
; %bb.580:
	v_mov_b32_e32 v3, 0x80
	s_and_not1_b32 vcc_lo, exec_lo, s43
	s_cbranch_vccnz .LBB47_583
; %bb.581:
	v_mov_b32_e32 v3, 0
	s_or_b32 s19, s41, s44
	s_delay_alu instid0(SALU_CYCLE_1)
	s_and_not1_b32 vcc_lo, exec_lo, s19
	s_cbranch_vccnz .LBB47_583
; %bb.582:
	v_cndmask_b32_e64 v3, v16, s42, s41
	s_delay_alu instid0(VALU_DEP_1)
	v_or_b32_e32 v3, v3, v13
.LBB47_583:
	global_store_b8 v[6:7], v3, off
.LBB47_584:
	s_mov_b32 s19, -1
.LBB47_585:
	s_mov_b32 s20, 0
.LBB47_586:
	s_delay_alu instid0(SALU_CYCLE_1)
	s_and_b32 vcc_lo, exec_lo, s20
	s_cbranch_vccz .LBB47_608
; %bb.587:
	v_cmp_lt_i16_e32 vcc_lo, 22, v19
	s_mov_b32 s20, -1
	s_cbranch_vccz .LBB47_600
; %bb.588:
	v_cmp_gt_i16_e32 vcc_lo, 24, v19
	s_mov_b32 s19, -1
	s_cbranch_vccnz .LBB47_597
; %bb.589:
	v_cmp_lt_i16_e32 vcc_lo, 24, v19
	s_cbranch_vccz .LBB47_594
; %bb.590:
	v_mov_b32_e32 v3, 0x80
	s_and_not1_b32 vcc_lo, exec_lo, s39
	s_cbranch_vccnz .LBB47_593
; %bb.591:
	v_mov_b32_e32 v3, 0
	s_or_b32 s19, s35, s40
	s_delay_alu instid0(SALU_CYCLE_1)
	s_and_not1_b32 vcc_lo, exec_lo, s19
	s_cbranch_vccnz .LBB47_593
; %bb.592:
	v_cndmask_b32_e64 v3, v15, s37, s35
	s_delay_alu instid0(VALU_DEP_1)
	v_or_b32_e32 v3, v3, v13
.LBB47_593:
	s_mov_b32 s19, 0
	global_store_b8 v[6:7], v3, off
.LBB47_594:
	s_and_b32 vcc_lo, exec_lo, s19
	s_cbranch_vccz .LBB47_596
; %bb.595:
	s_and_b32 s19, s34, exec_lo
	s_cselect_b32 s19, s28, s36
	s_and_b32 s20, s31, exec_lo
	s_cselect_b32 s19, s38, s19
	s_delay_alu instid0(SALU_CYCLE_1)
	v_or_b32_e32 v3, s19, v13
	global_store_b8 v[6:7], v3, off
.LBB47_596:
	s_mov_b32 s19, 0
.LBB47_597:
	s_delay_alu instid0(SALU_CYCLE_1)
	s_and_not1_b32 vcc_lo, exec_lo, s19
	s_cbranch_vccnz .LBB47_599
; %bb.598:
	s_and_b32 s19, s29, exec_lo
	s_cselect_b32 s19, s27, s30
	s_and_b32 s20, s26, exec_lo
	s_cselect_b32 s19, s33, s19
	s_delay_alu instid0(SALU_CYCLE_1)
	v_or_b32_e32 v3, s19, v13
	global_store_b8 v[6:7], v3, off
.LBB47_599:
	s_mov_b32 s20, 0
	s_mov_b32 s19, -1
.LBB47_600:
	s_and_not1_b32 vcc_lo, exec_lo, s20
	s_cbranch_vccnz .LBB47_608
; %bb.601:
	v_cmp_lt_i16_e32 vcc_lo, 14, v19
	s_mov_b32 s20, -1
	s_cbranch_vccz .LBB47_605
; %bb.602:
	v_cmp_eq_u16_e32 vcc_lo, 15, v19
	s_mov_b32 s18, -1
	s_cbranch_vccz .LBB47_604
; %bb.603:
	s_mov_b32 s19, -1
	s_mov_b32 s18, 0
	global_store_b16 v[6:7], v14, off
.LBB47_604:
	s_mov_b32 s20, 0
.LBB47_605:
	s_delay_alu instid0(SALU_CYCLE_1)
	s_and_b32 vcc_lo, exec_lo, s20
	s_cbranch_vccz .LBB47_608
; %bb.606:
	v_cmp_eq_u16_e32 vcc_lo, 11, v19
	s_mov_b32 s18, -1
	s_cbranch_vccz .LBB47_608
; %bb.607:
	s_mov_b32 s19, -1
	s_mov_b32 s18, 0
	global_store_b8 v[6:7], v12, off
.LBB47_608:
.LBB47_609:
	s_and_not1_b32 vcc_lo, exec_lo, s19
	s_cbranch_vccnz .LBB47_426
.LBB47_610:
	v_add_nc_u32_e32 v10, 0x80, v10
	s_mov_b32 s19, -1
.LBB47_611:
	s_and_not1_b32 s20, s52, exec_lo
	s_and_b32 s18, s18, exec_lo
	s_or_not1_b32 s55, s19, exec_lo
	s_or_b32 s20, s20, s18
.LBB47_612:
	s_or_b32 exec_lo, exec_lo, s54
	s_mov_b32 s18, 0
	s_mov_b32 s19, 0
                                        ; implicit-def: $vgpr19
                                        ; implicit-def: $vgpr6_vgpr7
	s_and_saveexec_b32 s21, s55
	s_cbranch_execz .LBB47_680
; %bb.613:
	v_cmp_gt_i32_e32 vcc_lo, s47, v10
	s_mov_b32 s54, s20
                                        ; implicit-def: $vgpr19
                                        ; implicit-def: $vgpr6_vgpr7
	s_and_saveexec_b32 s47, vcc_lo
	s_cbranch_execz .LBB47_679
; %bb.614:
	s_and_not1_b32 vcc_lo, exec_lo, s25
	s_cbranch_vccnz .LBB47_619
; %bb.615:
	v_mov_b32_e32 v3, 0
	s_and_not1_b32 vcc_lo, exec_lo, s49
	s_cbranch_vccnz .LBB47_624
; %bb.616:
	s_add_i32 s49, s48, 1
	s_cmp_eq_u32 s23, 2
	s_mov_b32 s48, 0
	s_cbranch_scc1 .LBB47_620
; %bb.617:
	v_dual_mov_b32 v3, 0 :: v_dual_mov_b32 v6, v10
	s_and_b32 s48, s49, 28
	s_mov_b32 s54, 0
	s_mov_b64 s[18:19], s[0:1]
.LBB47_618:                             ; =>This Inner Loop Header: Depth=1
	s_clause 0x1
	s_load_b256 s[56:63], s[18:19], 0x4
	s_load_b128 s[64:67], s[18:19], 0x24
	s_load_b128 s[68:71], s[16:17], 0x0
	s_add_u32 s18, s18, 48
	s_addc_u32 s19, s19, 0
	s_add_i32 s54, s54, 4
	s_add_u32 s16, s16, 16
	s_addc_u32 s17, s17, 0
	s_cmp_eq_u32 s48, s54
	s_waitcnt lgkmcnt(0)
	v_mul_hi_u32 v7, s57, v6
	s_delay_alu instid0(VALU_DEP_1) | instskip(NEXT) | instid1(VALU_DEP_1)
	v_add_nc_u32_e32 v7, v6, v7
	v_lshrrev_b32_e32 v7, s58, v7
	s_delay_alu instid0(VALU_DEP_1) | instskip(SKIP_1) | instid1(VALU_DEP_2)
	v_mul_hi_u32 v19, s60, v7
	v_mul_lo_u32 v22, v7, s56
	v_add_nc_u32_e32 v19, v7, v19
	s_delay_alu instid0(VALU_DEP_2) | instskip(NEXT) | instid1(VALU_DEP_2)
	v_sub_nc_u32_e32 v22, v6, v22
	v_lshrrev_b32_e32 v19, s61, v19
	s_delay_alu instid0(VALU_DEP_2) | instskip(NEXT) | instid1(VALU_DEP_2)
	v_mul_lo_u32 v22, v22, s68
	v_mul_hi_u32 v20, s63, v19
	v_mul_lo_u32 v23, v19, s59
	s_delay_alu instid0(VALU_DEP_2) | instskip(NEXT) | instid1(VALU_DEP_2)
	v_add_nc_u32_e32 v20, v19, v20
	v_sub_nc_u32_e32 v7, v7, v23
	s_delay_alu instid0(VALU_DEP_2) | instskip(NEXT) | instid1(VALU_DEP_2)
	v_lshrrev_b32_e32 v20, s64, v20
	v_mul_lo_u32 v7, v7, s69
	s_delay_alu instid0(VALU_DEP_2) | instskip(NEXT) | instid1(VALU_DEP_2)
	v_mul_hi_u32 v21, s66, v20
	v_add3_u32 v3, v22, v3, v7
	s_delay_alu instid0(VALU_DEP_2) | instskip(NEXT) | instid1(VALU_DEP_1)
	v_add_nc_u32_e32 v21, v20, v21
	v_lshrrev_b32_e32 v6, s67, v21
	v_mul_lo_u32 v21, v20, s62
	s_delay_alu instid0(VALU_DEP_2) | instskip(NEXT) | instid1(VALU_DEP_2)
	v_mul_lo_u32 v24, v6, s65
	v_sub_nc_u32_e32 v19, v19, v21
	s_delay_alu instid0(VALU_DEP_2) | instskip(NEXT) | instid1(VALU_DEP_2)
	v_sub_nc_u32_e32 v20, v20, v24
	v_mul_lo_u32 v19, v19, s70
	s_delay_alu instid0(VALU_DEP_2) | instskip(NEXT) | instid1(VALU_DEP_1)
	v_mul_lo_u32 v20, v20, s71
	v_add3_u32 v3, v19, v3, v20
	s_cbranch_scc0 .LBB47_618
	s_branch .LBB47_621
.LBB47_619:
	s_mov_b32 s16, -1
                                        ; implicit-def: $vgpr3
	s_branch .LBB47_625
.LBB47_620:
	v_mov_b32_e32 v6, v10
.LBB47_621:
	s_and_b32 s49, s49, 3
	s_delay_alu instid0(SALU_CYCLE_1)
	s_cmp_eq_u32 s49, 0
	s_cbranch_scc1 .LBB47_624
; %bb.622:
	s_lshl_b32 s16, s48, 2
	s_mul_i32 s18, s48, 12
	s_add_u32 s16, s16, s0
	s_addc_u32 s17, s1, 0
	s_add_u32 s16, s16, 0xc4
	s_addc_u32 s17, s17, 0
	;; [unrolled: 2-line block ×3, first 2 shown]
.LBB47_623:                             ; =>This Inner Loop Header: Depth=1
	s_clause 0x1
	s_load_b64 s[54:55], s[18:19], 0x4
	s_load_b32 s48, s[18:19], 0xc
	s_add_u32 s18, s18, 12
	s_addc_u32 s19, s19, 0
	s_waitcnt lgkmcnt(0)
	v_mul_hi_u32 v7, s55, v6
	s_load_b32 s55, s[16:17], 0x0
	s_add_u32 s16, s16, 4
	s_addc_u32 s17, s17, 0
	s_add_i32 s49, s49, -1
	s_delay_alu instid0(SALU_CYCLE_1) | instskip(NEXT) | instid1(VALU_DEP_1)
	s_cmp_lg_u32 s49, 0
	v_add_nc_u32_e32 v7, v6, v7
	s_delay_alu instid0(VALU_DEP_1) | instskip(NEXT) | instid1(VALU_DEP_1)
	v_lshrrev_b32_e32 v7, s48, v7
	v_mul_lo_u32 v19, v7, s54
	s_delay_alu instid0(VALU_DEP_1) | instskip(SKIP_1) | instid1(VALU_DEP_1)
	v_sub_nc_u32_e32 v6, v6, v19
	s_waitcnt lgkmcnt(0)
	v_mad_u64_u32 v[19:20], null, v6, s55, v[3:4]
	v_mov_b32_e32 v6, v7
	s_delay_alu instid0(VALU_DEP_2)
	v_mov_b32_e32 v3, v19
	s_cbranch_scc1 .LBB47_623
.LBB47_624:
	s_mov_b32 s16, 0
.LBB47_625:
	s_delay_alu instid0(SALU_CYCLE_1)
	s_and_not1_b32 vcc_lo, exec_lo, s16
	s_cbranch_vccnz .LBB47_628
; %bb.626:
	v_mul_hi_u32 v3, s9, v10
	s_and_not1_b32 vcc_lo, exec_lo, s46
	s_delay_alu instid0(VALU_DEP_1) | instskip(NEXT) | instid1(VALU_DEP_1)
	v_add_nc_u32_e32 v3, v10, v3
	v_lshrrev_b32_e32 v6, s10, v3
	s_delay_alu instid0(VALU_DEP_1) | instskip(NEXT) | instid1(VALU_DEP_1)
	v_mul_lo_u32 v3, v6, s8
	v_sub_nc_u32_e32 v3, v10, v3
	s_delay_alu instid0(VALU_DEP_1)
	v_mul_lo_u32 v3, v3, s12
	s_cbranch_vccnz .LBB47_628
; %bb.627:
	v_mul_hi_u32 v7, s14, v6
	s_delay_alu instid0(VALU_DEP_1) | instskip(NEXT) | instid1(VALU_DEP_1)
	v_add_nc_u32_e32 v7, v6, v7
	v_lshrrev_b32_e32 v7, s15, v7
	s_delay_alu instid0(VALU_DEP_1) | instskip(NEXT) | instid1(VALU_DEP_1)
	v_mul_lo_u32 v7, v7, s11
	v_sub_nc_u32_e32 v10, v6, v7
	s_delay_alu instid0(VALU_DEP_1) | instskip(NEXT) | instid1(VALU_DEP_1)
	v_mad_u64_u32 v[6:7], null, v10, s13, v[3:4]
	v_mov_b32_e32 v3, v6
.LBB47_628:
	v_and_b32_e64 v19, 0xff, s45
	s_delay_alu instid0(VALU_DEP_2) | instskip(NEXT) | instid1(VALU_DEP_1)
	v_add_co_u32 v6, s4, s4, v3
	v_add_co_ci_u32_e64 v7, null, s5, 0, s4
	s_delay_alu instid0(VALU_DEP_3)
	v_cmp_gt_i16_e32 vcc_lo, 11, v19
	s_mov_b32 s8, 0
	s_mov_b32 s5, -1
	s_mov_b32 s4, s20
	s_cbranch_vccnz .LBB47_678
; %bb.629:
	v_cmp_lt_i16_e32 vcc_lo, 25, v19
	s_mov_b32 s4, s20
	s_cbranch_vccz .LBB47_657
; %bb.630:
	v_cmp_lt_i16_e32 vcc_lo, 28, v19
	s_mov_b32 s4, s20
	s_cbranch_vccz .LBB47_644
	;; [unrolled: 4-line block ×4, first 2 shown]
; %bb.633:
	v_cmp_eq_u16_e32 vcc_lo, 46, v19
	s_mov_b32 s4, -1
	s_cbranch_vccz .LBB47_635
; %bb.634:
	s_mov_b32 s4, 0
	global_store_b32 v[6:7], v14, off
.LBB47_635:
	s_mov_b32 s5, 0
.LBB47_636:
	s_delay_alu instid0(SALU_CYCLE_1)
	s_and_b32 vcc_lo, exec_lo, s5
	s_cbranch_vccz .LBB47_639
; %bb.637:
	v_cmp_eq_u16_e32 vcc_lo, 44, v19
	s_mov_b32 s4, -1
	s_cbranch_vccz .LBB47_639
; %bb.638:
	v_cndmask_b32_e64 v3, v18, 0xff, s2
	s_mov_b32 s4, 0
	global_store_b8 v[6:7], v3, off
.LBB47_639:
	s_mov_b32 s5, 0
.LBB47_640:
	s_delay_alu instid0(SALU_CYCLE_1)
	s_and_b32 vcc_lo, exec_lo, s5
	s_cbranch_vccz .LBB47_643
; %bb.641:
	v_cmp_eq_u16_e32 vcc_lo, 29, v19
	s_mov_b32 s4, -1
	s_cbranch_vccz .LBB47_643
; %bb.642:
	s_mov_b32 s4, 0
	global_store_b64 v[6:7], v[0:1], off
.LBB47_643:
	s_mov_b32 s5, 0
.LBB47_644:
	s_delay_alu instid0(SALU_CYCLE_1)
	s_and_b32 vcc_lo, exec_lo, s5
	s_cbranch_vccz .LBB47_656
; %bb.645:
	v_cmp_gt_i16_e32 vcc_lo, 27, v19
	s_mov_b32 s2, -1
	s_cbranch_vccnz .LBB47_651
; %bb.646:
	v_cmp_lt_i16_e32 vcc_lo, 27, v19
	s_cbranch_vccz .LBB47_648
; %bb.647:
	s_mov_b32 s2, 0
	global_store_b32 v[6:7], v17, off
.LBB47_648:
	s_and_not1_b32 vcc_lo, exec_lo, s2
	s_cbranch_vccnz .LBB47_650
; %bb.649:
	global_store_b16 v[6:7], v17, off
.LBB47_650:
	s_mov_b32 s2, 0
.LBB47_651:
	s_delay_alu instid0(SALU_CYCLE_1)
	s_and_not1_b32 vcc_lo, exec_lo, s2
	s_cbranch_vccnz .LBB47_656
; %bb.652:
	v_mov_b32_e32 v1, 0x80
	s_and_not1_b32 vcc_lo, exec_lo, s43
	s_cbranch_vccnz .LBB47_655
; %bb.653:
	v_mov_b32_e32 v1, 0
	s_or_b32 s2, s41, s44
	s_delay_alu instid0(SALU_CYCLE_1)
	s_and_not1_b32 vcc_lo, exec_lo, s2
	s_cbranch_vccnz .LBB47_655
; %bb.654:
	v_cndmask_b32_e64 v1, v16, s42, s41
	s_delay_alu instid0(VALU_DEP_1)
	v_or_b32_e32 v1, v1, v13
.LBB47_655:
	global_store_b8 v[6:7], v1, off
.LBB47_656:
	s_mov_b32 s5, 0
.LBB47_657:
	s_delay_alu instid0(SALU_CYCLE_1)
	s_and_b32 vcc_lo, exec_lo, s5
	s_mov_b32 s5, 0
	s_cbranch_vccz .LBB47_678
; %bb.658:
	v_cmp_lt_i16_e32 vcc_lo, 22, v19
	s_mov_b32 s2, -1
	s_cbranch_vccz .LBB47_671
; %bb.659:
	v_cmp_gt_i16_e32 vcc_lo, 24, v19
	s_cbranch_vccnz .LBB47_668
; %bb.660:
	v_cmp_lt_i16_e32 vcc_lo, 24, v19
	s_cbranch_vccz .LBB47_665
; %bb.661:
	v_mov_b32_e32 v1, 0x80
	s_and_not1_b32 vcc_lo, exec_lo, s39
	s_cbranch_vccnz .LBB47_664
; %bb.662:
	v_mov_b32_e32 v1, 0
	s_or_b32 s2, s35, s40
	s_delay_alu instid0(SALU_CYCLE_1)
	s_and_not1_b32 vcc_lo, exec_lo, s2
	s_cbranch_vccnz .LBB47_664
; %bb.663:
	v_cndmask_b32_e64 v1, v15, s37, s35
	s_delay_alu instid0(VALU_DEP_1)
	v_or_b32_e32 v1, v1, v13
.LBB47_664:
	s_mov_b32 s2, 0
	global_store_b8 v[6:7], v1, off
.LBB47_665:
	s_and_b32 vcc_lo, exec_lo, s2
	s_cbranch_vccz .LBB47_667
; %bb.666:
	s_and_b32 s2, s34, exec_lo
	s_cselect_b32 s2, s28, s36
	s_and_b32 s8, s31, exec_lo
	s_cselect_b32 s2, s38, s2
	s_delay_alu instid0(SALU_CYCLE_1)
	v_or_b32_e32 v1, s2, v13
	global_store_b8 v[6:7], v1, off
.LBB47_667:
	s_mov_b32 s2, 0
.LBB47_668:
	s_delay_alu instid0(SALU_CYCLE_1)
	s_and_not1_b32 vcc_lo, exec_lo, s2
	s_cbranch_vccnz .LBB47_670
; %bb.669:
	s_and_b32 s2, s29, exec_lo
	s_cselect_b32 s2, s27, s30
	s_and_b32 s8, s26, exec_lo
	s_cselect_b32 s2, s33, s2
	s_delay_alu instid0(SALU_CYCLE_1)
	v_or_b32_e32 v1, s2, v13
	global_store_b8 v[6:7], v1, off
.LBB47_670:
	s_mov_b32 s2, 0
.LBB47_671:
	s_delay_alu instid0(SALU_CYCLE_1)
	s_and_not1_b32 vcc_lo, exec_lo, s2
	s_mov_b32 s8, 0
	s_cbranch_vccnz .LBB47_678
; %bb.672:
	v_cmp_lt_i16_e32 vcc_lo, 14, v19
	s_mov_b32 s2, -1
	s_cbranch_vccz .LBB47_676
; %bb.673:
	v_cmp_eq_u16_e32 vcc_lo, 15, v19
	s_mov_b32 s4, -1
	s_cbranch_vccz .LBB47_675
; %bb.674:
	s_mov_b32 s4, 0
	global_store_b16 v[6:7], v14, off
.LBB47_675:
	s_mov_b32 s2, 0
.LBB47_676:
	s_delay_alu instid0(SALU_CYCLE_1)
	s_and_b32 vcc_lo, exec_lo, s2
	s_cbranch_vccz .LBB47_678
; %bb.677:
	v_cmp_ne_u16_e32 vcc_lo, 11, v19
	s_and_not1_b32 s2, s4, exec_lo
	s_mov_b32 s8, -1
	s_and_b32 s4, vcc_lo, exec_lo
	s_delay_alu instid0(SALU_CYCLE_1)
	s_or_b32 s4, s2, s4
.LBB47_678:
	s_and_not1_b32 s2, s20, exec_lo
	s_and_b32 s4, s4, exec_lo
	s_and_b32 s19, s5, exec_lo
	;; [unrolled: 1-line block ×3, first 2 shown]
	s_or_b32 s54, s2, s4
.LBB47_679:
	s_or_b32 exec_lo, exec_lo, s47
	s_delay_alu instid0(SALU_CYCLE_1)
	s_and_not1_b32 s2, s20, exec_lo
	s_and_b32 s4, s54, exec_lo
	s_and_b32 s19, s19, exec_lo
	;; [unrolled: 1-line block ×3, first 2 shown]
	s_or_b32 s20, s2, s4
.LBB47_680:
	s_or_b32 exec_lo, exec_lo, s21
	s_delay_alu instid0(SALU_CYCLE_1)
	s_and_not1_b32 s2, s52, exec_lo
	s_and_b32 s4, s20, exec_lo
	s_and_b32 s19, s19, exec_lo
	s_and_b32 s18, s18, exec_lo
	s_or_b32 s52, s2, s4
.LBB47_681:
	s_or_b32 exec_lo, exec_lo, s53
	s_delay_alu instid0(SALU_CYCLE_1)
	s_and_not1_b32 s2, s50, exec_lo
	s_and_b32 s4, s52, exec_lo
	s_and_b32 s19, s19, exec_lo
	;; [unrolled: 1-line block ×3, first 2 shown]
	s_or_b32 s50, s2, s4
	s_or_b32 exec_lo, exec_lo, s51
	s_mov_b32 s2, 0
	s_and_saveexec_b32 s4, s50
	s_cbranch_execz .LBB47_118
.LBB47_682:
	s_cbranch_execnz .LBB47_684
; %bb.683:
	s_mov_b32 s2, exec_lo
	s_and_not1_b32 s52, s52, exec_lo
	s_or_b32 exec_lo, exec_lo, s4
	s_and_saveexec_b32 s4, s52
	s_delay_alu instid0(SALU_CYCLE_1)
	s_xor_b32 s4, exec_lo, s4
	s_cbranch_execnz .LBB47_119
	s_branch .LBB47_120
.LBB47_684:
	s_trap 2
	s_sendmsg_rtn_b32 s0, sendmsg(MSG_RTN_GET_DOORBELL)
	s_mov_b32 ttmp2, m0
	s_waitcnt lgkmcnt(0)
	s_and_b32 s0, s0, 0x3ff
	s_delay_alu instid0(SALU_CYCLE_1) | instskip(NEXT) | instid1(SALU_CYCLE_1)
	s_bitset1_b32 s0, 10
	s_mov_b32 m0, s0
	s_sendmsg sendmsg(MSG_INTERRUPT)
	s_mov_b32 m0, ttmp2
.LBB47_685:                             ; =>This Inner Loop Header: Depth=1
	s_sethalt 5
	s_branch .LBB47_685
.LBB47_686:
	s_mov_b32 s11, -1
	s_mov_b32 s10, 0
                                        ; implicit-def: $sgpr12
.LBB47_687:
	v_mov_b32_e32 v4, s12
	s_and_not1_b32 vcc_lo, exec_lo, s11
                                        ; implicit-def: $sgpr11
	s_cbranch_vccnz .LBB47_689
; %bb.688:
	v_add_f32_e64 v4, 0x42800000, |s9|
	s_mov_b32 s11, 0
	s_delay_alu instid0(VALU_DEP_1) | instskip(NEXT) | instid1(VALU_DEP_1)
	v_and_b32_e32 v4, 0xff, v4
	v_cmp_ne_u32_e64 s10, 0, v4
.LBB47_689:
	v_mov_b32_e32 v5, s11
	s_delay_alu instid0(VALU_DEP_2)
	s_and_not1_b32 vcc_lo, exec_lo, s10
	s_cbranch_vccnz .LBB47_691
; %bb.690:
	s_lshr_b32 s9, s9, 24
	s_delay_alu instid0(SALU_CYCLE_1) | instskip(NEXT) | instid1(SALU_CYCLE_1)
	s_and_b32 s9, s9, 0x80
	v_or_b32_e32 v5, s9, v4
.LBB47_691:
	s_mov_b32 s9, 0
	global_store_b8 v[2:3], v5, off
.LBB47_692:
	s_and_b32 vcc_lo, exec_lo, s9
	s_cbranch_vccz .LBB47_704
; %bb.693:
	v_cvt_f32_f64_e32 v4, s[2:3]
	s_delay_alu instid0(VALU_DEP_1) | instskip(NEXT) | instid1(VALU_DEP_1)
	v_readfirstlane_b32 s9, v4
	s_and_b32 s10, s9, 0x7fffffff
	s_delay_alu instid0(SALU_CYCLE_1)
	s_cmp_lt_u32 s10, 0x43f00000
	s_cbranch_scc0 .LBB47_696
; %bb.694:
	s_cmp_gt_u32 s10, 0x3c7fffff
	s_cbranch_scc0 .LBB47_697
; %bb.695:
	s_bfe_u32 s11, s9, 0x10014
	s_delay_alu instid0(SALU_CYCLE_1) | instskip(NEXT) | instid1(SALU_CYCLE_1)
	s_add_i32 s11, s9, s11
	s_add_i32 s11, s11, 0x407ffff
	s_delay_alu instid0(SALU_CYCLE_1)
	s_and_b32 s12, s11, 0xff00000
	s_lshr_b32 s11, s11, 20
	s_cmp_lg_u32 s12, 0x7f00000
	s_cselect_b32 s12, s11, 0x7e
	s_mov_b32 s11, 0
	s_branch .LBB47_698
.LBB47_696:
	s_mov_b32 s11, -1
                                        ; implicit-def: $vgpr5
	s_branch .LBB47_701
.LBB47_697:
	s_mov_b32 s11, -1
                                        ; implicit-def: $sgpr12
.LBB47_698:
	v_mov_b32_e32 v5, s12
	s_and_not1_b32 vcc_lo, exec_lo, s11
	s_cbranch_vccnz .LBB47_700
; %bb.699:
	v_add_f32_e64 v5, 0x46800000, |v4|
.LBB47_700:
	s_mov_b32 s11, 0
.LBB47_701:
	s_delay_alu instid0(SALU_CYCLE_1)
	s_and_not1_b32 vcc_lo, exec_lo, s11
	s_cbranch_vccnz .LBB47_703
; %bb.702:
	s_cmp_gt_u32 s10, 0x7f800000
	s_movk_i32 s10, 0x7f
	s_delay_alu instid0(SALU_CYCLE_1) | instskip(NEXT) | instid1(SALU_CYCLE_1)
	s_cselect_b32 s10, s10, 0x7e
	v_mov_b32_e32 v5, s10
.LBB47_703:
	s_lshr_b32 s9, s9, 24
	s_delay_alu instid0(SALU_CYCLE_1)
	s_and_b32 s9, s9, 0x80
	s_delay_alu instid0(VALU_DEP_1) | instid1(SALU_CYCLE_1)
	v_or_b32_e32 v4, s9, v5
	global_store_b8 v[2:3], v4, off
.LBB47_704:
	s_mov_b32 s9, 0
.LBB47_705:
	s_delay_alu instid0(SALU_CYCLE_1)
	s_and_not1_b32 vcc_lo, exec_lo, s9
	s_cbranch_vccnz .LBB47_717
; %bb.706:
	v_cvt_f32_f64_e32 v4, s[2:3]
	s_delay_alu instid0(VALU_DEP_1) | instskip(NEXT) | instid1(VALU_DEP_1)
	v_readfirstlane_b32 s9, v4
	s_and_b32 s10, s9, 0x7fffffff
	s_delay_alu instid0(SALU_CYCLE_1)
	s_cmp_lt_u32 s10, 0x47800000
	s_cbranch_scc0 .LBB47_709
; %bb.707:
	s_cmp_gt_u32 s10, 0x387fffff
	s_cbranch_scc0 .LBB47_710
; %bb.708:
	s_bfe_u32 s11, s9, 0x10015
	s_delay_alu instid0(SALU_CYCLE_1) | instskip(NEXT) | instid1(SALU_CYCLE_1)
	s_add_i32 s11, s9, s11
	s_add_i32 s11, s11, 0x80fffff
	s_delay_alu instid0(SALU_CYCLE_1)
	s_lshr_b32 s12, s11, 21
	s_mov_b32 s11, 0
	s_branch .LBB47_711
.LBB47_709:
	s_mov_b32 s11, -1
                                        ; implicit-def: $vgpr5
	s_branch .LBB47_714
.LBB47_710:
	s_mov_b32 s11, -1
                                        ; implicit-def: $sgpr12
.LBB47_711:
	v_mov_b32_e32 v5, s12
	s_and_not1_b32 vcc_lo, exec_lo, s11
	s_cbranch_vccnz .LBB47_713
; %bb.712:
	v_add_f32_e64 v5, 0x43000000, |v4|
.LBB47_713:
	s_mov_b32 s11, 0
.LBB47_714:
	s_delay_alu instid0(SALU_CYCLE_1)
	s_and_not1_b32 vcc_lo, exec_lo, s11
	s_cbranch_vccnz .LBB47_716
; %bb.715:
	s_cmp_gt_u32 s10, 0x7f800000
	s_movk_i32 s10, 0x7f
	s_delay_alu instid0(SALU_CYCLE_1) | instskip(NEXT) | instid1(SALU_CYCLE_1)
	s_cselect_b32 s10, s10, 0x7c
	v_mov_b32_e32 v5, s10
.LBB47_716:
	s_lshr_b32 s9, s9, 24
	s_delay_alu instid0(SALU_CYCLE_1)
	s_and_b32 s9, s9, 0x80
	s_delay_alu instid0(VALU_DEP_1) | instid1(SALU_CYCLE_1)
	v_or_b32_e32 v4, s9, v5
	global_store_b8 v[2:3], v4, off
.LBB47_717:
	s_mov_b32 s9, 0
	s_mov_b32 s10, -1
.LBB47_718:
	s_and_not1_b32 vcc_lo, exec_lo, s9
	s_mov_b32 s9, 0
	s_cbranch_vccnz .LBB47_725
; %bb.719:
	v_cmp_gt_i16_e64 s9, s4, 14
	s_delay_alu instid0(VALU_DEP_1)
	s_and_b32 vcc_lo, exec_lo, s9
	s_mov_b32 s9, -1
	s_cbranch_vccz .LBB47_723
; %bb.720:
	v_cmp_eq_u16_e64 s8, s4, 15
	s_delay_alu instid0(VALU_DEP_1)
	s_and_b32 vcc_lo, exec_lo, s8
	s_mov_b32 s8, -1
	s_cbranch_vccz .LBB47_722
; %bb.721:
	v_cvt_f32_f64_e32 v4, s[2:3]
	s_mov_b32 s8, 0
	s_mov_b32 s10, -1
	s_delay_alu instid0(VALU_DEP_1) | instskip(SKIP_1) | instid1(VALU_DEP_2)
	v_bfe_u32 v5, v4, 16, 1
	v_cmp_o_f32_e32 vcc_lo, v4, v4
	v_add_nc_u32_e32 v5, v4, v5
	s_delay_alu instid0(VALU_DEP_1) | instskip(NEXT) | instid1(VALU_DEP_1)
	v_add_nc_u32_e32 v5, 0x7fff, v5
	v_lshrrev_b32_e32 v5, 16, v5
	s_delay_alu instid0(VALU_DEP_1)
	v_cndmask_b32_e32 v4, 0x7fc0, v5, vcc_lo
	global_store_b16 v[2:3], v4, off
.LBB47_722:
	s_mov_b32 s9, 0
.LBB47_723:
	s_delay_alu instid0(SALU_CYCLE_1)
	s_and_b32 vcc_lo, exec_lo, s9
	s_mov_b32 s9, 0
	s_cbranch_vccz .LBB47_725
; %bb.724:
	v_cmp_ne_u16_e64 s8, s4, 11
	s_mov_b32 s9, -1
.LBB47_725:
	s_delay_alu instid0(VALU_DEP_1)
	s_and_b32 vcc_lo, exec_lo, s8
	s_cbranch_vccnz .LBB47_778
; %bb.726:
	s_and_not1_b32 vcc_lo, exec_lo, s9
	s_cbranch_vccnz .LBB47_728
.LBB47_727:
	v_cmp_neq_f64_e64 s8, s[2:3], 0
	s_mov_b32 s10, -1
	s_delay_alu instid0(VALU_DEP_1)
	v_cndmask_b32_e64 v4, 0, 1, s8
	global_store_b8 v[2:3], v4, off
.LBB47_728:
	s_mov_b32 s8, 0
.LBB47_729:
	s_delay_alu instid0(SALU_CYCLE_1)
	s_and_b32 vcc_lo, exec_lo, s8
	s_cbranch_vccz .LBB47_768
; %bb.730:
	v_cmp_lt_i16_e64 s8, s4, 5
	s_delay_alu instid0(VALU_DEP_1)
	s_and_b32 vcc_lo, exec_lo, s8
	s_mov_b32 s8, -1
	s_cbranch_vccnz .LBB47_751
; %bb.731:
	v_cmp_lt_i16_e64 s8, s4, 8
	s_delay_alu instid0(VALU_DEP_1)
	s_and_b32 vcc_lo, exec_lo, s8
	s_mov_b32 s8, -1
	s_cbranch_vccnz .LBB47_741
	;; [unrolled: 6-line block ×3, first 2 shown]
; %bb.733:
	v_cmp_gt_i16_e64 s8, s4, 9
	s_delay_alu instid0(VALU_DEP_1)
	s_and_b32 vcc_lo, exec_lo, s8
	s_mov_b32 s8, -1
	s_cbranch_vccz .LBB47_735
; %bb.734:
	v_dual_mov_b32 v6, 0 :: v_dual_mov_b32 v5, s3
	v_mov_b32_e32 v4, s2
	s_mov_b32 s8, 0
	s_delay_alu instid0(VALU_DEP_2)
	v_mov_b32_e32 v7, v6
	global_store_b128 v[2:3], v[4:7], off
.LBB47_735:
	s_and_not1_b32 vcc_lo, exec_lo, s8
	s_cbranch_vccnz .LBB47_737
; %bb.736:
	v_cvt_f32_f64_e32 v4, s[2:3]
	v_mov_b32_e32 v5, 0
	global_store_b64 v[2:3], v[4:5], off
.LBB47_737:
	s_mov_b32 s8, 0
.LBB47_738:
	s_delay_alu instid0(SALU_CYCLE_1)
	s_and_not1_b32 vcc_lo, exec_lo, s8
	s_cbranch_vccnz .LBB47_740
; %bb.739:
	v_cvt_f32_f64_e32 v4, s[2:3]
	s_delay_alu instid0(VALU_DEP_1) | instskip(NEXT) | instid1(VALU_DEP_1)
	v_cvt_f16_f32_e32 v4, v4
	v_and_b32_e32 v4, 0xffff, v4
	global_store_b32 v[2:3], v4, off
.LBB47_740:
	s_mov_b32 s8, 0
.LBB47_741:
	s_delay_alu instid0(SALU_CYCLE_1)
	s_and_not1_b32 vcc_lo, exec_lo, s8
	s_cbranch_vccnz .LBB47_750
; %bb.742:
	v_cmp_lt_i16_e64 s8, s4, 6
	s_delay_alu instid0(VALU_DEP_1)
	s_and_b32 vcc_lo, exec_lo, s8
	s_mov_b32 s8, -1
	s_cbranch_vccnz .LBB47_748
; %bb.743:
	v_cmp_gt_i16_e64 s8, s4, 6
	s_delay_alu instid0(VALU_DEP_1)
	s_and_b32 vcc_lo, exec_lo, s8
	s_mov_b32 s8, -1
	s_cbranch_vccz .LBB47_745
; %bb.744:
	v_dual_mov_b32 v5, s3 :: v_dual_mov_b32 v4, s2
	s_mov_b32 s8, 0
	global_store_b64 v[2:3], v[4:5], off
.LBB47_745:
	s_and_not1_b32 vcc_lo, exec_lo, s8
	s_cbranch_vccnz .LBB47_747
; %bb.746:
	v_cvt_f32_f64_e32 v4, s[2:3]
	global_store_b32 v[2:3], v4, off
.LBB47_747:
	s_mov_b32 s8, 0
.LBB47_748:
	s_delay_alu instid0(SALU_CYCLE_1)
	s_and_not1_b32 vcc_lo, exec_lo, s8
	s_cbranch_vccnz .LBB47_750
; %bb.749:
	v_cvt_f32_f64_e32 v4, s[2:3]
	s_delay_alu instid0(VALU_DEP_1)
	v_cvt_f16_f32_e32 v4, v4
	global_store_b16 v[2:3], v4, off
.LBB47_750:
	s_mov_b32 s8, 0
.LBB47_751:
	s_delay_alu instid0(SALU_CYCLE_1)
	s_and_not1_b32 vcc_lo, exec_lo, s8
	s_cbranch_vccnz .LBB47_767
; %bb.752:
	v_cmp_lt_i16_e64 s8, s4, 2
	s_delay_alu instid0(VALU_DEP_1)
	s_and_b32 vcc_lo, exec_lo, s8
	s_mov_b32 s8, -1
	s_cbranch_vccnz .LBB47_762
; %bb.753:
	v_cmp_lt_i16_e64 s8, s4, 3
	s_delay_alu instid0(VALU_DEP_1)
	s_and_b32 vcc_lo, exec_lo, s8
	s_mov_b32 s8, -1
	s_cbranch_vccnz .LBB47_759
; %bb.754:
	v_cmp_gt_i16_e64 s8, s4, 3
	s_delay_alu instid0(VALU_DEP_1)
	s_and_b32 vcc_lo, exec_lo, s8
	s_mov_b32 s8, -1
	s_cbranch_vccz .LBB47_756
; %bb.755:
	v_trunc_f64_e32 v[4:5], s[2:3]
	s_mov_b32 s8, 0
	s_delay_alu instid0(VALU_DEP_1) | instskip(NEXT) | instid1(VALU_DEP_1)
	v_ldexp_f64 v[6:7], v[4:5], 0xffffffe0
	v_floor_f64_e32 v[6:7], v[6:7]
	s_delay_alu instid0(VALU_DEP_1) | instskip(SKIP_1) | instid1(VALU_DEP_2)
	v_fma_f64 v[4:5], 0xc1f00000, v[6:7], v[4:5]
	v_cvt_i32_f64_e32 v6, v[6:7]
	v_cvt_u32_f64_e32 v5, v[4:5]
	global_store_b64 v[2:3], v[5:6], off
.LBB47_756:
	s_and_not1_b32 vcc_lo, exec_lo, s8
	s_cbranch_vccnz .LBB47_758
; %bb.757:
	v_cvt_i32_f64_e32 v4, s[2:3]
	global_store_b32 v[2:3], v4, off
.LBB47_758:
	s_mov_b32 s8, 0
.LBB47_759:
	s_delay_alu instid0(SALU_CYCLE_1)
	s_and_not1_b32 vcc_lo, exec_lo, s8
	s_cbranch_vccnz .LBB47_761
; %bb.760:
	v_cvt_i32_f64_e32 v4, s[2:3]
	global_store_b16 v[2:3], v4, off
.LBB47_761:
	s_mov_b32 s8, 0
.LBB47_762:
	s_delay_alu instid0(SALU_CYCLE_1)
	s_and_not1_b32 vcc_lo, exec_lo, s8
	s_cbranch_vccnz .LBB47_767
; %bb.763:
	v_cmp_gt_i16_e64 s8, s4, 0
	s_delay_alu instid0(VALU_DEP_1)
	s_and_b32 vcc_lo, exec_lo, s8
	s_mov_b32 s8, -1
	s_cbranch_vccz .LBB47_765
; %bb.764:
	v_cvt_i32_f64_e32 v4, s[2:3]
	s_mov_b32 s8, 0
	global_store_b8 v[2:3], v4, off
.LBB47_765:
	s_and_not1_b32 vcc_lo, exec_lo, s8
	s_cbranch_vccnz .LBB47_767
; %bb.766:
	v_trunc_f64_e32 v[4:5], s[2:3]
	s_delay_alu instid0(VALU_DEP_1) | instskip(NEXT) | instid1(VALU_DEP_1)
	v_ldexp_f64 v[6:7], v[4:5], 0xffffffe0
	v_floor_f64_e32 v[6:7], v[6:7]
	s_delay_alu instid0(VALU_DEP_1) | instskip(NEXT) | instid1(VALU_DEP_1)
	v_fma_f64 v[4:5], 0xc1f00000, v[6:7], v[4:5]
	v_cvt_u32_f64_e32 v4, v[4:5]
	global_store_b8 v[2:3], v4, off
.LBB47_767:
	s_mov_b32 s10, -1
.LBB47_768:
	s_delay_alu instid0(SALU_CYCLE_1)
	s_and_not1_b32 vcc_lo, exec_lo, s10
	s_cbranch_vccnz .LBB47_910
; %bb.769:
	v_cmp_lt_i16_e64 s8, s4, 11
	v_add_co_u32 v1, s9, s0, v1
	s_delay_alu instid0(VALU_DEP_1) | instskip(SKIP_1) | instid1(VALU_DEP_3)
	v_add_co_ci_u32_e64 v2, null, s1, 0, s9
	s_mov_b32 s10, 0
	s_and_b32 vcc_lo, exec_lo, s8
	s_mov_b32 s8, -1
	s_cbranch_vccnz .LBB47_862
; %bb.770:
	v_cmp_gt_i16_e64 s8, s4, 25
	s_mov_b32 s11, -1
	s_mov_b32 s9, 0
	s_delay_alu instid0(VALU_DEP_1)
	s_and_b32 vcc_lo, exec_lo, s8
	s_mov_b32 s8, 0
	s_cbranch_vccz .LBB47_812
; %bb.771:
	v_cmp_gt_i16_e64 s8, s4, 28
	s_delay_alu instid0(VALU_DEP_1)
	s_and_b32 vcc_lo, exec_lo, s8
	s_cbranch_vccz .LBB47_776
; %bb.772:
	v_cmp_gt_i16_e64 s8, s4, 43
	s_delay_alu instid0(VALU_DEP_1)
	s_and_b32 vcc_lo, exec_lo, s8
	;; [unrolled: 5-line block ×3, first 2 shown]
	s_cbranch_vccz .LBB47_780
; %bb.774:
	v_cmp_eq_u16_e64 s10, s4, 46
	s_mov_b32 s8, -1
	s_mov_b32 s11, 0
	s_delay_alu instid0(VALU_DEP_1)
	s_and_b32 vcc_lo, exec_lo, s10
	s_mov_b32 s10, 0
	s_cbranch_vccz .LBB47_781
; %bb.775:
	v_cvt_f32_f64_e32 v3, s[2:3]
	s_mov_b32 s8, 0
	s_mov_b32 s10, -1
	s_delay_alu instid0(VALU_DEP_1) | instskip(SKIP_1) | instid1(VALU_DEP_2)
	v_bfe_u32 v4, v3, 16, 1
	v_cmp_o_f32_e32 vcc_lo, v3, v3
	v_add_nc_u32_e32 v4, v3, v4
	s_delay_alu instid0(VALU_DEP_1) | instskip(NEXT) | instid1(VALU_DEP_1)
	v_add_nc_u32_e32 v4, 0x7fff, v4
	v_lshrrev_b32_e32 v4, 16, v4
	s_delay_alu instid0(VALU_DEP_1)
	v_cndmask_b32_e32 v3, 0x7fc0, v4, vcc_lo
	global_store_b32 v[1:2], v3, off
	s_branch .LBB47_781
.LBB47_776:
	s_mov_b32 s8, 0
	s_branch .LBB47_791
.LBB47_777:
	s_mov_b32 s8, 0
	s_branch .LBB47_787
.LBB47_778:
	s_cbranch_execnz .LBB47_802
; %bb.779:
	s_or_b32 s5, s5, exec_lo
	s_cbranch_execz .LBB47_727
	s_branch .LBB47_728
.LBB47_780:
	s_mov_b32 s8, 0
.LBB47_781:
	s_and_b32 vcc_lo, exec_lo, s11
	s_cbranch_vccz .LBB47_786
; %bb.782:
	v_cmp_eq_u16_e64 s8, s4, 44
	s_delay_alu instid0(VALU_DEP_1)
	s_and_b32 vcc_lo, exec_lo, s8
	s_mov_b32 s8, -1
	s_cbranch_vccz .LBB47_786
; %bb.783:
	v_cvt_f32_f64_e32 v3, s[2:3]
	v_mov_b32_e32 v4, 0xff
	s_delay_alu instid0(VALU_DEP_2) | instskip(NEXT) | instid1(VALU_DEP_1)
	v_readfirstlane_b32 s8, v3
	s_bfe_u32 s10, s8, 0x80017
	s_delay_alu instid0(SALU_CYCLE_1)
	s_cmpk_eq_i32 s10, 0xff
	s_cbranch_scc1 .LBB47_785
; %bb.784:
	s_bitcmp1_b32 s8, 22
	v_lshrrev_b32_e32 v3, 23, v3
	s_cselect_b32 s11, -1, 0
	s_and_b32 s8, s8, 0x3fffff
	s_delay_alu instid0(SALU_CYCLE_1) | instskip(NEXT) | instid1(SALU_CYCLE_1)
	s_or_b32 s8, s10, s8
	s_cmp_lg_u32 s8, 0
	s_cselect_b32 s8, -1, 0
	s_delay_alu instid0(SALU_CYCLE_1) | instskip(NEXT) | instid1(SALU_CYCLE_1)
	s_and_b32 s8, s11, s8
	v_cndmask_b32_e64 v4, 0, 1, s8
	s_delay_alu instid0(VALU_DEP_1)
	v_add_nc_u32_e32 v4, v3, v4
.LBB47_785:
	s_mov_b32 s8, 0
	s_mov_b32 s10, -1
	global_store_b8 v[1:2], v4, off
.LBB47_786:
	s_mov_b32 s11, 0
.LBB47_787:
	s_delay_alu instid0(SALU_CYCLE_1)
	s_and_b32 vcc_lo, exec_lo, s11
	s_cbranch_vccz .LBB47_790
; %bb.788:
	v_cmp_eq_u16_e64 s8, s4, 29
	s_delay_alu instid0(VALU_DEP_1)
	s_and_b32 vcc_lo, exec_lo, s8
	s_mov_b32 s8, -1
	s_cbranch_vccz .LBB47_790
; %bb.789:
	v_trunc_f64_e32 v[3:4], s[2:3]
	s_mov_b32 s8, 0
	s_mov_b32 s10, -1
	s_mov_b32 s11, 0
	s_delay_alu instid0(VALU_DEP_1) | instskip(NEXT) | instid1(VALU_DEP_1)
	v_ldexp_f64 v[5:6], v[3:4], 0xffffffe0
	v_floor_f64_e32 v[5:6], v[5:6]
	s_delay_alu instid0(VALU_DEP_1) | instskip(SKIP_1) | instid1(VALU_DEP_2)
	v_fma_f64 v[3:4], 0xc1f00000, v[5:6], v[3:4]
	v_cvt_u32_f64_e32 v5, v[5:6]
	v_cvt_u32_f64_e32 v4, v[3:4]
	global_store_b64 v[1:2], v[4:5], off
	s_branch .LBB47_791
.LBB47_790:
	s_mov_b32 s11, 0
.LBB47_791:
	s_delay_alu instid0(SALU_CYCLE_1)
	s_and_b32 vcc_lo, exec_lo, s11
	s_cbranch_vccz .LBB47_811
; %bb.792:
	v_cmp_lt_i16_e64 s10, s4, 27
	s_delay_alu instid0(VALU_DEP_1)
	s_and_b32 vcc_lo, exec_lo, s10
	s_mov_b32 s10, -1
	s_cbranch_vccnz .LBB47_798
; %bb.793:
	v_cmp_gt_i16_e64 s10, s4, 27
	s_delay_alu instid0(VALU_DEP_1)
	s_and_b32 vcc_lo, exec_lo, s10
	s_mov_b32 s10, -1
	s_cbranch_vccz .LBB47_795
; %bb.794:
	v_cvt_u32_f64_e32 v3, s[2:3]
	s_mov_b32 s10, 0
	global_store_b32 v[1:2], v3, off
.LBB47_795:
	s_and_not1_b32 vcc_lo, exec_lo, s10
	s_cbranch_vccnz .LBB47_797
; %bb.796:
	v_cvt_u32_f64_e32 v3, s[2:3]
	global_store_b16 v[1:2], v3, off
.LBB47_797:
	s_mov_b32 s10, 0
.LBB47_798:
	s_delay_alu instid0(SALU_CYCLE_1)
	s_and_not1_b32 vcc_lo, exec_lo, s10
	s_cbranch_vccnz .LBB47_810
; %bb.799:
	v_cvt_f32_f64_e32 v3, s[2:3]
	v_mov_b32_e32 v4, 0x80
	s_delay_alu instid0(VALU_DEP_2) | instskip(NEXT) | instid1(VALU_DEP_1)
	v_readfirstlane_b32 s10, v3
	s_and_b32 s11, s10, 0x7fffffff
	s_delay_alu instid0(SALU_CYCLE_1)
	s_cmp_gt_u32 s11, 0x437fffff
	s_cbranch_scc1 .LBB47_809
; %bb.800:
	s_cmp_gt_u32 s11, 0x3bffffff
	s_cbranch_scc0 .LBB47_804
; %bb.801:
	s_bfe_u32 s11, s10, 0x10014
	s_mov_b32 s12, 0
	s_add_i32 s11, s10, s11
	s_delay_alu instid0(SALU_CYCLE_1) | instskip(NEXT) | instid1(SALU_CYCLE_1)
	s_add_i32 s11, s11, 0x487ffff
	s_lshr_b32 s13, s11, 20
	s_mov_b32 s11, -1
	s_branch .LBB47_805
.LBB47_802:
	s_trap 2
	s_sendmsg_rtn_b32 s0, sendmsg(MSG_RTN_GET_DOORBELL)
	s_mov_b32 ttmp2, m0
	s_waitcnt lgkmcnt(0)
	s_and_b32 s0, s0, 0x3ff
	s_delay_alu instid0(SALU_CYCLE_1) | instskip(NEXT) | instid1(SALU_CYCLE_1)
	s_bitset1_b32 s0, 10
	s_mov_b32 m0, s0
	s_sendmsg sendmsg(MSG_INTERRUPT)
	s_mov_b32 m0, ttmp2
.LBB47_803:                             ; =>This Inner Loop Header: Depth=1
	s_sethalt 5
	s_branch .LBB47_803
.LBB47_804:
	s_mov_b32 s12, -1
	s_mov_b32 s11, 0
                                        ; implicit-def: $sgpr13
.LBB47_805:
	v_mov_b32_e32 v3, s13
	s_and_not1_b32 vcc_lo, exec_lo, s12
                                        ; implicit-def: $sgpr12
	s_cbranch_vccnz .LBB47_807
; %bb.806:
	v_add_f32_e64 v3, 0x46000000, |s10|
	s_mov_b32 s12, 0
	s_delay_alu instid0(VALU_DEP_1) | instskip(NEXT) | instid1(VALU_DEP_1)
	v_and_b32_e32 v3, 0xff, v3
	v_cmp_ne_u32_e64 s11, 0, v3
.LBB47_807:
	v_mov_b32_e32 v4, s12
	s_delay_alu instid0(VALU_DEP_2)
	s_and_not1_b32 vcc_lo, exec_lo, s11
	s_cbranch_vccnz .LBB47_809
; %bb.808:
	s_lshr_b32 s10, s10, 24
	s_delay_alu instid0(SALU_CYCLE_1) | instskip(NEXT) | instid1(SALU_CYCLE_1)
	s_and_b32 s10, s10, 0x80
	v_or_b32_e32 v4, s10, v3
.LBB47_809:
	global_store_b8 v[1:2], v4, off
.LBB47_810:
	s_mov_b32 s10, -1
.LBB47_811:
	s_mov_b32 s11, 0
.LBB47_812:
	s_delay_alu instid0(SALU_CYCLE_1)
	s_and_b32 vcc_lo, exec_lo, s11
	s_cbranch_vccz .LBB47_858
; %bb.813:
	v_cmp_gt_i16_e64 s9, s4, 22
	s_delay_alu instid0(VALU_DEP_1)
	s_and_b32 vcc_lo, exec_lo, s9
	s_mov_b32 s9, -1
	s_cbranch_vccz .LBB47_851
; %bb.814:
	v_cmp_lt_i16_e64 s9, s4, 24
	s_delay_alu instid0(VALU_DEP_1)
	s_and_b32 vcc_lo, exec_lo, s9
	s_mov_b32 s9, -1
	s_cbranch_vccnz .LBB47_838
; %bb.815:
	v_cmp_gt_i16_e64 s9, s4, 24
	s_delay_alu instid0(VALU_DEP_1)
	s_and_b32 vcc_lo, exec_lo, s9
	s_mov_b32 s9, -1
	s_cbranch_vccz .LBB47_825
; %bb.816:
	v_cvt_f32_f64_e32 v3, s[2:3]
	v_mov_b32_e32 v4, 0x80
	s_delay_alu instid0(VALU_DEP_2) | instskip(NEXT) | instid1(VALU_DEP_1)
	v_readfirstlane_b32 s9, v3
	s_and_b32 s10, s9, 0x7fffffff
	s_delay_alu instid0(SALU_CYCLE_1)
	s_cmp_gt_u32 s10, 0x477fffff
	s_cbranch_scc1 .LBB47_824
; %bb.817:
	s_cmp_gt_u32 s10, 0x37ffffff
	s_cbranch_scc0 .LBB47_819
; %bb.818:
	s_bfe_u32 s10, s9, 0x10015
	s_mov_b32 s11, 0
	s_add_i32 s10, s9, s10
	s_delay_alu instid0(SALU_CYCLE_1) | instskip(NEXT) | instid1(SALU_CYCLE_1)
	s_add_i32 s10, s10, 0x88fffff
	s_lshr_b32 s12, s10, 21
	s_mov_b32 s10, -1
	s_branch .LBB47_820
.LBB47_819:
	s_mov_b32 s11, -1
	s_mov_b32 s10, 0
                                        ; implicit-def: $sgpr12
.LBB47_820:
	v_mov_b32_e32 v3, s12
	s_and_not1_b32 vcc_lo, exec_lo, s11
                                        ; implicit-def: $sgpr11
	s_cbranch_vccnz .LBB47_822
; %bb.821:
	v_add_f32_e64 v3, 0x42800000, |s9|
	s_mov_b32 s11, 0
	s_delay_alu instid0(VALU_DEP_1) | instskip(NEXT) | instid1(VALU_DEP_1)
	v_and_b32_e32 v3, 0xff, v3
	v_cmp_ne_u32_e64 s10, 0, v3
.LBB47_822:
	v_mov_b32_e32 v4, s11
	s_delay_alu instid0(VALU_DEP_2)
	s_and_not1_b32 vcc_lo, exec_lo, s10
	s_cbranch_vccnz .LBB47_824
; %bb.823:
	s_lshr_b32 s9, s9, 24
	s_delay_alu instid0(SALU_CYCLE_1) | instskip(NEXT) | instid1(SALU_CYCLE_1)
	s_and_b32 s9, s9, 0x80
	v_or_b32_e32 v4, s9, v3
.LBB47_824:
	s_mov_b32 s9, 0
	global_store_b8 v[1:2], v4, off
.LBB47_825:
	s_and_b32 vcc_lo, exec_lo, s9
	s_cbranch_vccz .LBB47_837
; %bb.826:
	v_cvt_f32_f64_e32 v3, s[2:3]
	s_delay_alu instid0(VALU_DEP_1) | instskip(NEXT) | instid1(VALU_DEP_1)
	v_readfirstlane_b32 s9, v3
	s_and_b32 s10, s9, 0x7fffffff
	s_delay_alu instid0(SALU_CYCLE_1)
	s_cmp_lt_u32 s10, 0x43f00000
	s_cbranch_scc0 .LBB47_829
; %bb.827:
	s_cmp_gt_u32 s10, 0x3c7fffff
	s_cbranch_scc0 .LBB47_830
; %bb.828:
	s_bfe_u32 s11, s9, 0x10014
	s_delay_alu instid0(SALU_CYCLE_1) | instskip(NEXT) | instid1(SALU_CYCLE_1)
	s_add_i32 s11, s9, s11
	s_add_i32 s11, s11, 0x407ffff
	s_delay_alu instid0(SALU_CYCLE_1)
	s_and_b32 s12, s11, 0xff00000
	s_lshr_b32 s11, s11, 20
	s_cmp_lg_u32 s12, 0x7f00000
	s_cselect_b32 s12, s11, 0x7e
	s_mov_b32 s11, 0
	s_branch .LBB47_831
.LBB47_829:
	s_mov_b32 s11, -1
                                        ; implicit-def: $vgpr4
	s_branch .LBB47_834
.LBB47_830:
	s_mov_b32 s11, -1
                                        ; implicit-def: $sgpr12
.LBB47_831:
	v_mov_b32_e32 v4, s12
	s_and_not1_b32 vcc_lo, exec_lo, s11
	s_cbranch_vccnz .LBB47_833
; %bb.832:
	v_add_f32_e64 v4, 0x46800000, |v3|
.LBB47_833:
	s_mov_b32 s11, 0
.LBB47_834:
	s_delay_alu instid0(SALU_CYCLE_1)
	s_and_not1_b32 vcc_lo, exec_lo, s11
	s_cbranch_vccnz .LBB47_836
; %bb.835:
	s_cmp_gt_u32 s10, 0x7f800000
	s_movk_i32 s10, 0x7f
	s_delay_alu instid0(SALU_CYCLE_1) | instskip(NEXT) | instid1(SALU_CYCLE_1)
	s_cselect_b32 s10, s10, 0x7e
	v_mov_b32_e32 v4, s10
.LBB47_836:
	s_lshr_b32 s9, s9, 24
	s_delay_alu instid0(SALU_CYCLE_1)
	s_and_b32 s9, s9, 0x80
	s_delay_alu instid0(VALU_DEP_1) | instid1(SALU_CYCLE_1)
	v_or_b32_e32 v3, s9, v4
	global_store_b8 v[1:2], v3, off
.LBB47_837:
	s_mov_b32 s9, 0
.LBB47_838:
	s_delay_alu instid0(SALU_CYCLE_1)
	s_and_not1_b32 vcc_lo, exec_lo, s9
	s_cbranch_vccnz .LBB47_850
; %bb.839:
	v_cvt_f32_f64_e32 v3, s[2:3]
	s_delay_alu instid0(VALU_DEP_1) | instskip(NEXT) | instid1(VALU_DEP_1)
	v_readfirstlane_b32 s9, v3
	s_and_b32 s10, s9, 0x7fffffff
	s_delay_alu instid0(SALU_CYCLE_1)
	s_cmp_lt_u32 s10, 0x47800000
	s_cbranch_scc0 .LBB47_842
; %bb.840:
	s_cmp_gt_u32 s10, 0x387fffff
	s_cbranch_scc0 .LBB47_843
; %bb.841:
	s_bfe_u32 s11, s9, 0x10015
	s_delay_alu instid0(SALU_CYCLE_1) | instskip(NEXT) | instid1(SALU_CYCLE_1)
	s_add_i32 s11, s9, s11
	s_add_i32 s11, s11, 0x80fffff
	s_delay_alu instid0(SALU_CYCLE_1)
	s_lshr_b32 s12, s11, 21
	s_mov_b32 s11, 0
	s_branch .LBB47_844
.LBB47_842:
	s_mov_b32 s11, -1
                                        ; implicit-def: $vgpr4
	s_branch .LBB47_847
.LBB47_843:
	s_mov_b32 s11, -1
                                        ; implicit-def: $sgpr12
.LBB47_844:
	v_mov_b32_e32 v4, s12
	s_and_not1_b32 vcc_lo, exec_lo, s11
	s_cbranch_vccnz .LBB47_846
; %bb.845:
	v_add_f32_e64 v4, 0x43000000, |v3|
.LBB47_846:
	s_mov_b32 s11, 0
.LBB47_847:
	s_delay_alu instid0(SALU_CYCLE_1)
	s_and_not1_b32 vcc_lo, exec_lo, s11
	s_cbranch_vccnz .LBB47_849
; %bb.848:
	s_cmp_gt_u32 s10, 0x7f800000
	s_movk_i32 s10, 0x7f
	s_delay_alu instid0(SALU_CYCLE_1) | instskip(NEXT) | instid1(SALU_CYCLE_1)
	s_cselect_b32 s10, s10, 0x7c
	v_mov_b32_e32 v4, s10
.LBB47_849:
	s_lshr_b32 s9, s9, 24
	s_delay_alu instid0(SALU_CYCLE_1)
	s_and_b32 s9, s9, 0x80
	s_delay_alu instid0(VALU_DEP_1) | instid1(SALU_CYCLE_1)
	v_or_b32_e32 v3, s9, v4
	global_store_b8 v[1:2], v3, off
.LBB47_850:
	s_mov_b32 s9, 0
	s_mov_b32 s10, -1
.LBB47_851:
	s_and_not1_b32 vcc_lo, exec_lo, s9
	s_mov_b32 s9, 0
	s_cbranch_vccnz .LBB47_858
; %bb.852:
	v_cmp_gt_i16_e64 s9, s4, 14
	s_delay_alu instid0(VALU_DEP_1)
	s_and_b32 vcc_lo, exec_lo, s9
	s_mov_b32 s9, -1
	s_cbranch_vccz .LBB47_856
; %bb.853:
	v_cmp_eq_u16_e64 s8, s4, 15
	s_delay_alu instid0(VALU_DEP_1)
	s_and_b32 vcc_lo, exec_lo, s8
	s_mov_b32 s8, -1
	s_cbranch_vccz .LBB47_855
; %bb.854:
	v_cvt_f32_f64_e32 v3, s[2:3]
	s_mov_b32 s8, 0
	s_mov_b32 s10, -1
	s_delay_alu instid0(VALU_DEP_1) | instskip(SKIP_1) | instid1(VALU_DEP_2)
	v_bfe_u32 v4, v3, 16, 1
	v_cmp_o_f32_e32 vcc_lo, v3, v3
	v_add_nc_u32_e32 v4, v3, v4
	s_delay_alu instid0(VALU_DEP_1) | instskip(NEXT) | instid1(VALU_DEP_1)
	v_add_nc_u32_e32 v4, 0x7fff, v4
	v_lshrrev_b32_e32 v4, 16, v4
	s_delay_alu instid0(VALU_DEP_1)
	v_cndmask_b32_e32 v3, 0x7fc0, v4, vcc_lo
	global_store_b16 v[1:2], v3, off
.LBB47_855:
	s_mov_b32 s9, 0
.LBB47_856:
	s_delay_alu instid0(SALU_CYCLE_1)
	s_and_b32 vcc_lo, exec_lo, s9
	s_mov_b32 s9, 0
	s_cbranch_vccz .LBB47_858
; %bb.857:
	v_cmp_ne_u16_e64 s8, s4, 11
	s_mov_b32 s9, -1
.LBB47_858:
	s_delay_alu instid0(VALU_DEP_1)
	s_and_b32 vcc_lo, exec_lo, s8
	s_cbranch_vccnz .LBB47_957
; %bb.859:
	s_and_not1_b32 vcc_lo, exec_lo, s9
	s_cbranch_vccnz .LBB47_861
.LBB47_860:
	v_cmp_neq_f64_e64 s8, s[2:3], 0
	s_mov_b32 s10, -1
	s_delay_alu instid0(VALU_DEP_1)
	v_cndmask_b32_e64 v3, 0, 1, s8
	global_store_b8 v[1:2], v3, off
.LBB47_861:
	s_mov_b32 s8, 0
.LBB47_862:
	s_delay_alu instid0(SALU_CYCLE_1)
	s_and_b32 vcc_lo, exec_lo, s8
	s_cbranch_vccz .LBB47_901
; %bb.863:
	v_cmp_lt_i16_e64 s8, s4, 5
	s_delay_alu instid0(VALU_DEP_1)
	s_and_b32 vcc_lo, exec_lo, s8
	s_mov_b32 s8, -1
	s_cbranch_vccnz .LBB47_884
; %bb.864:
	v_cmp_lt_i16_e64 s8, s4, 8
	s_delay_alu instid0(VALU_DEP_1)
	s_and_b32 vcc_lo, exec_lo, s8
	s_mov_b32 s8, -1
	s_cbranch_vccnz .LBB47_874
	;; [unrolled: 6-line block ×3, first 2 shown]
; %bb.866:
	v_cmp_gt_i16_e64 s8, s4, 9
	s_delay_alu instid0(VALU_DEP_1)
	s_and_b32 vcc_lo, exec_lo, s8
	s_mov_b32 s8, -1
	s_cbranch_vccz .LBB47_868
; %bb.867:
	v_dual_mov_b32 v5, 0 :: v_dual_mov_b32 v4, s3
	v_mov_b32_e32 v3, s2
	s_mov_b32 s8, 0
	s_delay_alu instid0(VALU_DEP_2)
	v_mov_b32_e32 v6, v5
	global_store_b128 v[1:2], v[3:6], off
.LBB47_868:
	s_and_not1_b32 vcc_lo, exec_lo, s8
	s_cbranch_vccnz .LBB47_870
; %bb.869:
	v_cvt_f32_f64_e32 v3, s[2:3]
	v_mov_b32_e32 v4, 0
	global_store_b64 v[1:2], v[3:4], off
.LBB47_870:
	s_mov_b32 s8, 0
.LBB47_871:
	s_delay_alu instid0(SALU_CYCLE_1)
	s_and_not1_b32 vcc_lo, exec_lo, s8
	s_cbranch_vccnz .LBB47_873
; %bb.872:
	v_cvt_f32_f64_e32 v3, s[2:3]
	s_delay_alu instid0(VALU_DEP_1) | instskip(NEXT) | instid1(VALU_DEP_1)
	v_cvt_f16_f32_e32 v3, v3
	v_and_b32_e32 v3, 0xffff, v3
	global_store_b32 v[1:2], v3, off
.LBB47_873:
	s_mov_b32 s8, 0
.LBB47_874:
	s_delay_alu instid0(SALU_CYCLE_1)
	s_and_not1_b32 vcc_lo, exec_lo, s8
	s_cbranch_vccnz .LBB47_883
; %bb.875:
	v_cmp_lt_i16_e64 s8, s4, 6
	s_delay_alu instid0(VALU_DEP_1)
	s_and_b32 vcc_lo, exec_lo, s8
	s_mov_b32 s8, -1
	s_cbranch_vccnz .LBB47_881
; %bb.876:
	v_cmp_gt_i16_e64 s8, s4, 6
	s_delay_alu instid0(VALU_DEP_1)
	s_and_b32 vcc_lo, exec_lo, s8
	s_mov_b32 s8, -1
	s_cbranch_vccz .LBB47_878
; %bb.877:
	v_dual_mov_b32 v4, s3 :: v_dual_mov_b32 v3, s2
	s_mov_b32 s8, 0
	global_store_b64 v[1:2], v[3:4], off
.LBB47_878:
	s_and_not1_b32 vcc_lo, exec_lo, s8
	s_cbranch_vccnz .LBB47_880
; %bb.879:
	v_cvt_f32_f64_e32 v3, s[2:3]
	global_store_b32 v[1:2], v3, off
.LBB47_880:
	s_mov_b32 s8, 0
.LBB47_881:
	s_delay_alu instid0(SALU_CYCLE_1)
	s_and_not1_b32 vcc_lo, exec_lo, s8
	s_cbranch_vccnz .LBB47_883
; %bb.882:
	v_cvt_f32_f64_e32 v3, s[2:3]
	s_delay_alu instid0(VALU_DEP_1)
	v_cvt_f16_f32_e32 v3, v3
	global_store_b16 v[1:2], v3, off
.LBB47_883:
	s_mov_b32 s8, 0
.LBB47_884:
	s_delay_alu instid0(SALU_CYCLE_1)
	s_and_not1_b32 vcc_lo, exec_lo, s8
	s_cbranch_vccnz .LBB47_900
; %bb.885:
	v_cmp_lt_i16_e64 s8, s4, 2
	s_delay_alu instid0(VALU_DEP_1)
	s_and_b32 vcc_lo, exec_lo, s8
	s_mov_b32 s8, -1
	s_cbranch_vccnz .LBB47_895
; %bb.886:
	v_cmp_lt_i16_e64 s8, s4, 3
	s_delay_alu instid0(VALU_DEP_1)
	s_and_b32 vcc_lo, exec_lo, s8
	s_mov_b32 s8, -1
	s_cbranch_vccnz .LBB47_892
; %bb.887:
	v_cmp_gt_i16_e64 s8, s4, 3
	s_delay_alu instid0(VALU_DEP_1)
	s_and_b32 vcc_lo, exec_lo, s8
	s_mov_b32 s8, -1
	s_cbranch_vccz .LBB47_889
; %bb.888:
	v_trunc_f64_e32 v[3:4], s[2:3]
	s_mov_b32 s8, 0
	s_delay_alu instid0(VALU_DEP_1) | instskip(NEXT) | instid1(VALU_DEP_1)
	v_ldexp_f64 v[5:6], v[3:4], 0xffffffe0
	v_floor_f64_e32 v[5:6], v[5:6]
	s_delay_alu instid0(VALU_DEP_1) | instskip(SKIP_1) | instid1(VALU_DEP_2)
	v_fma_f64 v[3:4], 0xc1f00000, v[5:6], v[3:4]
	v_cvt_i32_f64_e32 v5, v[5:6]
	v_cvt_u32_f64_e32 v4, v[3:4]
	global_store_b64 v[1:2], v[4:5], off
.LBB47_889:
	s_and_not1_b32 vcc_lo, exec_lo, s8
	s_cbranch_vccnz .LBB47_891
; %bb.890:
	v_cvt_i32_f64_e32 v3, s[2:3]
	global_store_b32 v[1:2], v3, off
.LBB47_891:
	s_mov_b32 s8, 0
.LBB47_892:
	s_delay_alu instid0(SALU_CYCLE_1)
	s_and_not1_b32 vcc_lo, exec_lo, s8
	s_cbranch_vccnz .LBB47_894
; %bb.893:
	v_cvt_i32_f64_e32 v3, s[2:3]
	global_store_b16 v[1:2], v3, off
.LBB47_894:
	s_mov_b32 s8, 0
.LBB47_895:
	s_delay_alu instid0(SALU_CYCLE_1)
	s_and_not1_b32 vcc_lo, exec_lo, s8
	s_cbranch_vccnz .LBB47_900
; %bb.896:
	v_cmp_gt_i16_e64 s8, s4, 0
	s_delay_alu instid0(VALU_DEP_1)
	s_and_b32 vcc_lo, exec_lo, s8
	s_mov_b32 s8, -1
	s_cbranch_vccz .LBB47_898
; %bb.897:
	v_cvt_i32_f64_e32 v3, s[2:3]
	s_mov_b32 s8, 0
	global_store_b8 v[1:2], v3, off
.LBB47_898:
	s_and_not1_b32 vcc_lo, exec_lo, s8
	s_cbranch_vccnz .LBB47_900
; %bb.899:
	v_trunc_f64_e32 v[3:4], s[2:3]
	s_delay_alu instid0(VALU_DEP_1) | instskip(NEXT) | instid1(VALU_DEP_1)
	v_ldexp_f64 v[5:6], v[3:4], 0xffffffe0
	v_floor_f64_e32 v[5:6], v[5:6]
	s_delay_alu instid0(VALU_DEP_1) | instskip(NEXT) | instid1(VALU_DEP_1)
	v_fma_f64 v[3:4], 0xc1f00000, v[5:6], v[3:4]
	v_cvt_u32_f64_e32 v3, v[3:4]
	global_store_b8 v[1:2], v3, off
.LBB47_900:
	s_mov_b32 s10, -1
.LBB47_901:
	s_delay_alu instid0(SALU_CYCLE_1)
	s_and_not1_b32 vcc_lo, exec_lo, s10
	s_cbranch_vccnz .LBB47_910
; %bb.902:
	v_cmp_lt_i16_e64 s9, s4, 11
	v_add_co_u32 v0, s0, s0, v0
	s_delay_alu instid0(VALU_DEP_1) | instskip(SKIP_1) | instid1(VALU_DEP_3)
	v_add_co_ci_u32_e64 v1, null, s1, 0, s0
	s_mov_b32 s8, 0
	s_and_b32 vcc_lo, exec_lo, s9
	s_mov_b32 s0, -1
	s_cbranch_vccnz .LBB47_911
; %bb.903:
	v_cmp_gt_i16_e64 s0, s4, 25
	s_mov_b32 s1, -1
	s_delay_alu instid0(VALU_DEP_1)
	s_and_b32 vcc_lo, exec_lo, s0
	s_mov_b32 s0, 0
	s_cbranch_vccz .LBB47_990
; %bb.904:
	v_cmp_gt_i16_e64 s0, s4, 28
	s_delay_alu instid0(VALU_DEP_1)
	s_and_b32 vcc_lo, exec_lo, s0
	s_cbranch_vccz .LBB47_955
; %bb.905:
	v_cmp_gt_i16_e64 s0, s4, 43
	s_delay_alu instid0(VALU_DEP_1)
	s_and_b32 vcc_lo, exec_lo, s0
	;; [unrolled: 5-line block ×3, first 2 shown]
	s_cbranch_vccz .LBB47_959
; %bb.907:
	v_cmp_eq_u16_e64 s0, s4, 46
	s_delay_alu instid0(VALU_DEP_1)
	s_and_b32 vcc_lo, exec_lo, s0
	s_mov_b32 s0, -1
	s_cbranch_vccz .LBB47_909
; %bb.908:
	v_cvt_f32_f64_e32 v2, s[2:3]
	s_mov_b32 s0, 0
	s_delay_alu instid0(VALU_DEP_1) | instskip(SKIP_1) | instid1(VALU_DEP_2)
	v_bfe_u32 v3, v2, 16, 1
	v_cmp_o_f32_e32 vcc_lo, v2, v2
	v_add_nc_u32_e32 v3, v2, v3
	s_delay_alu instid0(VALU_DEP_1) | instskip(NEXT) | instid1(VALU_DEP_1)
	v_add_nc_u32_e32 v3, 0x7fff, v3
	v_lshrrev_b32_e32 v3, 16, v3
	s_delay_alu instid0(VALU_DEP_1)
	v_cndmask_b32_e32 v2, 0x7fc0, v3, vcc_lo
	global_store_b32 v[0:1], v2, off
.LBB47_909:
	s_mov_b32 s1, 0
	s_branch .LBB47_960
.LBB47_910:
	s_mov_b32 s0, 0
	s_mov_b32 s8, 0
                                        ; implicit-def: $sgpr4
                                        ; implicit-def: $vgpr0_vgpr1
.LBB47_911:
	s_and_b32 s9, s0, exec_lo
	s_and_not1_b32 s0, s6, exec_lo
	s_and_b32 s1, s5, exec_lo
	s_and_b32 s24, s8, exec_lo
	s_or_b32 s6, s0, s1
.LBB47_912:
	s_or_b32 exec_lo, exec_lo, s7
	s_and_saveexec_b32 s0, s6
	s_cbranch_execz .LBB47_915
; %bb.913:
	; divergent unreachable
	s_or_b32 exec_lo, exec_lo, s0
	s_and_saveexec_b32 s0, s24
	s_delay_alu instid0(SALU_CYCLE_1)
	s_xor_b32 s0, exec_lo, s0
	s_cbranch_execnz .LBB47_916
.LBB47_914:
	s_or_b32 exec_lo, exec_lo, s0
	s_and_saveexec_b32 s0, s9
	s_cbranch_execnz .LBB47_917
	s_branch .LBB47_954
.LBB47_915:
	s_or_b32 exec_lo, exec_lo, s0
	s_and_saveexec_b32 s0, s24
	s_delay_alu instid0(SALU_CYCLE_1)
	s_xor_b32 s0, exec_lo, s0
	s_cbranch_execz .LBB47_914
.LBB47_916:
	v_cmp_neq_f64_e64 s1, s[2:3], 0
	s_delay_alu instid0(VALU_DEP_1)
	v_cndmask_b32_e64 v2, 0, 1, s1
	global_store_b8 v[0:1], v2, off
	s_or_b32 exec_lo, exec_lo, s0
	s_and_saveexec_b32 s0, s9
	s_cbranch_execz .LBB47_954
.LBB47_917:
	v_cmp_lt_i16_e64 s0, s4, 5
	s_delay_alu instid0(VALU_DEP_1)
	s_and_b32 vcc_lo, exec_lo, s0
	s_mov_b32 s0, -1
	s_cbranch_vccnz .LBB47_938
; %bb.918:
	v_cmp_lt_i16_e64 s0, s4, 8
	s_delay_alu instid0(VALU_DEP_1)
	s_and_b32 vcc_lo, exec_lo, s0
	s_mov_b32 s0, -1
	s_cbranch_vccnz .LBB47_928
; %bb.919:
	;; [unrolled: 6-line block ×3, first 2 shown]
	v_cmp_gt_i16_e64 s0, s4, 9
	s_delay_alu instid0(VALU_DEP_1)
	s_and_b32 vcc_lo, exec_lo, s0
	s_mov_b32 s0, -1
	s_cbranch_vccz .LBB47_922
; %bb.921:
	v_dual_mov_b32 v4, 0 :: v_dual_mov_b32 v3, s3
	v_mov_b32_e32 v2, s2
	s_mov_b32 s0, 0
	s_delay_alu instid0(VALU_DEP_2)
	v_mov_b32_e32 v5, v4
	global_store_b128 v[0:1], v[2:5], off
.LBB47_922:
	s_and_not1_b32 vcc_lo, exec_lo, s0
	s_cbranch_vccnz .LBB47_924
; %bb.923:
	v_cvt_f32_f64_e32 v2, s[2:3]
	v_mov_b32_e32 v3, 0
	global_store_b64 v[0:1], v[2:3], off
.LBB47_924:
	s_mov_b32 s0, 0
.LBB47_925:
	s_delay_alu instid0(SALU_CYCLE_1)
	s_and_not1_b32 vcc_lo, exec_lo, s0
	s_cbranch_vccnz .LBB47_927
; %bb.926:
	v_cvt_f32_f64_e32 v2, s[2:3]
	s_delay_alu instid0(VALU_DEP_1) | instskip(NEXT) | instid1(VALU_DEP_1)
	v_cvt_f16_f32_e32 v2, v2
	v_and_b32_e32 v2, 0xffff, v2
	global_store_b32 v[0:1], v2, off
.LBB47_927:
	s_mov_b32 s0, 0
.LBB47_928:
	s_delay_alu instid0(SALU_CYCLE_1)
	s_and_not1_b32 vcc_lo, exec_lo, s0
	s_cbranch_vccnz .LBB47_937
; %bb.929:
	v_cmp_lt_i16_e64 s0, s4, 6
	s_delay_alu instid0(VALU_DEP_1)
	s_and_b32 vcc_lo, exec_lo, s0
	s_mov_b32 s0, -1
	s_cbranch_vccnz .LBB47_935
; %bb.930:
	v_cmp_gt_i16_e64 s0, s4, 6
	s_delay_alu instid0(VALU_DEP_1)
	s_and_b32 vcc_lo, exec_lo, s0
	s_mov_b32 s0, -1
	s_cbranch_vccz .LBB47_932
; %bb.931:
	v_dual_mov_b32 v2, s2 :: v_dual_mov_b32 v3, s3
	s_mov_b32 s0, 0
	global_store_b64 v[0:1], v[2:3], off
.LBB47_932:
	s_and_not1_b32 vcc_lo, exec_lo, s0
	s_cbranch_vccnz .LBB47_934
; %bb.933:
	v_cvt_f32_f64_e32 v2, s[2:3]
	global_store_b32 v[0:1], v2, off
.LBB47_934:
	s_mov_b32 s0, 0
.LBB47_935:
	s_delay_alu instid0(SALU_CYCLE_1)
	s_and_not1_b32 vcc_lo, exec_lo, s0
	s_cbranch_vccnz .LBB47_937
; %bb.936:
	v_cvt_f32_f64_e32 v2, s[2:3]
	s_delay_alu instid0(VALU_DEP_1)
	v_cvt_f16_f32_e32 v2, v2
	global_store_b16 v[0:1], v2, off
.LBB47_937:
	s_mov_b32 s0, 0
.LBB47_938:
	s_delay_alu instid0(SALU_CYCLE_1)
	s_and_not1_b32 vcc_lo, exec_lo, s0
	s_cbranch_vccnz .LBB47_954
; %bb.939:
	v_cmp_lt_i16_e64 s0, s4, 2
	s_delay_alu instid0(VALU_DEP_1)
	s_and_b32 vcc_lo, exec_lo, s0
	s_mov_b32 s0, -1
	s_cbranch_vccnz .LBB47_949
; %bb.940:
	v_cmp_lt_i16_e64 s0, s4, 3
	s_delay_alu instid0(VALU_DEP_1)
	s_and_b32 vcc_lo, exec_lo, s0
	s_mov_b32 s0, -1
	s_cbranch_vccnz .LBB47_946
; %bb.941:
	v_cmp_gt_i16_e64 s0, s4, 3
	s_delay_alu instid0(VALU_DEP_1)
	s_and_b32 vcc_lo, exec_lo, s0
	s_mov_b32 s0, -1
	s_cbranch_vccz .LBB47_943
; %bb.942:
	v_trunc_f64_e32 v[2:3], s[2:3]
	s_mov_b32 s0, 0
	s_delay_alu instid0(VALU_DEP_1) | instskip(NEXT) | instid1(VALU_DEP_1)
	v_ldexp_f64 v[4:5], v[2:3], 0xffffffe0
	v_floor_f64_e32 v[4:5], v[4:5]
	s_delay_alu instid0(VALU_DEP_1) | instskip(SKIP_1) | instid1(VALU_DEP_2)
	v_fma_f64 v[2:3], 0xc1f00000, v[4:5], v[2:3]
	v_cvt_i32_f64_e32 v4, v[4:5]
	v_cvt_u32_f64_e32 v3, v[2:3]
	global_store_b64 v[0:1], v[3:4], off
.LBB47_943:
	s_and_not1_b32 vcc_lo, exec_lo, s0
	s_cbranch_vccnz .LBB47_945
; %bb.944:
	v_cvt_i32_f64_e32 v2, s[2:3]
	global_store_b32 v[0:1], v2, off
.LBB47_945:
	s_mov_b32 s0, 0
.LBB47_946:
	s_delay_alu instid0(SALU_CYCLE_1)
	s_and_not1_b32 vcc_lo, exec_lo, s0
	s_cbranch_vccnz .LBB47_948
; %bb.947:
	v_cvt_i32_f64_e32 v2, s[2:3]
	global_store_b16 v[0:1], v2, off
.LBB47_948:
	s_mov_b32 s0, 0
.LBB47_949:
	s_delay_alu instid0(SALU_CYCLE_1)
	s_and_not1_b32 vcc_lo, exec_lo, s0
	s_cbranch_vccnz .LBB47_954
; %bb.950:
	v_cmp_gt_i16_e64 s0, s4, 0
	s_delay_alu instid0(VALU_DEP_1)
	s_and_b32 vcc_lo, exec_lo, s0
	s_mov_b32 s0, -1
	s_cbranch_vccz .LBB47_952
; %bb.951:
	v_cvt_i32_f64_e32 v2, s[2:3]
	s_mov_b32 s0, 0
	global_store_b8 v[0:1], v2, off
.LBB47_952:
	s_and_not1_b32 vcc_lo, exec_lo, s0
	s_cbranch_vccnz .LBB47_954
; %bb.953:
	v_trunc_f64_e32 v[2:3], s[2:3]
	s_delay_alu instid0(VALU_DEP_1) | instskip(NEXT) | instid1(VALU_DEP_1)
	v_ldexp_f64 v[4:5], v[2:3], 0xffffffe0
	v_floor_f64_e32 v[4:5], v[4:5]
	s_delay_alu instid0(VALU_DEP_1) | instskip(NEXT) | instid1(VALU_DEP_1)
	v_fma_f64 v[2:3], 0xc1f00000, v[4:5], v[2:3]
	v_cvt_u32_f64_e32 v2, v[2:3]
	global_store_b8 v[0:1], v2, off
	s_nop 0
	s_sendmsg sendmsg(MSG_DEALLOC_VGPRS)
	s_endpgm
.LBB47_954:
	s_nop 0
	s_sendmsg sendmsg(MSG_DEALLOC_VGPRS)
	s_endpgm
.LBB47_955:
	s_mov_b32 s0, 0
	s_branch .LBB47_970
.LBB47_956:
	s_mov_b32 s0, 0
	s_branch .LBB47_966
.LBB47_957:
	s_cbranch_execnz .LBB47_981
; %bb.958:
	s_or_b32 s5, s5, exec_lo
	s_cbranch_execz .LBB47_860
	s_branch .LBB47_861
.LBB47_959:
	s_mov_b32 s0, 0
.LBB47_960:
	s_and_b32 vcc_lo, exec_lo, s1
	s_cbranch_vccz .LBB47_965
; %bb.961:
	v_cmp_eq_u16_e64 s0, s4, 44
	s_delay_alu instid0(VALU_DEP_1)
	s_and_b32 vcc_lo, exec_lo, s0
	s_mov_b32 s0, -1
	s_cbranch_vccz .LBB47_965
; %bb.962:
	v_cvt_f32_f64_e32 v2, s[2:3]
	v_mov_b32_e32 v3, 0xff
	s_delay_alu instid0(VALU_DEP_2) | instskip(NEXT) | instid1(VALU_DEP_1)
	v_readfirstlane_b32 s0, v2
	s_bfe_u32 s1, s0, 0x80017
	s_delay_alu instid0(SALU_CYCLE_1)
	s_cmpk_eq_i32 s1, 0xff
	s_cbranch_scc1 .LBB47_964
; %bb.963:
	s_bitcmp1_b32 s0, 22
	v_lshrrev_b32_e32 v2, 23, v2
	s_cselect_b32 s9, -1, 0
	s_and_b32 s0, s0, 0x3fffff
	s_delay_alu instid0(SALU_CYCLE_1) | instskip(NEXT) | instid1(SALU_CYCLE_1)
	s_or_b32 s0, s1, s0
	s_cmp_lg_u32 s0, 0
	s_cselect_b32 s0, -1, 0
	s_delay_alu instid0(SALU_CYCLE_1) | instskip(NEXT) | instid1(SALU_CYCLE_1)
	s_and_b32 s0, s9, s0
	v_cndmask_b32_e64 v3, 0, 1, s0
	s_delay_alu instid0(VALU_DEP_1)
	v_add_nc_u32_e32 v3, v2, v3
.LBB47_964:
	s_mov_b32 s0, 0
	global_store_b8 v[0:1], v3, off
.LBB47_965:
	s_mov_b32 s1, 0
.LBB47_966:
	s_delay_alu instid0(SALU_CYCLE_1)
	s_and_b32 vcc_lo, exec_lo, s1
	s_cbranch_vccz .LBB47_969
; %bb.967:
	v_cmp_eq_u16_e64 s0, s4, 29
	s_delay_alu instid0(VALU_DEP_1)
	s_and_b32 vcc_lo, exec_lo, s0
	s_mov_b32 s0, -1
	s_cbranch_vccz .LBB47_969
; %bb.968:
	v_trunc_f64_e32 v[2:3], s[2:3]
	s_mov_b32 s0, 0
	s_delay_alu instid0(VALU_DEP_1) | instskip(NEXT) | instid1(VALU_DEP_1)
	v_ldexp_f64 v[4:5], v[2:3], 0xffffffe0
	v_floor_f64_e32 v[4:5], v[4:5]
	s_delay_alu instid0(VALU_DEP_1) | instskip(SKIP_1) | instid1(VALU_DEP_2)
	v_fma_f64 v[2:3], 0xc1f00000, v[4:5], v[2:3]
	v_cvt_u32_f64_e32 v4, v[4:5]
	v_cvt_u32_f64_e32 v3, v[2:3]
	global_store_b64 v[0:1], v[3:4], off
.LBB47_969:
	s_mov_b32 s1, 0
.LBB47_970:
	s_delay_alu instid0(SALU_CYCLE_1)
	s_and_b32 vcc_lo, exec_lo, s1
	s_cbranch_vccz .LBB47_989
; %bb.971:
	v_cmp_lt_i16_e64 s1, s4, 27
	s_delay_alu instid0(VALU_DEP_1)
	s_and_b32 vcc_lo, exec_lo, s1
	s_mov_b32 s1, -1
	s_cbranch_vccnz .LBB47_977
; %bb.972:
	v_cvt_u32_f64_e32 v2, s[2:3]
	v_cmp_gt_i16_e64 s1, s4, 27
	s_delay_alu instid0(VALU_DEP_1)
	s_and_b32 vcc_lo, exec_lo, s1
	s_mov_b32 s1, -1
	s_cbranch_vccz .LBB47_974
; %bb.973:
	s_mov_b32 s1, 0
	global_store_b32 v[0:1], v2, off
.LBB47_974:
	s_and_not1_b32 vcc_lo, exec_lo, s1
	s_cbranch_vccnz .LBB47_976
; %bb.975:
	global_store_b16 v[0:1], v2, off
.LBB47_976:
	s_mov_b32 s1, 0
.LBB47_977:
	s_delay_alu instid0(SALU_CYCLE_1)
	s_and_not1_b32 vcc_lo, exec_lo, s1
	s_cbranch_vccnz .LBB47_989
; %bb.978:
	v_cvt_f32_f64_e32 v2, s[2:3]
	v_mov_b32_e32 v3, 0x80
	s_delay_alu instid0(VALU_DEP_2) | instskip(NEXT) | instid1(VALU_DEP_1)
	v_readfirstlane_b32 s1, v2
	s_and_b32 s9, s1, 0x7fffffff
	s_delay_alu instid0(SALU_CYCLE_1)
	s_cmp_gt_u32 s9, 0x437fffff
	s_cbranch_scc1 .LBB47_988
; %bb.979:
	s_cmp_gt_u32 s9, 0x3bffffff
	s_cbranch_scc0 .LBB47_983
; %bb.980:
	s_bfe_u32 s9, s1, 0x10014
	s_mov_b32 s10, 0
	s_add_i32 s9, s1, s9
	s_delay_alu instid0(SALU_CYCLE_1) | instskip(NEXT) | instid1(SALU_CYCLE_1)
	s_add_i32 s9, s9, 0x487ffff
	s_lshr_b32 s11, s9, 20
	s_mov_b32 s9, -1
	s_branch .LBB47_984
.LBB47_981:
	s_trap 2
	s_sendmsg_rtn_b32 s0, sendmsg(MSG_RTN_GET_DOORBELL)
	s_mov_b32 ttmp2, m0
	s_waitcnt lgkmcnt(0)
	s_and_b32 s0, s0, 0x3ff
	s_delay_alu instid0(SALU_CYCLE_1) | instskip(NEXT) | instid1(SALU_CYCLE_1)
	s_bitset1_b32 s0, 10
	s_mov_b32 m0, s0
	s_sendmsg sendmsg(MSG_INTERRUPT)
	s_mov_b32 m0, ttmp2
.LBB47_982:                             ; =>This Inner Loop Header: Depth=1
	s_sethalt 5
	s_branch .LBB47_982
.LBB47_983:
	s_mov_b32 s10, -1
	s_mov_b32 s9, 0
                                        ; implicit-def: $sgpr11
.LBB47_984:
	v_mov_b32_e32 v2, s11
	s_and_not1_b32 vcc_lo, exec_lo, s10
                                        ; implicit-def: $sgpr10
	s_cbranch_vccnz .LBB47_986
; %bb.985:
	v_add_f32_e64 v2, 0x46000000, |s1|
	s_mov_b32 s10, 0
	s_delay_alu instid0(VALU_DEP_1) | instskip(NEXT) | instid1(VALU_DEP_1)
	v_and_b32_e32 v2, 0xff, v2
	v_cmp_ne_u32_e64 s9, 0, v2
.LBB47_986:
	v_mov_b32_e32 v3, s10
	s_delay_alu instid0(VALU_DEP_2)
	s_and_not1_b32 vcc_lo, exec_lo, s9
	s_cbranch_vccnz .LBB47_988
; %bb.987:
	s_lshr_b32 s1, s1, 24
	s_delay_alu instid0(SALU_CYCLE_1) | instskip(NEXT) | instid1(SALU_CYCLE_1)
	s_and_b32 s1, s1, 0x80
	v_or_b32_e32 v3, s1, v2
.LBB47_988:
	global_store_b8 v[0:1], v3, off
.LBB47_989:
	s_mov_b32 s1, 0
.LBB47_990:
	s_delay_alu instid0(SALU_CYCLE_1)
	s_and_b32 vcc_lo, exec_lo, s1
	s_cbranch_vccz .LBB47_1036
; %bb.991:
	v_cmp_gt_i16_e64 s1, s4, 22
	s_delay_alu instid0(VALU_DEP_1)
	s_and_b32 vcc_lo, exec_lo, s1
	s_mov_b32 s1, -1
	s_cbranch_vccz .LBB47_1029
; %bb.992:
	v_cmp_lt_i16_e64 s1, s4, 24
	s_delay_alu instid0(VALU_DEP_1)
	s_and_b32 vcc_lo, exec_lo, s1
	s_mov_b32 s1, -1
	s_cbranch_vccnz .LBB47_1016
; %bb.993:
	v_cmp_gt_i16_e64 s1, s4, 24
	s_delay_alu instid0(VALU_DEP_1)
	s_and_b32 vcc_lo, exec_lo, s1
	s_mov_b32 s1, -1
	s_cbranch_vccz .LBB47_1003
; %bb.994:
	v_cvt_f32_f64_e32 v2, s[2:3]
	v_mov_b32_e32 v3, 0x80
	s_delay_alu instid0(VALU_DEP_2) | instskip(NEXT) | instid1(VALU_DEP_1)
	v_readfirstlane_b32 s1, v2
	s_and_b32 s8, s1, 0x7fffffff
	s_delay_alu instid0(SALU_CYCLE_1)
	s_cmp_gt_u32 s8, 0x477fffff
	s_cbranch_scc1 .LBB47_1002
; %bb.995:
	s_cmp_gt_u32 s8, 0x37ffffff
	s_cbranch_scc0 .LBB47_997
; %bb.996:
	s_bfe_u32 s8, s1, 0x10015
	s_mov_b32 s9, 0
	s_add_i32 s8, s1, s8
	s_delay_alu instid0(SALU_CYCLE_1) | instskip(NEXT) | instid1(SALU_CYCLE_1)
	s_add_i32 s8, s8, 0x88fffff
	s_lshr_b32 s10, s8, 21
	s_mov_b32 s8, -1
	s_branch .LBB47_998
.LBB47_997:
	s_mov_b32 s9, -1
	s_mov_b32 s8, 0
                                        ; implicit-def: $sgpr10
.LBB47_998:
	v_mov_b32_e32 v2, s10
	s_and_not1_b32 vcc_lo, exec_lo, s9
                                        ; implicit-def: $sgpr9
	s_cbranch_vccnz .LBB47_1000
; %bb.999:
	v_add_f32_e64 v2, 0x42800000, |s1|
	s_mov_b32 s9, 0
	s_delay_alu instid0(VALU_DEP_1) | instskip(NEXT) | instid1(VALU_DEP_1)
	v_and_b32_e32 v2, 0xff, v2
	v_cmp_ne_u32_e64 s8, 0, v2
.LBB47_1000:
	v_mov_b32_e32 v3, s9
	s_delay_alu instid0(VALU_DEP_2)
	s_and_not1_b32 vcc_lo, exec_lo, s8
	s_cbranch_vccnz .LBB47_1002
; %bb.1001:
	s_lshr_b32 s1, s1, 24
	s_delay_alu instid0(SALU_CYCLE_1) | instskip(NEXT) | instid1(SALU_CYCLE_1)
	s_and_b32 s1, s1, 0x80
	v_or_b32_e32 v3, s1, v2
.LBB47_1002:
	s_mov_b32 s1, 0
	global_store_b8 v[0:1], v3, off
.LBB47_1003:
	s_and_b32 vcc_lo, exec_lo, s1
	s_cbranch_vccz .LBB47_1015
; %bb.1004:
	v_cvt_f32_f64_e32 v2, s[2:3]
	s_delay_alu instid0(VALU_DEP_1) | instskip(NEXT) | instid1(VALU_DEP_1)
	v_readfirstlane_b32 s1, v2
	s_and_b32 s8, s1, 0x7fffffff
	s_delay_alu instid0(SALU_CYCLE_1)
	s_cmp_lt_u32 s8, 0x43f00000
	s_cbranch_scc0 .LBB47_1007
; %bb.1005:
	s_cmp_gt_u32 s8, 0x3c7fffff
	s_cbranch_scc0 .LBB47_1008
; %bb.1006:
	s_bfe_u32 s9, s1, 0x10014
	s_delay_alu instid0(SALU_CYCLE_1) | instskip(NEXT) | instid1(SALU_CYCLE_1)
	s_add_i32 s9, s1, s9
	s_add_i32 s9, s9, 0x407ffff
	s_delay_alu instid0(SALU_CYCLE_1)
	s_and_b32 s10, s9, 0xff00000
	s_lshr_b32 s9, s9, 20
	s_cmp_lg_u32 s10, 0x7f00000
	s_cselect_b32 s10, s9, 0x7e
	s_mov_b32 s9, 0
	s_branch .LBB47_1009
.LBB47_1007:
	s_mov_b32 s9, -1
                                        ; implicit-def: $vgpr3
	s_branch .LBB47_1012
.LBB47_1008:
	s_mov_b32 s9, -1
                                        ; implicit-def: $sgpr10
.LBB47_1009:
	v_mov_b32_e32 v3, s10
	s_and_not1_b32 vcc_lo, exec_lo, s9
	s_cbranch_vccnz .LBB47_1011
; %bb.1010:
	v_add_f32_e64 v3, 0x46800000, |v2|
.LBB47_1011:
	s_mov_b32 s9, 0
.LBB47_1012:
	s_delay_alu instid0(SALU_CYCLE_1)
	s_and_not1_b32 vcc_lo, exec_lo, s9
	s_cbranch_vccnz .LBB47_1014
; %bb.1013:
	s_cmp_gt_u32 s8, 0x7f800000
	s_movk_i32 s8, 0x7f
	s_delay_alu instid0(SALU_CYCLE_1) | instskip(NEXT) | instid1(SALU_CYCLE_1)
	s_cselect_b32 s8, s8, 0x7e
	v_mov_b32_e32 v3, s8
.LBB47_1014:
	s_lshr_b32 s1, s1, 24
	s_delay_alu instid0(SALU_CYCLE_1)
	s_and_b32 s1, s1, 0x80
	s_delay_alu instid0(VALU_DEP_1) | instid1(SALU_CYCLE_1)
	v_or_b32_e32 v2, s1, v3
	global_store_b8 v[0:1], v2, off
.LBB47_1015:
	s_mov_b32 s1, 0
.LBB47_1016:
	s_delay_alu instid0(SALU_CYCLE_1)
	s_and_not1_b32 vcc_lo, exec_lo, s1
	s_cbranch_vccnz .LBB47_1028
; %bb.1017:
	v_cvt_f32_f64_e32 v2, s[2:3]
	s_delay_alu instid0(VALU_DEP_1) | instskip(NEXT) | instid1(VALU_DEP_1)
	v_readfirstlane_b32 s1, v2
	s_and_b32 s8, s1, 0x7fffffff
	s_delay_alu instid0(SALU_CYCLE_1)
	s_cmp_lt_u32 s8, 0x47800000
	s_cbranch_scc0 .LBB47_1020
; %bb.1018:
	s_cmp_gt_u32 s8, 0x387fffff
	s_cbranch_scc0 .LBB47_1021
; %bb.1019:
	s_bfe_u32 s9, s1, 0x10015
	s_delay_alu instid0(SALU_CYCLE_1) | instskip(NEXT) | instid1(SALU_CYCLE_1)
	s_add_i32 s9, s1, s9
	s_add_i32 s9, s9, 0x80fffff
	s_delay_alu instid0(SALU_CYCLE_1)
	s_lshr_b32 s10, s9, 21
	s_mov_b32 s9, 0
	s_branch .LBB47_1022
.LBB47_1020:
	s_mov_b32 s9, -1
                                        ; implicit-def: $vgpr3
	s_branch .LBB47_1025
.LBB47_1021:
	s_mov_b32 s9, -1
                                        ; implicit-def: $sgpr10
.LBB47_1022:
	v_mov_b32_e32 v3, s10
	s_and_not1_b32 vcc_lo, exec_lo, s9
	s_cbranch_vccnz .LBB47_1024
; %bb.1023:
	v_add_f32_e64 v3, 0x43000000, |v2|
.LBB47_1024:
	s_mov_b32 s9, 0
.LBB47_1025:
	s_delay_alu instid0(SALU_CYCLE_1)
	s_and_not1_b32 vcc_lo, exec_lo, s9
	s_cbranch_vccnz .LBB47_1027
; %bb.1026:
	s_cmp_gt_u32 s8, 0x7f800000
	s_movk_i32 s8, 0x7f
	s_delay_alu instid0(SALU_CYCLE_1) | instskip(NEXT) | instid1(SALU_CYCLE_1)
	s_cselect_b32 s8, s8, 0x7c
	v_mov_b32_e32 v3, s8
.LBB47_1027:
	s_lshr_b32 s1, s1, 24
	s_delay_alu instid0(SALU_CYCLE_1)
	s_and_b32 s1, s1, 0x80
	s_delay_alu instid0(VALU_DEP_1) | instid1(SALU_CYCLE_1)
	v_or_b32_e32 v2, s1, v3
	global_store_b8 v[0:1], v2, off
.LBB47_1028:
	s_mov_b32 s1, 0
.LBB47_1029:
	s_delay_alu instid0(SALU_CYCLE_1)
	s_and_not1_b32 vcc_lo, exec_lo, s1
	s_mov_b32 s8, 0
	s_cbranch_vccnz .LBB47_1036
; %bb.1030:
	v_cmp_gt_i16_e64 s1, s4, 14
	s_delay_alu instid0(VALU_DEP_1)
	s_and_b32 vcc_lo, exec_lo, s1
	s_mov_b32 s1, -1
	s_cbranch_vccz .LBB47_1034
; %bb.1031:
	v_cmp_eq_u16_e64 s0, s4, 15
	s_delay_alu instid0(VALU_DEP_1)
	s_and_b32 vcc_lo, exec_lo, s0
	s_mov_b32 s0, -1
	s_cbranch_vccz .LBB47_1033
; %bb.1032:
	v_cvt_f32_f64_e32 v2, s[2:3]
	s_mov_b32 s0, 0
	s_delay_alu instid0(VALU_DEP_1) | instskip(SKIP_1) | instid1(VALU_DEP_2)
	v_bfe_u32 v3, v2, 16, 1
	v_cmp_o_f32_e32 vcc_lo, v2, v2
	v_add_nc_u32_e32 v3, v2, v3
	s_delay_alu instid0(VALU_DEP_1) | instskip(NEXT) | instid1(VALU_DEP_1)
	v_add_nc_u32_e32 v3, 0x7fff, v3
	v_lshrrev_b32_e32 v3, 16, v3
	s_delay_alu instid0(VALU_DEP_1)
	v_cndmask_b32_e32 v2, 0x7fc0, v3, vcc_lo
	global_store_b16 v[0:1], v2, off
.LBB47_1033:
	s_mov_b32 s1, 0
.LBB47_1034:
	s_delay_alu instid0(SALU_CYCLE_1)
	s_and_b32 vcc_lo, exec_lo, s1
	s_cbranch_vccz .LBB47_1036
; %bb.1035:
	v_cmp_ne_u16_e64 s0, s4, 11
	s_mov_b32 s8, -1
.LBB47_1036:
	s_delay_alu instid0(VALU_DEP_1)
	s_and_b32 vcc_lo, exec_lo, s0
	s_cbranch_vccnz .LBB47_1038
.LBB47_1037:
	s_mov_b32 s0, 0
	s_branch .LBB47_911
.LBB47_1038:
	s_cbranch_execnz .LBB47_1040
; %bb.1039:
	s_mov_b32 s8, 0
	s_or_b32 s5, s5, exec_lo
	s_branch .LBB47_1037
.LBB47_1040:
	s_trap 2
	s_sendmsg_rtn_b32 s0, sendmsg(MSG_RTN_GET_DOORBELL)
	s_mov_b32 ttmp2, m0
	s_waitcnt lgkmcnt(0)
	s_and_b32 s0, s0, 0x3ff
	s_delay_alu instid0(SALU_CYCLE_1) | instskip(NEXT) | instid1(SALU_CYCLE_1)
	s_bitset1_b32 s0, 10
	s_mov_b32 m0, s0
	s_sendmsg sendmsg(MSG_INTERRUPT)
	s_mov_b32 m0, ttmp2
.LBB47_1041:                            ; =>This Inner Loop Header: Depth=1
	s_sethalt 5
	s_branch .LBB47_1041
	.section	.rodata,"a",@progbits
	.p2align	6, 0x0
	.amdhsa_kernel _ZN2at6native32elementwise_kernel_manual_unrollILi128ELi4EZNS0_15gpu_kernel_implINS0_11FillFunctorIdEEEEvRNS_18TensorIteratorBaseERKT_EUlibE0_EEviT1_
		.amdhsa_group_segment_fixed_size 0
		.amdhsa_private_segment_fixed_size 0
		.amdhsa_kernarg_size 296
		.amdhsa_user_sgpr_count 15
		.amdhsa_user_sgpr_dispatch_ptr 0
		.amdhsa_user_sgpr_queue_ptr 0
		.amdhsa_user_sgpr_kernarg_segment_ptr 1
		.amdhsa_user_sgpr_dispatch_id 0
		.amdhsa_user_sgpr_private_segment_size 0
		.amdhsa_wavefront_size32 1
		.amdhsa_uses_dynamic_stack 0
		.amdhsa_enable_private_segment 0
		.amdhsa_system_sgpr_workgroup_id_x 1
		.amdhsa_system_sgpr_workgroup_id_y 0
		.amdhsa_system_sgpr_workgroup_id_z 0
		.amdhsa_system_sgpr_workgroup_info 0
		.amdhsa_system_vgpr_workitem_id 0
		.amdhsa_next_free_vgpr 25
		.amdhsa_next_free_sgpr 76
		.amdhsa_reserve_vcc 1
		.amdhsa_float_round_mode_32 0
		.amdhsa_float_round_mode_16_64 0
		.amdhsa_float_denorm_mode_32 3
		.amdhsa_float_denorm_mode_16_64 3
		.amdhsa_dx10_clamp 1
		.amdhsa_ieee_mode 1
		.amdhsa_fp16_overflow 0
		.amdhsa_workgroup_processor_mode 1
		.amdhsa_memory_ordered 1
		.amdhsa_forward_progress 0
		.amdhsa_shared_vgpr_count 0
		.amdhsa_exception_fp_ieee_invalid_op 0
		.amdhsa_exception_fp_denorm_src 0
		.amdhsa_exception_fp_ieee_div_zero 0
		.amdhsa_exception_fp_ieee_overflow 0
		.amdhsa_exception_fp_ieee_underflow 0
		.amdhsa_exception_fp_ieee_inexact 0
		.amdhsa_exception_int_div_zero 0
	.end_amdhsa_kernel
	.section	.text._ZN2at6native32elementwise_kernel_manual_unrollILi128ELi4EZNS0_15gpu_kernel_implINS0_11FillFunctorIdEEEEvRNS_18TensorIteratorBaseERKT_EUlibE0_EEviT1_,"axG",@progbits,_ZN2at6native32elementwise_kernel_manual_unrollILi128ELi4EZNS0_15gpu_kernel_implINS0_11FillFunctorIdEEEEvRNS_18TensorIteratorBaseERKT_EUlibE0_EEviT1_,comdat
.Lfunc_end47:
	.size	_ZN2at6native32elementwise_kernel_manual_unrollILi128ELi4EZNS0_15gpu_kernel_implINS0_11FillFunctorIdEEEEvRNS_18TensorIteratorBaseERKT_EUlibE0_EEviT1_, .Lfunc_end47-_ZN2at6native32elementwise_kernel_manual_unrollILi128ELi4EZNS0_15gpu_kernel_implINS0_11FillFunctorIdEEEEvRNS_18TensorIteratorBaseERKT_EUlibE0_EEviT1_
                                        ; -- End function
	.section	.AMDGPU.csdata,"",@progbits
; Kernel info:
; codeLenInByte = 21136
; NumSgprs: 78
; NumVgprs: 25
; ScratchSize: 0
; MemoryBound: 0
; FloatMode: 240
; IeeeMode: 1
; LDSByteSize: 0 bytes/workgroup (compile time only)
; SGPRBlocks: 9
; VGPRBlocks: 3
; NumSGPRsForWavesPerEU: 78
; NumVGPRsForWavesPerEU: 25
; Occupancy: 16
; WaveLimiterHint : 1
; COMPUTE_PGM_RSRC2:SCRATCH_EN: 0
; COMPUTE_PGM_RSRC2:USER_SGPR: 15
; COMPUTE_PGM_RSRC2:TRAP_HANDLER: 0
; COMPUTE_PGM_RSRC2:TGID_X_EN: 1
; COMPUTE_PGM_RSRC2:TGID_Y_EN: 0
; COMPUTE_PGM_RSRC2:TGID_Z_EN: 0
; COMPUTE_PGM_RSRC2:TIDIG_COMP_CNT: 0
	.section	.text._ZN2at6native29vectorized_elementwise_kernelILi16ENS0_11FillFunctorIfEESt5arrayIPcLm1EEEEviT0_T1_,"axG",@progbits,_ZN2at6native29vectorized_elementwise_kernelILi16ENS0_11FillFunctorIfEESt5arrayIPcLm1EEEEviT0_T1_,comdat
	.protected	_ZN2at6native29vectorized_elementwise_kernelILi16ENS0_11FillFunctorIfEESt5arrayIPcLm1EEEEviT0_T1_ ; -- Begin function _ZN2at6native29vectorized_elementwise_kernelILi16ENS0_11FillFunctorIfEESt5arrayIPcLm1EEEEviT0_T1_
	.globl	_ZN2at6native29vectorized_elementwise_kernelILi16ENS0_11FillFunctorIfEESt5arrayIPcLm1EEEEviT0_T1_
	.p2align	8
	.type	_ZN2at6native29vectorized_elementwise_kernelILi16ENS0_11FillFunctorIfEESt5arrayIPcLm1EEEEviT0_T1_,@function
_ZN2at6native29vectorized_elementwise_kernelILi16ENS0_11FillFunctorIfEESt5arrayIPcLm1EEEEviT0_T1_: ; @_ZN2at6native29vectorized_elementwise_kernelILi16ENS0_11FillFunctorIfEESt5arrayIPcLm1EEEEviT0_T1_
; %bb.0:
	s_load_b128 s[0:3], s[0:1], 0x0
	s_lshl_b32 s4, s15, 10
	s_mov_b32 s5, -1
	s_waitcnt lgkmcnt(0)
	s_sub_i32 s0, s0, s4
	s_delay_alu instid0(SALU_CYCLE_1)
	s_cmpk_gt_i32 s0, 0x3ff
	s_cbranch_scc0 .LBB48_2
; %bb.1:
	s_ashr_i32 s5, s4, 31
	v_dual_mov_b32 v1, s1 :: v_dual_mov_b32 v2, s1
	v_dual_mov_b32 v4, s1 :: v_dual_lshlrev_b32 v5, 4, v0
	s_lshl_b64 s[6:7], s[4:5], 2
	v_mov_b32_e32 v3, s1
	s_add_u32 s6, s2, s6
	s_addc_u32 s7, s3, s7
	s_mov_b32 s5, 0
	global_store_b128 v5, v[1:4], s[6:7]
.LBB48_2:
	s_and_not1_b32 vcc_lo, exec_lo, s5
	s_cbranch_vccnz .LBB48_8
; %bb.3:
	s_mov_b32 s5, exec_lo
	v_cmpx_gt_i32_e64 s0, v0
	s_cbranch_execnz .LBB48_9
; %bb.4:
	s_or_b32 exec_lo, exec_lo, s5
	s_delay_alu instid0(SALU_CYCLE_1)
	s_mov_b32 s5, exec_lo
	v_cmpx_gt_i32_e64 s0, v0
	s_cbranch_execnz .LBB48_10
.LBB48_5:
	s_or_b32 exec_lo, exec_lo, s5
	s_delay_alu instid0(SALU_CYCLE_1)
	s_mov_b32 s5, exec_lo
	v_cmpx_gt_i32_e64 s0, v0
	s_cbranch_execnz .LBB48_11
.LBB48_6:
	s_or_b32 exec_lo, exec_lo, s5
	v_cmp_gt_i32_e32 vcc_lo, s0, v0
	s_and_saveexec_b32 s0, vcc_lo
	s_cbranch_execz .LBB48_8
.LBB48_7:
	v_dual_mov_b32 v1, 0 :: v_dual_add_nc_u32 v0, s4, v0
	v_mov_b32_e32 v2, s1
	s_delay_alu instid0(VALU_DEP_2) | instskip(NEXT) | instid1(VALU_DEP_1)
	v_lshlrev_b64 v[0:1], 2, v[0:1]
	v_add_co_u32 v0, vcc_lo, s2, v0
	s_delay_alu instid0(VALU_DEP_2)
	v_add_co_ci_u32_e32 v1, vcc_lo, s3, v1, vcc_lo
	global_store_b32 v[0:1], v2, off
.LBB48_8:
	s_nop 0
	s_sendmsg sendmsg(MSG_DEALLOC_VGPRS)
	s_endpgm
.LBB48_9:
	v_or_b32_e32 v1, s4, v0
	v_dual_mov_b32 v2, 0 :: v_dual_mov_b32 v3, s1
	v_or_b32_e32 v0, 0x100, v0
	s_delay_alu instid0(VALU_DEP_2) | instskip(NEXT) | instid1(VALU_DEP_1)
	v_lshlrev_b64 v[1:2], 2, v[1:2]
	v_add_co_u32 v1, vcc_lo, s2, v1
	s_delay_alu instid0(VALU_DEP_2) | instskip(SKIP_2) | instid1(SALU_CYCLE_1)
	v_add_co_ci_u32_e32 v2, vcc_lo, s3, v2, vcc_lo
	global_store_b32 v[1:2], v3, off
	s_or_b32 exec_lo, exec_lo, s5
	s_mov_b32 s5, exec_lo
	v_cmpx_gt_i32_e64 s0, v0
	s_cbranch_execz .LBB48_5
.LBB48_10:
	v_dual_mov_b32 v2, 0 :: v_dual_add_nc_u32 v1, s4, v0
	v_dual_mov_b32 v3, s1 :: v_dual_add_nc_u32 v0, 0x100, v0
	s_delay_alu instid0(VALU_DEP_2) | instskip(NEXT) | instid1(VALU_DEP_1)
	v_lshlrev_b64 v[1:2], 2, v[1:2]
	v_add_co_u32 v1, vcc_lo, s2, v1
	s_delay_alu instid0(VALU_DEP_2) | instskip(SKIP_2) | instid1(SALU_CYCLE_1)
	v_add_co_ci_u32_e32 v2, vcc_lo, s3, v2, vcc_lo
	global_store_b32 v[1:2], v3, off
	s_or_b32 exec_lo, exec_lo, s5
	s_mov_b32 s5, exec_lo
	v_cmpx_gt_i32_e64 s0, v0
	s_cbranch_execz .LBB48_6
.LBB48_11:
	v_dual_mov_b32 v2, 0 :: v_dual_add_nc_u32 v1, s4, v0
	v_dual_mov_b32 v3, s1 :: v_dual_add_nc_u32 v0, 0x100, v0
	s_delay_alu instid0(VALU_DEP_2) | instskip(NEXT) | instid1(VALU_DEP_1)
	v_lshlrev_b64 v[1:2], 2, v[1:2]
	v_add_co_u32 v1, vcc_lo, s2, v1
	s_delay_alu instid0(VALU_DEP_2)
	v_add_co_ci_u32_e32 v2, vcc_lo, s3, v2, vcc_lo
	global_store_b32 v[1:2], v3, off
	s_or_b32 exec_lo, exec_lo, s5
	v_cmp_gt_i32_e32 vcc_lo, s0, v0
	s_and_saveexec_b32 s0, vcc_lo
	s_cbranch_execnz .LBB48_7
	s_branch .LBB48_8
	.section	.rodata,"a",@progbits
	.p2align	6, 0x0
	.amdhsa_kernel _ZN2at6native29vectorized_elementwise_kernelILi16ENS0_11FillFunctorIfEESt5arrayIPcLm1EEEEviT0_T1_
		.amdhsa_group_segment_fixed_size 0
		.amdhsa_private_segment_fixed_size 0
		.amdhsa_kernarg_size 16
		.amdhsa_user_sgpr_count 15
		.amdhsa_user_sgpr_dispatch_ptr 0
		.amdhsa_user_sgpr_queue_ptr 0
		.amdhsa_user_sgpr_kernarg_segment_ptr 1
		.amdhsa_user_sgpr_dispatch_id 0
		.amdhsa_user_sgpr_private_segment_size 0
		.amdhsa_wavefront_size32 1
		.amdhsa_uses_dynamic_stack 0
		.amdhsa_enable_private_segment 0
		.amdhsa_system_sgpr_workgroup_id_x 1
		.amdhsa_system_sgpr_workgroup_id_y 0
		.amdhsa_system_sgpr_workgroup_id_z 0
		.amdhsa_system_sgpr_workgroup_info 0
		.amdhsa_system_vgpr_workitem_id 0
		.amdhsa_next_free_vgpr 6
		.amdhsa_next_free_sgpr 16
		.amdhsa_reserve_vcc 1
		.amdhsa_float_round_mode_32 0
		.amdhsa_float_round_mode_16_64 0
		.amdhsa_float_denorm_mode_32 3
		.amdhsa_float_denorm_mode_16_64 3
		.amdhsa_dx10_clamp 1
		.amdhsa_ieee_mode 1
		.amdhsa_fp16_overflow 0
		.amdhsa_workgroup_processor_mode 1
		.amdhsa_memory_ordered 1
		.amdhsa_forward_progress 0
		.amdhsa_shared_vgpr_count 0
		.amdhsa_exception_fp_ieee_invalid_op 0
		.amdhsa_exception_fp_denorm_src 0
		.amdhsa_exception_fp_ieee_div_zero 0
		.amdhsa_exception_fp_ieee_overflow 0
		.amdhsa_exception_fp_ieee_underflow 0
		.amdhsa_exception_fp_ieee_inexact 0
		.amdhsa_exception_int_div_zero 0
	.end_amdhsa_kernel
	.section	.text._ZN2at6native29vectorized_elementwise_kernelILi16ENS0_11FillFunctorIfEESt5arrayIPcLm1EEEEviT0_T1_,"axG",@progbits,_ZN2at6native29vectorized_elementwise_kernelILi16ENS0_11FillFunctorIfEESt5arrayIPcLm1EEEEviT0_T1_,comdat
.Lfunc_end48:
	.size	_ZN2at6native29vectorized_elementwise_kernelILi16ENS0_11FillFunctorIfEESt5arrayIPcLm1EEEEviT0_T1_, .Lfunc_end48-_ZN2at6native29vectorized_elementwise_kernelILi16ENS0_11FillFunctorIfEESt5arrayIPcLm1EEEEviT0_T1_
                                        ; -- End function
	.section	.AMDGPU.csdata,"",@progbits
; Kernel info:
; codeLenInByte = 460
; NumSgprs: 18
; NumVgprs: 6
; ScratchSize: 0
; MemoryBound: 0
; FloatMode: 240
; IeeeMode: 1
; LDSByteSize: 0 bytes/workgroup (compile time only)
; SGPRBlocks: 2
; VGPRBlocks: 0
; NumSGPRsForWavesPerEU: 18
; NumVGPRsForWavesPerEU: 6
; Occupancy: 16
; WaveLimiterHint : 0
; COMPUTE_PGM_RSRC2:SCRATCH_EN: 0
; COMPUTE_PGM_RSRC2:USER_SGPR: 15
; COMPUTE_PGM_RSRC2:TRAP_HANDLER: 0
; COMPUTE_PGM_RSRC2:TGID_X_EN: 1
; COMPUTE_PGM_RSRC2:TGID_Y_EN: 0
; COMPUTE_PGM_RSRC2:TGID_Z_EN: 0
; COMPUTE_PGM_RSRC2:TIDIG_COMP_CNT: 0
	.section	.text._ZN2at6native29vectorized_elementwise_kernelILi8ENS0_11FillFunctorIfEESt5arrayIPcLm1EEEEviT0_T1_,"axG",@progbits,_ZN2at6native29vectorized_elementwise_kernelILi8ENS0_11FillFunctorIfEESt5arrayIPcLm1EEEEviT0_T1_,comdat
	.protected	_ZN2at6native29vectorized_elementwise_kernelILi8ENS0_11FillFunctorIfEESt5arrayIPcLm1EEEEviT0_T1_ ; -- Begin function _ZN2at6native29vectorized_elementwise_kernelILi8ENS0_11FillFunctorIfEESt5arrayIPcLm1EEEEviT0_T1_
	.globl	_ZN2at6native29vectorized_elementwise_kernelILi8ENS0_11FillFunctorIfEESt5arrayIPcLm1EEEEviT0_T1_
	.p2align	8
	.type	_ZN2at6native29vectorized_elementwise_kernelILi8ENS0_11FillFunctorIfEESt5arrayIPcLm1EEEEviT0_T1_,@function
_ZN2at6native29vectorized_elementwise_kernelILi8ENS0_11FillFunctorIfEESt5arrayIPcLm1EEEEviT0_T1_: ; @_ZN2at6native29vectorized_elementwise_kernelILi8ENS0_11FillFunctorIfEESt5arrayIPcLm1EEEEviT0_T1_
; %bb.0:
	s_load_b128 s[0:3], s[0:1], 0x0
	s_lshl_b32 s4, s15, 10
	s_mov_b32 s5, -1
	s_waitcnt lgkmcnt(0)
	s_sub_i32 s0, s0, s4
	s_delay_alu instid0(SALU_CYCLE_1)
	s_cmpk_gt_i32 s0, 0x3ff
	s_cbranch_scc0 .LBB49_2
; %bb.1:
	s_ashr_i32 s5, s4, 31
	v_dual_mov_b32 v1, s1 :: v_dual_mov_b32 v2, s1
	v_dual_mov_b32 v4, s1 :: v_dual_lshlrev_b32 v5, 4, v0
	s_lshl_b64 s[6:7], s[4:5], 2
	v_mov_b32_e32 v3, s1
	s_add_u32 s6, s2, s6
	s_addc_u32 s7, s3, s7
	s_mov_b32 s5, 0
	global_store_b128 v5, v[1:4], s[6:7]
.LBB49_2:
	s_and_not1_b32 vcc_lo, exec_lo, s5
	s_cbranch_vccnz .LBB49_8
; %bb.3:
	s_mov_b32 s5, exec_lo
	v_cmpx_gt_i32_e64 s0, v0
	s_cbranch_execnz .LBB49_9
; %bb.4:
	s_or_b32 exec_lo, exec_lo, s5
	s_delay_alu instid0(SALU_CYCLE_1)
	s_mov_b32 s5, exec_lo
	v_cmpx_gt_i32_e64 s0, v0
	s_cbranch_execnz .LBB49_10
.LBB49_5:
	s_or_b32 exec_lo, exec_lo, s5
	s_delay_alu instid0(SALU_CYCLE_1)
	s_mov_b32 s5, exec_lo
	v_cmpx_gt_i32_e64 s0, v0
	s_cbranch_execnz .LBB49_11
.LBB49_6:
	s_or_b32 exec_lo, exec_lo, s5
	v_cmp_gt_i32_e32 vcc_lo, s0, v0
	s_and_saveexec_b32 s0, vcc_lo
	s_cbranch_execz .LBB49_8
.LBB49_7:
	v_dual_mov_b32 v1, 0 :: v_dual_add_nc_u32 v0, s4, v0
	v_mov_b32_e32 v2, s1
	s_delay_alu instid0(VALU_DEP_2) | instskip(NEXT) | instid1(VALU_DEP_1)
	v_lshlrev_b64 v[0:1], 2, v[0:1]
	v_add_co_u32 v0, vcc_lo, s2, v0
	s_delay_alu instid0(VALU_DEP_2)
	v_add_co_ci_u32_e32 v1, vcc_lo, s3, v1, vcc_lo
	global_store_b32 v[0:1], v2, off
.LBB49_8:
	s_nop 0
	s_sendmsg sendmsg(MSG_DEALLOC_VGPRS)
	s_endpgm
.LBB49_9:
	v_or_b32_e32 v1, s4, v0
	v_dual_mov_b32 v2, 0 :: v_dual_mov_b32 v3, s1
	v_or_b32_e32 v0, 0x100, v0
	s_delay_alu instid0(VALU_DEP_2) | instskip(NEXT) | instid1(VALU_DEP_1)
	v_lshlrev_b64 v[1:2], 2, v[1:2]
	v_add_co_u32 v1, vcc_lo, s2, v1
	s_delay_alu instid0(VALU_DEP_2) | instskip(SKIP_2) | instid1(SALU_CYCLE_1)
	v_add_co_ci_u32_e32 v2, vcc_lo, s3, v2, vcc_lo
	global_store_b32 v[1:2], v3, off
	s_or_b32 exec_lo, exec_lo, s5
	s_mov_b32 s5, exec_lo
	v_cmpx_gt_i32_e64 s0, v0
	s_cbranch_execz .LBB49_5
.LBB49_10:
	v_dual_mov_b32 v2, 0 :: v_dual_add_nc_u32 v1, s4, v0
	v_dual_mov_b32 v3, s1 :: v_dual_add_nc_u32 v0, 0x100, v0
	s_delay_alu instid0(VALU_DEP_2) | instskip(NEXT) | instid1(VALU_DEP_1)
	v_lshlrev_b64 v[1:2], 2, v[1:2]
	v_add_co_u32 v1, vcc_lo, s2, v1
	s_delay_alu instid0(VALU_DEP_2) | instskip(SKIP_2) | instid1(SALU_CYCLE_1)
	v_add_co_ci_u32_e32 v2, vcc_lo, s3, v2, vcc_lo
	global_store_b32 v[1:2], v3, off
	s_or_b32 exec_lo, exec_lo, s5
	s_mov_b32 s5, exec_lo
	v_cmpx_gt_i32_e64 s0, v0
	s_cbranch_execz .LBB49_6
.LBB49_11:
	v_dual_mov_b32 v2, 0 :: v_dual_add_nc_u32 v1, s4, v0
	v_dual_mov_b32 v3, s1 :: v_dual_add_nc_u32 v0, 0x100, v0
	s_delay_alu instid0(VALU_DEP_2) | instskip(NEXT) | instid1(VALU_DEP_1)
	v_lshlrev_b64 v[1:2], 2, v[1:2]
	v_add_co_u32 v1, vcc_lo, s2, v1
	s_delay_alu instid0(VALU_DEP_2)
	v_add_co_ci_u32_e32 v2, vcc_lo, s3, v2, vcc_lo
	global_store_b32 v[1:2], v3, off
	s_or_b32 exec_lo, exec_lo, s5
	v_cmp_gt_i32_e32 vcc_lo, s0, v0
	s_and_saveexec_b32 s0, vcc_lo
	s_cbranch_execnz .LBB49_7
	s_branch .LBB49_8
	.section	.rodata,"a",@progbits
	.p2align	6, 0x0
	.amdhsa_kernel _ZN2at6native29vectorized_elementwise_kernelILi8ENS0_11FillFunctorIfEESt5arrayIPcLm1EEEEviT0_T1_
		.amdhsa_group_segment_fixed_size 0
		.amdhsa_private_segment_fixed_size 0
		.amdhsa_kernarg_size 16
		.amdhsa_user_sgpr_count 15
		.amdhsa_user_sgpr_dispatch_ptr 0
		.amdhsa_user_sgpr_queue_ptr 0
		.amdhsa_user_sgpr_kernarg_segment_ptr 1
		.amdhsa_user_sgpr_dispatch_id 0
		.amdhsa_user_sgpr_private_segment_size 0
		.amdhsa_wavefront_size32 1
		.amdhsa_uses_dynamic_stack 0
		.amdhsa_enable_private_segment 0
		.amdhsa_system_sgpr_workgroup_id_x 1
		.amdhsa_system_sgpr_workgroup_id_y 0
		.amdhsa_system_sgpr_workgroup_id_z 0
		.amdhsa_system_sgpr_workgroup_info 0
		.amdhsa_system_vgpr_workitem_id 0
		.amdhsa_next_free_vgpr 6
		.amdhsa_next_free_sgpr 16
		.amdhsa_reserve_vcc 1
		.amdhsa_float_round_mode_32 0
		.amdhsa_float_round_mode_16_64 0
		.amdhsa_float_denorm_mode_32 3
		.amdhsa_float_denorm_mode_16_64 3
		.amdhsa_dx10_clamp 1
		.amdhsa_ieee_mode 1
		.amdhsa_fp16_overflow 0
		.amdhsa_workgroup_processor_mode 1
		.amdhsa_memory_ordered 1
		.amdhsa_forward_progress 0
		.amdhsa_shared_vgpr_count 0
		.amdhsa_exception_fp_ieee_invalid_op 0
		.amdhsa_exception_fp_denorm_src 0
		.amdhsa_exception_fp_ieee_div_zero 0
		.amdhsa_exception_fp_ieee_overflow 0
		.amdhsa_exception_fp_ieee_underflow 0
		.amdhsa_exception_fp_ieee_inexact 0
		.amdhsa_exception_int_div_zero 0
	.end_amdhsa_kernel
	.section	.text._ZN2at6native29vectorized_elementwise_kernelILi8ENS0_11FillFunctorIfEESt5arrayIPcLm1EEEEviT0_T1_,"axG",@progbits,_ZN2at6native29vectorized_elementwise_kernelILi8ENS0_11FillFunctorIfEESt5arrayIPcLm1EEEEviT0_T1_,comdat
.Lfunc_end49:
	.size	_ZN2at6native29vectorized_elementwise_kernelILi8ENS0_11FillFunctorIfEESt5arrayIPcLm1EEEEviT0_T1_, .Lfunc_end49-_ZN2at6native29vectorized_elementwise_kernelILi8ENS0_11FillFunctorIfEESt5arrayIPcLm1EEEEviT0_T1_
                                        ; -- End function
	.section	.AMDGPU.csdata,"",@progbits
; Kernel info:
; codeLenInByte = 460
; NumSgprs: 18
; NumVgprs: 6
; ScratchSize: 0
; MemoryBound: 0
; FloatMode: 240
; IeeeMode: 1
; LDSByteSize: 0 bytes/workgroup (compile time only)
; SGPRBlocks: 2
; VGPRBlocks: 0
; NumSGPRsForWavesPerEU: 18
; NumVGPRsForWavesPerEU: 6
; Occupancy: 16
; WaveLimiterHint : 0
; COMPUTE_PGM_RSRC2:SCRATCH_EN: 0
; COMPUTE_PGM_RSRC2:USER_SGPR: 15
; COMPUTE_PGM_RSRC2:TRAP_HANDLER: 0
; COMPUTE_PGM_RSRC2:TGID_X_EN: 1
; COMPUTE_PGM_RSRC2:TGID_Y_EN: 0
; COMPUTE_PGM_RSRC2:TGID_Z_EN: 0
; COMPUTE_PGM_RSRC2:TIDIG_COMP_CNT: 0
	.section	.text._ZN2at6native29vectorized_elementwise_kernelILi4ENS0_11FillFunctorIfEESt5arrayIPcLm1EEEEviT0_T1_,"axG",@progbits,_ZN2at6native29vectorized_elementwise_kernelILi4ENS0_11FillFunctorIfEESt5arrayIPcLm1EEEEviT0_T1_,comdat
	.protected	_ZN2at6native29vectorized_elementwise_kernelILi4ENS0_11FillFunctorIfEESt5arrayIPcLm1EEEEviT0_T1_ ; -- Begin function _ZN2at6native29vectorized_elementwise_kernelILi4ENS0_11FillFunctorIfEESt5arrayIPcLm1EEEEviT0_T1_
	.globl	_ZN2at6native29vectorized_elementwise_kernelILi4ENS0_11FillFunctorIfEESt5arrayIPcLm1EEEEviT0_T1_
	.p2align	8
	.type	_ZN2at6native29vectorized_elementwise_kernelILi4ENS0_11FillFunctorIfEESt5arrayIPcLm1EEEEviT0_T1_,@function
_ZN2at6native29vectorized_elementwise_kernelILi4ENS0_11FillFunctorIfEESt5arrayIPcLm1EEEEviT0_T1_: ; @_ZN2at6native29vectorized_elementwise_kernelILi4ENS0_11FillFunctorIfEESt5arrayIPcLm1EEEEviT0_T1_
; %bb.0:
	s_load_b128 s[0:3], s[0:1], 0x0
	s_lshl_b32 s4, s15, 10
	s_mov_b32 s5, -1
	s_waitcnt lgkmcnt(0)
	s_sub_i32 s0, s0, s4
	s_delay_alu instid0(SALU_CYCLE_1)
	s_cmpk_gt_i32 s0, 0x3ff
	s_cbranch_scc0 .LBB50_2
; %bb.1:
	s_ashr_i32 s5, s4, 31
	v_dual_mov_b32 v1, s1 :: v_dual_mov_b32 v2, s1
	v_dual_mov_b32 v4, s1 :: v_dual_lshlrev_b32 v5, 4, v0
	s_lshl_b64 s[6:7], s[4:5], 2
	v_mov_b32_e32 v3, s1
	s_add_u32 s6, s2, s6
	s_addc_u32 s7, s3, s7
	s_mov_b32 s5, 0
	global_store_b128 v5, v[1:4], s[6:7]
.LBB50_2:
	s_and_not1_b32 vcc_lo, exec_lo, s5
	s_cbranch_vccnz .LBB50_8
; %bb.3:
	s_mov_b32 s5, exec_lo
	v_cmpx_gt_i32_e64 s0, v0
	s_cbranch_execnz .LBB50_9
; %bb.4:
	s_or_b32 exec_lo, exec_lo, s5
	s_delay_alu instid0(SALU_CYCLE_1)
	s_mov_b32 s5, exec_lo
	v_cmpx_gt_i32_e64 s0, v0
	s_cbranch_execnz .LBB50_10
.LBB50_5:
	s_or_b32 exec_lo, exec_lo, s5
	s_delay_alu instid0(SALU_CYCLE_1)
	s_mov_b32 s5, exec_lo
	v_cmpx_gt_i32_e64 s0, v0
	s_cbranch_execnz .LBB50_11
.LBB50_6:
	s_or_b32 exec_lo, exec_lo, s5
	v_cmp_gt_i32_e32 vcc_lo, s0, v0
	s_and_saveexec_b32 s0, vcc_lo
	s_cbranch_execz .LBB50_8
.LBB50_7:
	v_dual_mov_b32 v1, 0 :: v_dual_add_nc_u32 v0, s4, v0
	v_mov_b32_e32 v2, s1
	s_delay_alu instid0(VALU_DEP_2) | instskip(NEXT) | instid1(VALU_DEP_1)
	v_lshlrev_b64 v[0:1], 2, v[0:1]
	v_add_co_u32 v0, vcc_lo, s2, v0
	s_delay_alu instid0(VALU_DEP_2)
	v_add_co_ci_u32_e32 v1, vcc_lo, s3, v1, vcc_lo
	global_store_b32 v[0:1], v2, off
.LBB50_8:
	s_nop 0
	s_sendmsg sendmsg(MSG_DEALLOC_VGPRS)
	s_endpgm
.LBB50_9:
	v_or_b32_e32 v1, s4, v0
	v_dual_mov_b32 v2, 0 :: v_dual_mov_b32 v3, s1
	v_or_b32_e32 v0, 0x100, v0
	s_delay_alu instid0(VALU_DEP_2) | instskip(NEXT) | instid1(VALU_DEP_1)
	v_lshlrev_b64 v[1:2], 2, v[1:2]
	v_add_co_u32 v1, vcc_lo, s2, v1
	s_delay_alu instid0(VALU_DEP_2) | instskip(SKIP_2) | instid1(SALU_CYCLE_1)
	v_add_co_ci_u32_e32 v2, vcc_lo, s3, v2, vcc_lo
	global_store_b32 v[1:2], v3, off
	s_or_b32 exec_lo, exec_lo, s5
	s_mov_b32 s5, exec_lo
	v_cmpx_gt_i32_e64 s0, v0
	s_cbranch_execz .LBB50_5
.LBB50_10:
	v_dual_mov_b32 v2, 0 :: v_dual_add_nc_u32 v1, s4, v0
	v_dual_mov_b32 v3, s1 :: v_dual_add_nc_u32 v0, 0x100, v0
	s_delay_alu instid0(VALU_DEP_2) | instskip(NEXT) | instid1(VALU_DEP_1)
	v_lshlrev_b64 v[1:2], 2, v[1:2]
	v_add_co_u32 v1, vcc_lo, s2, v1
	s_delay_alu instid0(VALU_DEP_2) | instskip(SKIP_2) | instid1(SALU_CYCLE_1)
	v_add_co_ci_u32_e32 v2, vcc_lo, s3, v2, vcc_lo
	global_store_b32 v[1:2], v3, off
	s_or_b32 exec_lo, exec_lo, s5
	s_mov_b32 s5, exec_lo
	v_cmpx_gt_i32_e64 s0, v0
	s_cbranch_execz .LBB50_6
.LBB50_11:
	v_dual_mov_b32 v2, 0 :: v_dual_add_nc_u32 v1, s4, v0
	v_dual_mov_b32 v3, s1 :: v_dual_add_nc_u32 v0, 0x100, v0
	s_delay_alu instid0(VALU_DEP_2) | instskip(NEXT) | instid1(VALU_DEP_1)
	v_lshlrev_b64 v[1:2], 2, v[1:2]
	v_add_co_u32 v1, vcc_lo, s2, v1
	s_delay_alu instid0(VALU_DEP_2)
	v_add_co_ci_u32_e32 v2, vcc_lo, s3, v2, vcc_lo
	global_store_b32 v[1:2], v3, off
	s_or_b32 exec_lo, exec_lo, s5
	v_cmp_gt_i32_e32 vcc_lo, s0, v0
	s_and_saveexec_b32 s0, vcc_lo
	s_cbranch_execnz .LBB50_7
	s_branch .LBB50_8
	.section	.rodata,"a",@progbits
	.p2align	6, 0x0
	.amdhsa_kernel _ZN2at6native29vectorized_elementwise_kernelILi4ENS0_11FillFunctorIfEESt5arrayIPcLm1EEEEviT0_T1_
		.amdhsa_group_segment_fixed_size 0
		.amdhsa_private_segment_fixed_size 0
		.amdhsa_kernarg_size 16
		.amdhsa_user_sgpr_count 15
		.amdhsa_user_sgpr_dispatch_ptr 0
		.amdhsa_user_sgpr_queue_ptr 0
		.amdhsa_user_sgpr_kernarg_segment_ptr 1
		.amdhsa_user_sgpr_dispatch_id 0
		.amdhsa_user_sgpr_private_segment_size 0
		.amdhsa_wavefront_size32 1
		.amdhsa_uses_dynamic_stack 0
		.amdhsa_enable_private_segment 0
		.amdhsa_system_sgpr_workgroup_id_x 1
		.amdhsa_system_sgpr_workgroup_id_y 0
		.amdhsa_system_sgpr_workgroup_id_z 0
		.amdhsa_system_sgpr_workgroup_info 0
		.amdhsa_system_vgpr_workitem_id 0
		.amdhsa_next_free_vgpr 6
		.amdhsa_next_free_sgpr 16
		.amdhsa_reserve_vcc 1
		.amdhsa_float_round_mode_32 0
		.amdhsa_float_round_mode_16_64 0
		.amdhsa_float_denorm_mode_32 3
		.amdhsa_float_denorm_mode_16_64 3
		.amdhsa_dx10_clamp 1
		.amdhsa_ieee_mode 1
		.amdhsa_fp16_overflow 0
		.amdhsa_workgroup_processor_mode 1
		.amdhsa_memory_ordered 1
		.amdhsa_forward_progress 0
		.amdhsa_shared_vgpr_count 0
		.amdhsa_exception_fp_ieee_invalid_op 0
		.amdhsa_exception_fp_denorm_src 0
		.amdhsa_exception_fp_ieee_div_zero 0
		.amdhsa_exception_fp_ieee_overflow 0
		.amdhsa_exception_fp_ieee_underflow 0
		.amdhsa_exception_fp_ieee_inexact 0
		.amdhsa_exception_int_div_zero 0
	.end_amdhsa_kernel
	.section	.text._ZN2at6native29vectorized_elementwise_kernelILi4ENS0_11FillFunctorIfEESt5arrayIPcLm1EEEEviT0_T1_,"axG",@progbits,_ZN2at6native29vectorized_elementwise_kernelILi4ENS0_11FillFunctorIfEESt5arrayIPcLm1EEEEviT0_T1_,comdat
.Lfunc_end50:
	.size	_ZN2at6native29vectorized_elementwise_kernelILi4ENS0_11FillFunctorIfEESt5arrayIPcLm1EEEEviT0_T1_, .Lfunc_end50-_ZN2at6native29vectorized_elementwise_kernelILi4ENS0_11FillFunctorIfEESt5arrayIPcLm1EEEEviT0_T1_
                                        ; -- End function
	.section	.AMDGPU.csdata,"",@progbits
; Kernel info:
; codeLenInByte = 460
; NumSgprs: 18
; NumVgprs: 6
; ScratchSize: 0
; MemoryBound: 0
; FloatMode: 240
; IeeeMode: 1
; LDSByteSize: 0 bytes/workgroup (compile time only)
; SGPRBlocks: 2
; VGPRBlocks: 0
; NumSGPRsForWavesPerEU: 18
; NumVGPRsForWavesPerEU: 6
; Occupancy: 16
; WaveLimiterHint : 0
; COMPUTE_PGM_RSRC2:SCRATCH_EN: 0
; COMPUTE_PGM_RSRC2:USER_SGPR: 15
; COMPUTE_PGM_RSRC2:TRAP_HANDLER: 0
; COMPUTE_PGM_RSRC2:TGID_X_EN: 1
; COMPUTE_PGM_RSRC2:TGID_Y_EN: 0
; COMPUTE_PGM_RSRC2:TGID_Z_EN: 0
; COMPUTE_PGM_RSRC2:TIDIG_COMP_CNT: 0
	.section	.text._ZN2at6native29vectorized_elementwise_kernelILi2ENS0_11FillFunctorIfEESt5arrayIPcLm1EEEEviT0_T1_,"axG",@progbits,_ZN2at6native29vectorized_elementwise_kernelILi2ENS0_11FillFunctorIfEESt5arrayIPcLm1EEEEviT0_T1_,comdat
	.protected	_ZN2at6native29vectorized_elementwise_kernelILi2ENS0_11FillFunctorIfEESt5arrayIPcLm1EEEEviT0_T1_ ; -- Begin function _ZN2at6native29vectorized_elementwise_kernelILi2ENS0_11FillFunctorIfEESt5arrayIPcLm1EEEEviT0_T1_
	.globl	_ZN2at6native29vectorized_elementwise_kernelILi2ENS0_11FillFunctorIfEESt5arrayIPcLm1EEEEviT0_T1_
	.p2align	8
	.type	_ZN2at6native29vectorized_elementwise_kernelILi2ENS0_11FillFunctorIfEESt5arrayIPcLm1EEEEviT0_T1_,@function
_ZN2at6native29vectorized_elementwise_kernelILi2ENS0_11FillFunctorIfEESt5arrayIPcLm1EEEEviT0_T1_: ; @_ZN2at6native29vectorized_elementwise_kernelILi2ENS0_11FillFunctorIfEESt5arrayIPcLm1EEEEviT0_T1_
; %bb.0:
	s_load_b128 s[0:3], s[0:1], 0x0
	s_lshl_b32 s4, s15, 10
	s_waitcnt lgkmcnt(0)
	s_sub_i32 s6, s0, s4
	s_mov_b32 s0, -1
	s_cmpk_gt_i32 s6, 0x3ff
	s_cbranch_scc0 .LBB51_2
; %bb.1:
	s_ashr_i32 s5, s4, 31
	s_mov_b32 s0, s1
	v_dual_mov_b32 v2, s1 :: v_dual_lshlrev_b32 v3, 3, v0
	s_lshl_b64 s[8:9], s[4:5], 2
	v_mov_b32_e32 v1, s0
	s_add_u32 s8, s2, s8
	s_addc_u32 s9, s3, s9
	s_mov_b32 s0, 0
	s_clause 0x1
	global_store_b64 v3, v[1:2], s[8:9]
	global_store_b64 v3, v[1:2], s[8:9] offset:2048
.LBB51_2:
	s_and_not1_b32 vcc_lo, exec_lo, s0
	s_cbranch_vccnz .LBB51_8
; %bb.3:
	s_mov_b32 s0, exec_lo
	v_cmpx_gt_i32_e64 s6, v0
	s_cbranch_execnz .LBB51_9
; %bb.4:
	s_or_b32 exec_lo, exec_lo, s0
	s_delay_alu instid0(SALU_CYCLE_1)
	s_mov_b32 s0, exec_lo
	v_cmpx_gt_i32_e64 s6, v0
	s_cbranch_execnz .LBB51_10
.LBB51_5:
	s_or_b32 exec_lo, exec_lo, s0
	s_delay_alu instid0(SALU_CYCLE_1)
	s_mov_b32 s0, exec_lo
	v_cmpx_gt_i32_e64 s6, v0
	s_cbranch_execnz .LBB51_11
.LBB51_6:
	s_or_b32 exec_lo, exec_lo, s0
	s_delay_alu instid0(SALU_CYCLE_1)
	s_mov_b32 s0, exec_lo
	v_cmpx_gt_i32_e64 s6, v0
	s_cbranch_execz .LBB51_8
.LBB51_7:
	v_dual_mov_b32 v1, 0 :: v_dual_add_nc_u32 v0, s4, v0
	v_mov_b32_e32 v2, s1
	s_delay_alu instid0(VALU_DEP_2) | instskip(NEXT) | instid1(VALU_DEP_1)
	v_lshlrev_b64 v[0:1], 2, v[0:1]
	v_add_co_u32 v0, vcc_lo, s2, v0
	s_delay_alu instid0(VALU_DEP_2)
	v_add_co_ci_u32_e32 v1, vcc_lo, s3, v1, vcc_lo
	global_store_b32 v[0:1], v2, off
.LBB51_8:
	s_nop 0
	s_sendmsg sendmsg(MSG_DEALLOC_VGPRS)
	s_endpgm
.LBB51_9:
	v_or_b32_e32 v1, s4, v0
	v_dual_mov_b32 v2, 0 :: v_dual_mov_b32 v3, s1
	v_or_b32_e32 v0, 0x100, v0
	s_delay_alu instid0(VALU_DEP_2) | instskip(NEXT) | instid1(VALU_DEP_1)
	v_lshlrev_b64 v[1:2], 2, v[1:2]
	v_add_co_u32 v1, vcc_lo, s2, v1
	s_delay_alu instid0(VALU_DEP_2) | instskip(SKIP_2) | instid1(SALU_CYCLE_1)
	v_add_co_ci_u32_e32 v2, vcc_lo, s3, v2, vcc_lo
	global_store_b32 v[1:2], v3, off
	s_or_b32 exec_lo, exec_lo, s0
	s_mov_b32 s0, exec_lo
	v_cmpx_gt_i32_e64 s6, v0
	s_cbranch_execz .LBB51_5
.LBB51_10:
	v_dual_mov_b32 v2, 0 :: v_dual_add_nc_u32 v1, s4, v0
	v_dual_mov_b32 v3, s1 :: v_dual_add_nc_u32 v0, 0x100, v0
	s_delay_alu instid0(VALU_DEP_2) | instskip(NEXT) | instid1(VALU_DEP_1)
	v_lshlrev_b64 v[1:2], 2, v[1:2]
	v_add_co_u32 v1, vcc_lo, s2, v1
	s_delay_alu instid0(VALU_DEP_2) | instskip(SKIP_2) | instid1(SALU_CYCLE_1)
	v_add_co_ci_u32_e32 v2, vcc_lo, s3, v2, vcc_lo
	global_store_b32 v[1:2], v3, off
	s_or_b32 exec_lo, exec_lo, s0
	s_mov_b32 s0, exec_lo
	v_cmpx_gt_i32_e64 s6, v0
	s_cbranch_execz .LBB51_6
.LBB51_11:
	v_dual_mov_b32 v2, 0 :: v_dual_add_nc_u32 v1, s4, v0
	v_dual_mov_b32 v3, s1 :: v_dual_add_nc_u32 v0, 0x100, v0
	s_delay_alu instid0(VALU_DEP_2) | instskip(NEXT) | instid1(VALU_DEP_1)
	v_lshlrev_b64 v[1:2], 2, v[1:2]
	v_add_co_u32 v1, vcc_lo, s2, v1
	s_delay_alu instid0(VALU_DEP_2) | instskip(SKIP_2) | instid1(SALU_CYCLE_1)
	v_add_co_ci_u32_e32 v2, vcc_lo, s3, v2, vcc_lo
	global_store_b32 v[1:2], v3, off
	s_or_b32 exec_lo, exec_lo, s0
	s_mov_b32 s0, exec_lo
	v_cmpx_gt_i32_e64 s6, v0
	s_cbranch_execnz .LBB51_7
	s_branch .LBB51_8
	.section	.rodata,"a",@progbits
	.p2align	6, 0x0
	.amdhsa_kernel _ZN2at6native29vectorized_elementwise_kernelILi2ENS0_11FillFunctorIfEESt5arrayIPcLm1EEEEviT0_T1_
		.amdhsa_group_segment_fixed_size 0
		.amdhsa_private_segment_fixed_size 0
		.amdhsa_kernarg_size 16
		.amdhsa_user_sgpr_count 15
		.amdhsa_user_sgpr_dispatch_ptr 0
		.amdhsa_user_sgpr_queue_ptr 0
		.amdhsa_user_sgpr_kernarg_segment_ptr 1
		.amdhsa_user_sgpr_dispatch_id 0
		.amdhsa_user_sgpr_private_segment_size 0
		.amdhsa_wavefront_size32 1
		.amdhsa_uses_dynamic_stack 0
		.amdhsa_enable_private_segment 0
		.amdhsa_system_sgpr_workgroup_id_x 1
		.amdhsa_system_sgpr_workgroup_id_y 0
		.amdhsa_system_sgpr_workgroup_id_z 0
		.amdhsa_system_sgpr_workgroup_info 0
		.amdhsa_system_vgpr_workitem_id 0
		.amdhsa_next_free_vgpr 4
		.amdhsa_next_free_sgpr 16
		.amdhsa_reserve_vcc 1
		.amdhsa_float_round_mode_32 0
		.amdhsa_float_round_mode_16_64 0
		.amdhsa_float_denorm_mode_32 3
		.amdhsa_float_denorm_mode_16_64 3
		.amdhsa_dx10_clamp 1
		.amdhsa_ieee_mode 1
		.amdhsa_fp16_overflow 0
		.amdhsa_workgroup_processor_mode 1
		.amdhsa_memory_ordered 1
		.amdhsa_forward_progress 0
		.amdhsa_shared_vgpr_count 0
		.amdhsa_exception_fp_ieee_invalid_op 0
		.amdhsa_exception_fp_denorm_src 0
		.amdhsa_exception_fp_ieee_div_zero 0
		.amdhsa_exception_fp_ieee_overflow 0
		.amdhsa_exception_fp_ieee_underflow 0
		.amdhsa_exception_fp_ieee_inexact 0
		.amdhsa_exception_int_div_zero 0
	.end_amdhsa_kernel
	.section	.text._ZN2at6native29vectorized_elementwise_kernelILi2ENS0_11FillFunctorIfEESt5arrayIPcLm1EEEEviT0_T1_,"axG",@progbits,_ZN2at6native29vectorized_elementwise_kernelILi2ENS0_11FillFunctorIfEESt5arrayIPcLm1EEEEviT0_T1_,comdat
.Lfunc_end51:
	.size	_ZN2at6native29vectorized_elementwise_kernelILi2ENS0_11FillFunctorIfEESt5arrayIPcLm1EEEEviT0_T1_, .Lfunc_end51-_ZN2at6native29vectorized_elementwise_kernelILi2ENS0_11FillFunctorIfEESt5arrayIPcLm1EEEEviT0_T1_
                                        ; -- End function
	.section	.AMDGPU.csdata,"",@progbits
; Kernel info:
; codeLenInByte = 476
; NumSgprs: 18
; NumVgprs: 4
; ScratchSize: 0
; MemoryBound: 0
; FloatMode: 240
; IeeeMode: 1
; LDSByteSize: 0 bytes/workgroup (compile time only)
; SGPRBlocks: 2
; VGPRBlocks: 0
; NumSGPRsForWavesPerEU: 18
; NumVGPRsForWavesPerEU: 4
; Occupancy: 16
; WaveLimiterHint : 1
; COMPUTE_PGM_RSRC2:SCRATCH_EN: 0
; COMPUTE_PGM_RSRC2:USER_SGPR: 15
; COMPUTE_PGM_RSRC2:TRAP_HANDLER: 0
; COMPUTE_PGM_RSRC2:TGID_X_EN: 1
; COMPUTE_PGM_RSRC2:TGID_Y_EN: 0
; COMPUTE_PGM_RSRC2:TGID_Z_EN: 0
; COMPUTE_PGM_RSRC2:TIDIG_COMP_CNT: 0
	.section	.text._ZN2at6native27unrolled_elementwise_kernelINS0_11FillFunctorIfEESt5arrayIPcLm1EELi4E23TrivialOffsetCalculatorILi0EjES7_ILi1EjENS0_6memory15LoadWithoutCastENSA_16StoreWithoutCastEEEviT_T0_T2_T3_T4_T5_,"axG",@progbits,_ZN2at6native27unrolled_elementwise_kernelINS0_11FillFunctorIfEESt5arrayIPcLm1EELi4E23TrivialOffsetCalculatorILi0EjES7_ILi1EjENS0_6memory15LoadWithoutCastENSA_16StoreWithoutCastEEEviT_T0_T2_T3_T4_T5_,comdat
	.protected	_ZN2at6native27unrolled_elementwise_kernelINS0_11FillFunctorIfEESt5arrayIPcLm1EELi4E23TrivialOffsetCalculatorILi0EjES7_ILi1EjENS0_6memory15LoadWithoutCastENSA_16StoreWithoutCastEEEviT_T0_T2_T3_T4_T5_ ; -- Begin function _ZN2at6native27unrolled_elementwise_kernelINS0_11FillFunctorIfEESt5arrayIPcLm1EELi4E23TrivialOffsetCalculatorILi0EjES7_ILi1EjENS0_6memory15LoadWithoutCastENSA_16StoreWithoutCastEEEviT_T0_T2_T3_T4_T5_
	.globl	_ZN2at6native27unrolled_elementwise_kernelINS0_11FillFunctorIfEESt5arrayIPcLm1EELi4E23TrivialOffsetCalculatorILi0EjES7_ILi1EjENS0_6memory15LoadWithoutCastENSA_16StoreWithoutCastEEEviT_T0_T2_T3_T4_T5_
	.p2align	8
	.type	_ZN2at6native27unrolled_elementwise_kernelINS0_11FillFunctorIfEESt5arrayIPcLm1EELi4E23TrivialOffsetCalculatorILi0EjES7_ILi1EjENS0_6memory15LoadWithoutCastENSA_16StoreWithoutCastEEEviT_T0_T2_T3_T4_T5_,@function
_ZN2at6native27unrolled_elementwise_kernelINS0_11FillFunctorIfEESt5arrayIPcLm1EELi4E23TrivialOffsetCalculatorILi0EjES7_ILi1EjENS0_6memory15LoadWithoutCastENSA_16StoreWithoutCastEEEviT_T0_T2_T3_T4_T5_: ; @_ZN2at6native27unrolled_elementwise_kernelINS0_11FillFunctorIfEESt5arrayIPcLm1EELi4E23TrivialOffsetCalculatorILi0EjES7_ILi1EjENS0_6memory15LoadWithoutCastENSA_16StoreWithoutCastEEEviT_T0_T2_T3_T4_T5_
; %bb.0:
	s_load_b128 s[0:3], s[0:1], 0x0
	s_lshl_b32 s4, s15, 10
	s_mov_b32 s5, exec_lo
	s_waitcnt lgkmcnt(0)
	s_sub_i32 s0, s0, s4
	s_delay_alu instid0(SALU_CYCLE_1)
	v_cmpx_gt_i32_e64 s0, v0
	s_cbranch_execnz .LBB52_5
; %bb.1:
	s_or_b32 exec_lo, exec_lo, s5
	s_delay_alu instid0(SALU_CYCLE_1)
	s_mov_b32 s5, exec_lo
	v_cmpx_gt_i32_e64 s0, v0
	s_cbranch_execnz .LBB52_6
.LBB52_2:
	s_or_b32 exec_lo, exec_lo, s5
	s_delay_alu instid0(SALU_CYCLE_1)
	s_mov_b32 s5, exec_lo
	v_cmpx_gt_i32_e64 s0, v0
	s_cbranch_execnz .LBB52_7
.LBB52_3:
	s_or_b32 exec_lo, exec_lo, s5
	v_cmp_gt_i32_e32 vcc_lo, s0, v0
	s_and_saveexec_b32 s0, vcc_lo
	s_cbranch_execnz .LBB52_8
.LBB52_4:
	s_nop 0
	s_sendmsg sendmsg(MSG_DEALLOC_VGPRS)
	s_endpgm
.LBB52_5:
	v_or_b32_e32 v1, s4, v0
	v_dual_mov_b32 v2, 0 :: v_dual_mov_b32 v3, s1
	v_or_b32_e32 v0, 0x100, v0
	s_delay_alu instid0(VALU_DEP_2) | instskip(NEXT) | instid1(VALU_DEP_1)
	v_lshlrev_b64 v[1:2], 2, v[1:2]
	v_add_co_u32 v1, vcc_lo, s2, v1
	s_delay_alu instid0(VALU_DEP_2) | instskip(SKIP_2) | instid1(SALU_CYCLE_1)
	v_add_co_ci_u32_e32 v2, vcc_lo, s3, v2, vcc_lo
	global_store_b32 v[1:2], v3, off
	s_or_b32 exec_lo, exec_lo, s5
	s_mov_b32 s5, exec_lo
	v_cmpx_gt_i32_e64 s0, v0
	s_cbranch_execz .LBB52_2
.LBB52_6:
	v_dual_mov_b32 v2, 0 :: v_dual_add_nc_u32 v1, s4, v0
	v_dual_mov_b32 v3, s1 :: v_dual_add_nc_u32 v0, 0x100, v0
	s_delay_alu instid0(VALU_DEP_2) | instskip(NEXT) | instid1(VALU_DEP_1)
	v_lshlrev_b64 v[1:2], 2, v[1:2]
	v_add_co_u32 v1, vcc_lo, s2, v1
	s_delay_alu instid0(VALU_DEP_2) | instskip(SKIP_2) | instid1(SALU_CYCLE_1)
	v_add_co_ci_u32_e32 v2, vcc_lo, s3, v2, vcc_lo
	global_store_b32 v[1:2], v3, off
	s_or_b32 exec_lo, exec_lo, s5
	s_mov_b32 s5, exec_lo
	v_cmpx_gt_i32_e64 s0, v0
	s_cbranch_execz .LBB52_3
.LBB52_7:
	v_dual_mov_b32 v2, 0 :: v_dual_add_nc_u32 v1, s4, v0
	v_dual_mov_b32 v3, s1 :: v_dual_add_nc_u32 v0, 0x100, v0
	s_delay_alu instid0(VALU_DEP_2) | instskip(NEXT) | instid1(VALU_DEP_1)
	v_lshlrev_b64 v[1:2], 2, v[1:2]
	v_add_co_u32 v1, vcc_lo, s2, v1
	s_delay_alu instid0(VALU_DEP_2)
	v_add_co_ci_u32_e32 v2, vcc_lo, s3, v2, vcc_lo
	global_store_b32 v[1:2], v3, off
	s_or_b32 exec_lo, exec_lo, s5
	v_cmp_gt_i32_e32 vcc_lo, s0, v0
	s_and_saveexec_b32 s0, vcc_lo
	s_cbranch_execz .LBB52_4
.LBB52_8:
	v_dual_mov_b32 v1, 0 :: v_dual_add_nc_u32 v0, s4, v0
	v_mov_b32_e32 v2, s1
	s_delay_alu instid0(VALU_DEP_2) | instskip(NEXT) | instid1(VALU_DEP_1)
	v_lshlrev_b64 v[0:1], 2, v[0:1]
	v_add_co_u32 v0, vcc_lo, s2, v0
	s_delay_alu instid0(VALU_DEP_2)
	v_add_co_ci_u32_e32 v1, vcc_lo, s3, v1, vcc_lo
	global_store_b32 v[0:1], v2, off
	s_nop 0
	s_sendmsg sendmsg(MSG_DEALLOC_VGPRS)
	s_endpgm
	.section	.rodata,"a",@progbits
	.p2align	6, 0x0
	.amdhsa_kernel _ZN2at6native27unrolled_elementwise_kernelINS0_11FillFunctorIfEESt5arrayIPcLm1EELi4E23TrivialOffsetCalculatorILi0EjES7_ILi1EjENS0_6memory15LoadWithoutCastENSA_16StoreWithoutCastEEEviT_T0_T2_T3_T4_T5_
		.amdhsa_group_segment_fixed_size 0
		.amdhsa_private_segment_fixed_size 0
		.amdhsa_kernarg_size 20
		.amdhsa_user_sgpr_count 15
		.amdhsa_user_sgpr_dispatch_ptr 0
		.amdhsa_user_sgpr_queue_ptr 0
		.amdhsa_user_sgpr_kernarg_segment_ptr 1
		.amdhsa_user_sgpr_dispatch_id 0
		.amdhsa_user_sgpr_private_segment_size 0
		.amdhsa_wavefront_size32 1
		.amdhsa_uses_dynamic_stack 0
		.amdhsa_enable_private_segment 0
		.amdhsa_system_sgpr_workgroup_id_x 1
		.amdhsa_system_sgpr_workgroup_id_y 0
		.amdhsa_system_sgpr_workgroup_id_z 0
		.amdhsa_system_sgpr_workgroup_info 0
		.amdhsa_system_vgpr_workitem_id 0
		.amdhsa_next_free_vgpr 4
		.amdhsa_next_free_sgpr 16
		.amdhsa_reserve_vcc 1
		.amdhsa_float_round_mode_32 0
		.amdhsa_float_round_mode_16_64 0
		.amdhsa_float_denorm_mode_32 3
		.amdhsa_float_denorm_mode_16_64 3
		.amdhsa_dx10_clamp 1
		.amdhsa_ieee_mode 1
		.amdhsa_fp16_overflow 0
		.amdhsa_workgroup_processor_mode 1
		.amdhsa_memory_ordered 1
		.amdhsa_forward_progress 0
		.amdhsa_shared_vgpr_count 0
		.amdhsa_exception_fp_ieee_invalid_op 0
		.amdhsa_exception_fp_denorm_src 0
		.amdhsa_exception_fp_ieee_div_zero 0
		.amdhsa_exception_fp_ieee_overflow 0
		.amdhsa_exception_fp_ieee_underflow 0
		.amdhsa_exception_fp_ieee_inexact 0
		.amdhsa_exception_int_div_zero 0
	.end_amdhsa_kernel
	.section	.text._ZN2at6native27unrolled_elementwise_kernelINS0_11FillFunctorIfEESt5arrayIPcLm1EELi4E23TrivialOffsetCalculatorILi0EjES7_ILi1EjENS0_6memory15LoadWithoutCastENSA_16StoreWithoutCastEEEviT_T0_T2_T3_T4_T5_,"axG",@progbits,_ZN2at6native27unrolled_elementwise_kernelINS0_11FillFunctorIfEESt5arrayIPcLm1EELi4E23TrivialOffsetCalculatorILi0EjES7_ILi1EjENS0_6memory15LoadWithoutCastENSA_16StoreWithoutCastEEEviT_T0_T2_T3_T4_T5_,comdat
.Lfunc_end52:
	.size	_ZN2at6native27unrolled_elementwise_kernelINS0_11FillFunctorIfEESt5arrayIPcLm1EELi4E23TrivialOffsetCalculatorILi0EjES7_ILi1EjENS0_6memory15LoadWithoutCastENSA_16StoreWithoutCastEEEviT_T0_T2_T3_T4_T5_, .Lfunc_end52-_ZN2at6native27unrolled_elementwise_kernelINS0_11FillFunctorIfEESt5arrayIPcLm1EELi4E23TrivialOffsetCalculatorILi0EjES7_ILi1EjENS0_6memory15LoadWithoutCastENSA_16StoreWithoutCastEEEviT_T0_T2_T3_T4_T5_
                                        ; -- End function
	.section	.AMDGPU.csdata,"",@progbits
; Kernel info:
; codeLenInByte = 400
; NumSgprs: 18
; NumVgprs: 4
; ScratchSize: 0
; MemoryBound: 0
; FloatMode: 240
; IeeeMode: 1
; LDSByteSize: 0 bytes/workgroup (compile time only)
; SGPRBlocks: 2
; VGPRBlocks: 0
; NumSGPRsForWavesPerEU: 18
; NumVGPRsForWavesPerEU: 4
; Occupancy: 16
; WaveLimiterHint : 0
; COMPUTE_PGM_RSRC2:SCRATCH_EN: 0
; COMPUTE_PGM_RSRC2:USER_SGPR: 15
; COMPUTE_PGM_RSRC2:TRAP_HANDLER: 0
; COMPUTE_PGM_RSRC2:TGID_X_EN: 1
; COMPUTE_PGM_RSRC2:TGID_Y_EN: 0
; COMPUTE_PGM_RSRC2:TGID_Z_EN: 0
; COMPUTE_PGM_RSRC2:TIDIG_COMP_CNT: 0
	.section	.text._ZN2at6native32elementwise_kernel_manual_unrollILi128ELi4EZNS0_22gpu_kernel_impl_nocastINS0_11FillFunctorIfEEEEvRNS_18TensorIteratorBaseERKT_EUlibE_EEviT1_,"axG",@progbits,_ZN2at6native32elementwise_kernel_manual_unrollILi128ELi4EZNS0_22gpu_kernel_impl_nocastINS0_11FillFunctorIfEEEEvRNS_18TensorIteratorBaseERKT_EUlibE_EEviT1_,comdat
	.protected	_ZN2at6native32elementwise_kernel_manual_unrollILi128ELi4EZNS0_22gpu_kernel_impl_nocastINS0_11FillFunctorIfEEEEvRNS_18TensorIteratorBaseERKT_EUlibE_EEviT1_ ; -- Begin function _ZN2at6native32elementwise_kernel_manual_unrollILi128ELi4EZNS0_22gpu_kernel_impl_nocastINS0_11FillFunctorIfEEEEvRNS_18TensorIteratorBaseERKT_EUlibE_EEviT1_
	.globl	_ZN2at6native32elementwise_kernel_manual_unrollILi128ELi4EZNS0_22gpu_kernel_impl_nocastINS0_11FillFunctorIfEEEEvRNS_18TensorIteratorBaseERKT_EUlibE_EEviT1_
	.p2align	8
	.type	_ZN2at6native32elementwise_kernel_manual_unrollILi128ELi4EZNS0_22gpu_kernel_impl_nocastINS0_11FillFunctorIfEEEEvRNS_18TensorIteratorBaseERKT_EUlibE_EEviT1_,@function
_ZN2at6native32elementwise_kernel_manual_unrollILi128ELi4EZNS0_22gpu_kernel_impl_nocastINS0_11FillFunctorIfEEEEvRNS_18TensorIteratorBaseERKT_EUlibE_EEviT1_: ; @_ZN2at6native32elementwise_kernel_manual_unrollILi128ELi4EZNS0_22gpu_kernel_impl_nocastINS0_11FillFunctorIfEEEEvRNS_18TensorIteratorBaseERKT_EUlibE_EEviT1_
; %bb.0:
	s_clause 0x1
	s_load_b32 s18, s[0:1], 0x8
	s_load_b32 s24, s[0:1], 0x0
	v_lshl_or_b32 v2, s15, 9, v0
	s_or_b32 s0, s0, 8
	s_mov_b32 s2, exec_lo
	s_delay_alu instid0(VALU_DEP_1) | instskip(SKIP_2) | instid1(SALU_CYCLE_1)
	v_or_b32_e32 v4, 0x180, v2
	s_waitcnt lgkmcnt(0)
	s_add_i32 s19, s18, -1
	s_cmp_gt_u32 s19, 1
	s_cselect_b32 s20, -1, 0
	v_cmpx_le_i32_e64 s24, v4
	s_xor_b32 s21, exec_lo, s2
	s_cbranch_execz .LBB53_7
; %bb.1:
	s_clause 0x4
	s_load_b128 s[4:7], s[0:1], 0x4
	s_load_b64 s[10:11], s[0:1], 0x14
	s_load_b64 s[8:9], s[0:1], 0xc4
	;; [unrolled: 1-line block ×3, first 2 shown]
	s_load_b32 s22, s[0:1], 0x110
	s_cmp_lg_u32 s18, 0
	s_mov_b32 s27, exec_lo
	s_cselect_b32 s26, -1, 0
	s_add_u32 s12, s0, 0xc4
	s_addc_u32 s13, s1, 0
	s_min_u32 s25, s19, 15
	s_cmp_gt_u32 s18, 1
	s_cselect_b32 s23, -1, 0
	v_cmpx_gt_i32_e64 s24, v2
	s_cbranch_execz .LBB53_14
; %bb.2:
	s_and_not1_b32 vcc_lo, exec_lo, s20
	s_cbranch_vccnz .LBB53_21
; %bb.3:
	v_mov_b32_e32 v0, 0
	s_and_not1_b32 vcc_lo, exec_lo, s26
	s_cbranch_vccnz .LBB53_73
; %bb.4:
	s_add_i32 s29, s25, 1
	s_cmp_eq_u32 s19, 2
	s_mov_b32 s28, 0
	s_cbranch_scc1 .LBB53_69
; %bb.5:
	v_dual_mov_b32 v0, 0 :: v_dual_mov_b32 v1, v2
	s_and_b32 s28, s29, 28
	s_mov_b32 s30, 0
	s_mov_b64 s[14:15], s[0:1]
	s_mov_b64 s[16:17], s[12:13]
.LBB53_6:                               ; =>This Inner Loop Header: Depth=1
	s_clause 0x1
	s_load_b256 s[36:43], s[14:15], 0x4
	s_load_b128 s[44:47], s[14:15], 0x24
	s_load_b128 s[48:51], s[16:17], 0x0
	s_add_u32 s14, s14, 48
	s_addc_u32 s15, s15, 0
	s_add_i32 s30, s30, 4
	s_add_u32 s16, s16, 16
	s_addc_u32 s17, s17, 0
	s_cmp_lg_u32 s28, s30
	s_waitcnt lgkmcnt(0)
	v_mul_hi_u32 v3, s37, v1
	s_delay_alu instid0(VALU_DEP_1) | instskip(NEXT) | instid1(VALU_DEP_1)
	v_add_nc_u32_e32 v3, v1, v3
	v_lshrrev_b32_e32 v3, s38, v3
	s_delay_alu instid0(VALU_DEP_1) | instskip(SKIP_1) | instid1(VALU_DEP_2)
	v_mul_hi_u32 v4, s40, v3
	v_mul_lo_u32 v7, v3, s36
	v_add_nc_u32_e32 v4, v3, v4
	s_delay_alu instid0(VALU_DEP_2) | instskip(NEXT) | instid1(VALU_DEP_2)
	v_sub_nc_u32_e32 v7, v1, v7
	v_lshrrev_b32_e32 v4, s41, v4
	s_delay_alu instid0(VALU_DEP_2) | instskip(NEXT) | instid1(VALU_DEP_2)
	v_mul_lo_u32 v7, v7, s48
	v_mul_hi_u32 v5, s43, v4
	v_mul_lo_u32 v8, v4, s39
	s_delay_alu instid0(VALU_DEP_2) | instskip(NEXT) | instid1(VALU_DEP_2)
	v_add_nc_u32_e32 v5, v4, v5
	v_sub_nc_u32_e32 v3, v3, v8
	s_delay_alu instid0(VALU_DEP_2) | instskip(NEXT) | instid1(VALU_DEP_2)
	v_lshrrev_b32_e32 v5, s44, v5
	v_mul_lo_u32 v3, v3, s49
	s_delay_alu instid0(VALU_DEP_2) | instskip(NEXT) | instid1(VALU_DEP_2)
	v_mul_hi_u32 v6, s46, v5
	v_add3_u32 v0, v7, v0, v3
	s_delay_alu instid0(VALU_DEP_2) | instskip(NEXT) | instid1(VALU_DEP_1)
	v_add_nc_u32_e32 v6, v5, v6
	v_lshrrev_b32_e32 v1, s47, v6
	v_mul_lo_u32 v6, v5, s42
	s_delay_alu instid0(VALU_DEP_2) | instskip(NEXT) | instid1(VALU_DEP_2)
	v_mul_lo_u32 v9, v1, s45
	v_sub_nc_u32_e32 v4, v4, v6
	s_delay_alu instid0(VALU_DEP_2) | instskip(NEXT) | instid1(VALU_DEP_2)
	v_sub_nc_u32_e32 v5, v5, v9
	v_mul_lo_u32 v4, v4, s50
	s_delay_alu instid0(VALU_DEP_2) | instskip(NEXT) | instid1(VALU_DEP_1)
	v_mul_lo_u32 v5, v5, s51
	v_add3_u32 v0, v4, v0, v5
	s_cbranch_scc1 .LBB53_6
	s_branch .LBB53_70
.LBB53_7:
	s_and_not1_saveexec_b32 s2, s21
	s_cbranch_execz .LBB53_94
.LBB53_8:
	v_cndmask_b32_e64 v3, 0, 1, s20
	s_and_not1_b32 vcc_lo, exec_lo, s20
	s_cbranch_vccnz .LBB53_20
; %bb.9:
	v_mov_b32_e32 v0, 0
	s_cmp_eq_u32 s18, 0
	s_mov_b32 s6, 0
	s_cbranch_scc1 .LBB53_26
; %bb.10:
	s_min_u32 s7, s19, 15
	v_mov_b32_e32 v0, 0
	s_add_i32 s7, s7, 1
	s_cmp_eq_u32 s19, 2
	s_mov_b32 s8, 0
	s_cbranch_scc1 .LBB53_23
; %bb.11:
	v_dual_mov_b32 v0, 0 :: v_dual_mov_b32 v1, v2
	s_add_u32 s2, s0, 0xc4
	s_addc_u32 s3, s1, 0
	s_and_b32 s8, s7, 28
	s_mov_b32 s9, 0
	s_mov_b64 s[4:5], s[0:1]
.LBB53_12:                              ; =>This Inner Loop Header: Depth=1
	s_clause 0x1
	s_load_b256 s[20:27], s[4:5], 0x4
	s_load_b128 s[12:15], s[4:5], 0x24
	s_load_b128 s[28:31], s[2:3], 0x0
	s_add_u32 s4, s4, 48
	s_addc_u32 s5, s5, 0
	s_add_i32 s9, s9, 4
	s_add_u32 s2, s2, 16
	s_addc_u32 s3, s3, 0
	s_cmp_lg_u32 s8, s9
	s_waitcnt lgkmcnt(0)
	v_mul_hi_u32 v5, s21, v1
	s_delay_alu instid0(VALU_DEP_1) | instskip(NEXT) | instid1(VALU_DEP_1)
	v_add_nc_u32_e32 v5, v1, v5
	v_lshrrev_b32_e32 v5, s22, v5
	s_delay_alu instid0(VALU_DEP_1) | instskip(SKIP_1) | instid1(VALU_DEP_2)
	v_mul_hi_u32 v6, s24, v5
	v_mul_lo_u32 v9, v5, s20
	v_add_nc_u32_e32 v6, v5, v6
	s_delay_alu instid0(VALU_DEP_2) | instskip(NEXT) | instid1(VALU_DEP_2)
	v_sub_nc_u32_e32 v9, v1, v9
	v_lshrrev_b32_e32 v6, s25, v6
	s_delay_alu instid0(VALU_DEP_2) | instskip(NEXT) | instid1(VALU_DEP_2)
	v_mul_lo_u32 v9, v9, s28
	v_mul_hi_u32 v7, s27, v6
	v_mul_lo_u32 v10, v6, s23
	s_delay_alu instid0(VALU_DEP_2) | instskip(NEXT) | instid1(VALU_DEP_2)
	v_add_nc_u32_e32 v7, v6, v7
	v_sub_nc_u32_e32 v5, v5, v10
	s_delay_alu instid0(VALU_DEP_2) | instskip(NEXT) | instid1(VALU_DEP_2)
	v_lshrrev_b32_e32 v7, s12, v7
	v_mul_lo_u32 v5, v5, s29
	s_delay_alu instid0(VALU_DEP_2) | instskip(NEXT) | instid1(VALU_DEP_2)
	v_mul_hi_u32 v8, s14, v7
	v_add3_u32 v0, v9, v0, v5
	s_delay_alu instid0(VALU_DEP_2) | instskip(NEXT) | instid1(VALU_DEP_1)
	v_add_nc_u32_e32 v8, v7, v8
	v_lshrrev_b32_e32 v1, s15, v8
	v_mul_lo_u32 v8, v7, s26
	s_delay_alu instid0(VALU_DEP_2) | instskip(NEXT) | instid1(VALU_DEP_2)
	v_mul_lo_u32 v11, v1, s13
	v_sub_nc_u32_e32 v6, v6, v8
	s_delay_alu instid0(VALU_DEP_2) | instskip(NEXT) | instid1(VALU_DEP_2)
	v_sub_nc_u32_e32 v7, v7, v11
	v_mul_lo_u32 v6, v6, s30
	s_delay_alu instid0(VALU_DEP_2) | instskip(NEXT) | instid1(VALU_DEP_1)
	v_mul_lo_u32 v7, v7, s31
	v_add3_u32 v0, v6, v0, v7
	s_cbranch_scc1 .LBB53_12
; %bb.13:
	s_and_b32 s7, s7, 3
	s_delay_alu instid0(SALU_CYCLE_1)
	s_cmp_eq_u32 s7, 0
	s_cbranch_scc0 .LBB53_24
	s_branch .LBB53_26
.LBB53_14:
	s_or_b32 exec_lo, exec_lo, s27
	s_delay_alu instid0(SALU_CYCLE_1)
	s_mov_b32 s27, exec_lo
	v_cmpx_gt_i32_e64 s24, v2
	s_cbranch_execz .LBB53_77
.LBB53_15:
	s_and_not1_b32 vcc_lo, exec_lo, s20
	s_cbranch_vccnz .LBB53_22
; %bb.16:
	v_mov_b32_e32 v0, 0
	s_and_not1_b32 vcc_lo, exec_lo, s26
	s_cbranch_vccnz .LBB53_88
; %bb.17:
	s_add_i32 s29, s25, 1
	s_cmp_eq_u32 s19, 2
	s_mov_b32 s28, 0
	s_cbranch_scc1 .LBB53_84
; %bb.18:
	v_dual_mov_b32 v0, 0 :: v_dual_mov_b32 v1, v2
	s_and_b32 s28, s29, 28
	s_mov_b32 s30, 0
	s_mov_b64 s[14:15], s[0:1]
	s_mov_b64 s[16:17], s[12:13]
.LBB53_19:                              ; =>This Inner Loop Header: Depth=1
	s_clause 0x1
	s_load_b256 s[36:43], s[14:15], 0x4
	s_load_b128 s[44:47], s[14:15], 0x24
	s_load_b128 s[48:51], s[16:17], 0x0
	s_add_u32 s14, s14, 48
	s_addc_u32 s15, s15, 0
	s_add_i32 s30, s30, 4
	s_add_u32 s16, s16, 16
	s_addc_u32 s17, s17, 0
	s_cmp_eq_u32 s28, s30
	s_waitcnt lgkmcnt(0)
	v_mul_hi_u32 v3, s37, v1
	s_delay_alu instid0(VALU_DEP_1) | instskip(NEXT) | instid1(VALU_DEP_1)
	v_add_nc_u32_e32 v3, v1, v3
	v_lshrrev_b32_e32 v3, s38, v3
	s_delay_alu instid0(VALU_DEP_1) | instskip(SKIP_1) | instid1(VALU_DEP_2)
	v_mul_hi_u32 v4, s40, v3
	v_mul_lo_u32 v7, v3, s36
	v_add_nc_u32_e32 v4, v3, v4
	s_delay_alu instid0(VALU_DEP_2) | instskip(NEXT) | instid1(VALU_DEP_2)
	v_sub_nc_u32_e32 v7, v1, v7
	v_lshrrev_b32_e32 v4, s41, v4
	s_delay_alu instid0(VALU_DEP_2) | instskip(NEXT) | instid1(VALU_DEP_2)
	v_mul_lo_u32 v7, v7, s48
	v_mul_hi_u32 v5, s43, v4
	v_mul_lo_u32 v8, v4, s39
	s_delay_alu instid0(VALU_DEP_2) | instskip(NEXT) | instid1(VALU_DEP_2)
	v_add_nc_u32_e32 v5, v4, v5
	v_sub_nc_u32_e32 v3, v3, v8
	s_delay_alu instid0(VALU_DEP_2) | instskip(NEXT) | instid1(VALU_DEP_2)
	v_lshrrev_b32_e32 v5, s44, v5
	v_mul_lo_u32 v3, v3, s49
	s_delay_alu instid0(VALU_DEP_2) | instskip(NEXT) | instid1(VALU_DEP_2)
	v_mul_hi_u32 v6, s46, v5
	v_add3_u32 v0, v7, v0, v3
	s_delay_alu instid0(VALU_DEP_2) | instskip(NEXT) | instid1(VALU_DEP_1)
	v_add_nc_u32_e32 v6, v5, v6
	v_lshrrev_b32_e32 v1, s47, v6
	v_mul_lo_u32 v6, v5, s42
	s_delay_alu instid0(VALU_DEP_2) | instskip(NEXT) | instid1(VALU_DEP_2)
	v_mul_lo_u32 v9, v1, s45
	v_sub_nc_u32_e32 v4, v4, v6
	s_delay_alu instid0(VALU_DEP_2) | instskip(NEXT) | instid1(VALU_DEP_2)
	v_sub_nc_u32_e32 v5, v5, v9
	v_mul_lo_u32 v4, v4, s50
	s_delay_alu instid0(VALU_DEP_2) | instskip(NEXT) | instid1(VALU_DEP_1)
	v_mul_lo_u32 v5, v5, s51
	v_add3_u32 v0, v4, v0, v5
	s_cbranch_scc0 .LBB53_19
	s_branch .LBB53_85
.LBB53_20:
	s_mov_b32 s6, -1
                                        ; implicit-def: $vgpr0
	s_branch .LBB53_26
.LBB53_21:
                                        ; implicit-def: $vgpr0
	s_branch .LBB53_74
.LBB53_22:
                                        ; implicit-def: $vgpr0
	s_branch .LBB53_89
.LBB53_23:
	v_mov_b32_e32 v1, v2
	s_and_b32 s7, s7, 3
	s_delay_alu instid0(SALU_CYCLE_1)
	s_cmp_eq_u32 s7, 0
	s_cbranch_scc1 .LBB53_26
.LBB53_24:
	s_lshl_b32 s2, s8, 2
	s_mul_i32 s4, s8, 12
	s_add_u32 s2, s2, s0
	s_addc_u32 s3, 0, s1
	s_add_u32 s2, s2, 0xc4
	s_addc_u32 s3, s3, 0
	;; [unrolled: 2-line block ×3, first 2 shown]
	.p2align	6
.LBB53_25:                              ; =>This Inner Loop Header: Depth=1
	s_clause 0x1
	s_load_b64 s[8:9], s[4:5], 0x4
	s_load_b32 s10, s[4:5], 0xc
	s_add_u32 s4, s4, 12
	s_addc_u32 s5, s5, 0
	s_waitcnt lgkmcnt(0)
	v_mul_hi_u32 v5, s9, v1
	s_load_b32 s9, s[2:3], 0x0
	s_add_u32 s2, s2, 4
	s_addc_u32 s3, s3, 0
	s_add_i32 s7, s7, -1
	s_delay_alu instid0(SALU_CYCLE_1) | instskip(NEXT) | instid1(VALU_DEP_1)
	s_cmp_lg_u32 s7, 0
	v_add_nc_u32_e32 v5, v1, v5
	s_delay_alu instid0(VALU_DEP_1) | instskip(NEXT) | instid1(VALU_DEP_1)
	v_lshrrev_b32_e32 v7, s10, v5
	v_mul_lo_u32 v5, v7, s8
	s_delay_alu instid0(VALU_DEP_1) | instskip(SKIP_1) | instid1(VALU_DEP_1)
	v_sub_nc_u32_e32 v1, v1, v5
	s_waitcnt lgkmcnt(0)
	v_mad_u64_u32 v[5:6], null, v1, s9, v[0:1]
	s_delay_alu instid0(VALU_DEP_1)
	v_dual_mov_b32 v1, v7 :: v_dual_mov_b32 v0, v5
	s_cbranch_scc1 .LBB53_25
.LBB53_26:
	s_and_not1_b32 vcc_lo, exec_lo, s6
	s_cbranch_vccnz .LBB53_29
; %bb.27:
	s_clause 0x1
	s_load_b128 s[4:7], s[0:1], 0x4
	s_load_b32 s2, s[0:1], 0xc4
	s_cmp_lt_u32 s18, 2
	s_waitcnt lgkmcnt(0)
	v_mul_hi_u32 v0, s5, v2
	s_delay_alu instid0(VALU_DEP_1) | instskip(NEXT) | instid1(VALU_DEP_1)
	v_add_nc_u32_e32 v0, v2, v0
	v_lshrrev_b32_e32 v1, s6, v0
	s_delay_alu instid0(VALU_DEP_1) | instskip(NEXT) | instid1(VALU_DEP_1)
	v_mul_lo_u32 v0, v1, s4
	v_sub_nc_u32_e32 v0, v2, v0
	s_delay_alu instid0(VALU_DEP_1)
	v_mul_lo_u32 v0, v0, s2
	s_cbranch_scc1 .LBB53_29
; %bb.28:
	s_clause 0x1
	s_load_b128 s[4:7], s[0:1], 0x10
	s_load_b32 s2, s[0:1], 0xc8
	s_waitcnt lgkmcnt(0)
	v_mul_hi_u32 v5, s5, v1
	s_delay_alu instid0(VALU_DEP_1) | instskip(NEXT) | instid1(VALU_DEP_1)
	v_add_nc_u32_e32 v5, v1, v5
	v_lshrrev_b32_e32 v5, s6, v5
	s_delay_alu instid0(VALU_DEP_1) | instskip(NEXT) | instid1(VALU_DEP_1)
	v_mul_lo_u32 v5, v5, s4
	v_sub_nc_u32_e32 v1, v1, v5
	s_delay_alu instid0(VALU_DEP_1) | instskip(NEXT) | instid1(VALU_DEP_1)
	v_mad_u64_u32 v[5:6], null, v1, s2, v[0:1]
	v_mov_b32_e32 v0, v5
.LBB53_29:
	v_cmp_ne_u32_e32 vcc_lo, 1, v3
	v_add_nc_u32_e32 v5, 0x80, v2
	s_cbranch_vccnz .LBB53_35
; %bb.30:
	v_mov_b32_e32 v1, 0
	s_cmp_eq_u32 s18, 0
	s_mov_b32 s6, 0
	s_cbranch_scc1 .LBB53_39
; %bb.31:
	s_min_u32 s7, s19, 15
	v_mov_b32_e32 v1, 0
	s_add_i32 s7, s7, 1
	s_cmp_eq_u32 s19, 2
	s_mov_b32 s8, 0
	s_cbranch_scc1 .LBB53_36
; %bb.32:
	v_dual_mov_b32 v1, 0 :: v_dual_mov_b32 v6, v5
	s_add_u32 s2, s0, 0xc4
	s_addc_u32 s3, s1, 0
	s_and_b32 s8, s7, 28
	s_mov_b32 s9, 0
	s_mov_b64 s[4:5], s[0:1]
.LBB53_33:                              ; =>This Inner Loop Header: Depth=1
	s_clause 0x1
	s_load_b256 s[20:27], s[4:5], 0x4
	s_load_b128 s[12:15], s[4:5], 0x24
	s_load_b128 s[28:31], s[2:3], 0x0
	s_add_u32 s4, s4, 48
	s_addc_u32 s5, s5, 0
	s_add_i32 s9, s9, 4
	s_add_u32 s2, s2, 16
	s_addc_u32 s3, s3, 0
	s_cmp_lg_u32 s8, s9
	s_waitcnt lgkmcnt(0)
	v_mul_hi_u32 v7, s21, v6
	s_delay_alu instid0(VALU_DEP_1) | instskip(NEXT) | instid1(VALU_DEP_1)
	v_add_nc_u32_e32 v7, v6, v7
	v_lshrrev_b32_e32 v7, s22, v7
	s_delay_alu instid0(VALU_DEP_1) | instskip(SKIP_1) | instid1(VALU_DEP_2)
	v_mul_hi_u32 v8, s24, v7
	v_mul_lo_u32 v11, v7, s20
	v_add_nc_u32_e32 v8, v7, v8
	s_delay_alu instid0(VALU_DEP_2) | instskip(NEXT) | instid1(VALU_DEP_2)
	v_sub_nc_u32_e32 v11, v6, v11
	v_lshrrev_b32_e32 v8, s25, v8
	s_delay_alu instid0(VALU_DEP_2) | instskip(NEXT) | instid1(VALU_DEP_2)
	v_mul_lo_u32 v11, v11, s28
	v_mul_hi_u32 v9, s27, v8
	v_mul_lo_u32 v12, v8, s23
	s_delay_alu instid0(VALU_DEP_2) | instskip(NEXT) | instid1(VALU_DEP_2)
	v_add_nc_u32_e32 v9, v8, v9
	v_sub_nc_u32_e32 v7, v7, v12
	s_delay_alu instid0(VALU_DEP_2) | instskip(NEXT) | instid1(VALU_DEP_2)
	v_lshrrev_b32_e32 v9, s12, v9
	v_mul_lo_u32 v7, v7, s29
	s_delay_alu instid0(VALU_DEP_2) | instskip(NEXT) | instid1(VALU_DEP_2)
	v_mul_hi_u32 v10, s14, v9
	v_add3_u32 v1, v11, v1, v7
	s_delay_alu instid0(VALU_DEP_2) | instskip(NEXT) | instid1(VALU_DEP_1)
	v_add_nc_u32_e32 v10, v9, v10
	v_lshrrev_b32_e32 v6, s15, v10
	v_mul_lo_u32 v10, v9, s26
	s_delay_alu instid0(VALU_DEP_2) | instskip(NEXT) | instid1(VALU_DEP_2)
	v_mul_lo_u32 v13, v6, s13
	v_sub_nc_u32_e32 v8, v8, v10
	s_delay_alu instid0(VALU_DEP_2) | instskip(NEXT) | instid1(VALU_DEP_2)
	v_sub_nc_u32_e32 v9, v9, v13
	v_mul_lo_u32 v8, v8, s30
	s_delay_alu instid0(VALU_DEP_2) | instskip(NEXT) | instid1(VALU_DEP_1)
	v_mul_lo_u32 v9, v9, s31
	v_add3_u32 v1, v8, v1, v9
	s_cbranch_scc1 .LBB53_33
; %bb.34:
	s_and_b32 s7, s7, 3
	s_delay_alu instid0(SALU_CYCLE_1)
	s_cmp_eq_u32 s7, 0
	s_cbranch_scc0 .LBB53_37
	s_branch .LBB53_39
.LBB53_35:
	s_mov_b32 s6, -1
                                        ; implicit-def: $vgpr1
	s_branch .LBB53_39
.LBB53_36:
	v_mov_b32_e32 v6, v5
	s_and_b32 s7, s7, 3
	s_delay_alu instid0(SALU_CYCLE_1)
	s_cmp_eq_u32 s7, 0
	s_cbranch_scc1 .LBB53_39
.LBB53_37:
	s_lshl_b32 s2, s8, 2
	s_mul_i32 s4, s8, 12
	s_add_u32 s2, s2, s0
	s_addc_u32 s3, 0, s1
	s_add_u32 s2, s2, 0xc4
	s_addc_u32 s3, s3, 0
	;; [unrolled: 2-line block ×3, first 2 shown]
	.p2align	6
.LBB53_38:                              ; =>This Inner Loop Header: Depth=1
	s_clause 0x1
	s_load_b64 s[8:9], s[4:5], 0x4
	s_load_b32 s10, s[4:5], 0xc
	s_add_u32 s4, s4, 12
	s_addc_u32 s5, s5, 0
	s_waitcnt lgkmcnt(0)
	v_mul_hi_u32 v7, s9, v6
	s_load_b32 s9, s[2:3], 0x0
	s_add_u32 s2, s2, 4
	s_addc_u32 s3, s3, 0
	s_add_i32 s7, s7, -1
	s_delay_alu instid0(SALU_CYCLE_1) | instskip(NEXT) | instid1(VALU_DEP_1)
	s_cmp_lg_u32 s7, 0
	v_add_nc_u32_e32 v7, v6, v7
	s_delay_alu instid0(VALU_DEP_1) | instskip(NEXT) | instid1(VALU_DEP_1)
	v_lshrrev_b32_e32 v9, s10, v7
	v_mul_lo_u32 v7, v9, s8
	s_delay_alu instid0(VALU_DEP_1) | instskip(SKIP_1) | instid1(VALU_DEP_1)
	v_sub_nc_u32_e32 v6, v6, v7
	s_waitcnt lgkmcnt(0)
	v_mad_u64_u32 v[7:8], null, v6, s9, v[1:2]
	s_delay_alu instid0(VALU_DEP_1)
	v_dual_mov_b32 v6, v9 :: v_dual_mov_b32 v1, v7
	s_cbranch_scc1 .LBB53_38
.LBB53_39:
	s_and_not1_b32 vcc_lo, exec_lo, s6
	s_cbranch_vccnz .LBB53_42
; %bb.40:
	s_clause 0x1
	s_load_b128 s[4:7], s[0:1], 0x4
	s_load_b32 s2, s[0:1], 0xc4
	s_cmp_lt_u32 s18, 2
	s_waitcnt lgkmcnt(0)
	v_mul_hi_u32 v1, s5, v5
	s_delay_alu instid0(VALU_DEP_1) | instskip(NEXT) | instid1(VALU_DEP_1)
	v_add_nc_u32_e32 v1, v5, v1
	v_lshrrev_b32_e32 v6, s6, v1
	s_delay_alu instid0(VALU_DEP_1) | instskip(NEXT) | instid1(VALU_DEP_1)
	v_mul_lo_u32 v1, v6, s4
	v_sub_nc_u32_e32 v1, v5, v1
	s_delay_alu instid0(VALU_DEP_1)
	v_mul_lo_u32 v1, v1, s2
	s_cbranch_scc1 .LBB53_42
; %bb.41:
	s_clause 0x1
	s_load_b128 s[4:7], s[0:1], 0x10
	s_load_b32 s2, s[0:1], 0xc8
	s_waitcnt lgkmcnt(0)
	v_mul_hi_u32 v5, s5, v6
	s_delay_alu instid0(VALU_DEP_1) | instskip(NEXT) | instid1(VALU_DEP_1)
	v_add_nc_u32_e32 v5, v6, v5
	v_lshrrev_b32_e32 v5, s6, v5
	s_delay_alu instid0(VALU_DEP_1) | instskip(NEXT) | instid1(VALU_DEP_1)
	v_mul_lo_u32 v5, v5, s4
	v_sub_nc_u32_e32 v7, v6, v5
	s_delay_alu instid0(VALU_DEP_1) | instskip(NEXT) | instid1(VALU_DEP_1)
	v_mad_u64_u32 v[5:6], null, v7, s2, v[1:2]
	v_mov_b32_e32 v1, v5
.LBB53_42:
	v_cmp_ne_u32_e32 vcc_lo, 1, v3
	v_add_nc_u32_e32 v5, 0x100, v2
	s_cbranch_vccnz .LBB53_48
; %bb.43:
	v_mov_b32_e32 v2, 0
	s_cmp_eq_u32 s18, 0
	s_mov_b32 s6, 0
	s_cbranch_scc1 .LBB53_52
; %bb.44:
	s_min_u32 s7, s19, 15
	v_mov_b32_e32 v2, 0
	s_add_i32 s7, s7, 1
	s_cmp_eq_u32 s19, 2
	s_mov_b32 s8, 0
	s_cbranch_scc1 .LBB53_49
; %bb.45:
	v_mov_b32_e32 v2, 0
	v_mov_b32_e32 v6, v5
	s_add_u32 s2, s0, 0xc4
	s_addc_u32 s3, s1, 0
	s_and_b32 s8, s7, 28
	s_mov_b32 s9, 0
	s_mov_b64 s[4:5], s[0:1]
.LBB53_46:                              ; =>This Inner Loop Header: Depth=1
	s_clause 0x1
	s_load_b256 s[20:27], s[4:5], 0x4
	s_load_b128 s[12:15], s[4:5], 0x24
	s_load_b128 s[28:31], s[2:3], 0x0
	s_add_u32 s4, s4, 48
	s_addc_u32 s5, s5, 0
	s_add_i32 s9, s9, 4
	s_add_u32 s2, s2, 16
	s_addc_u32 s3, s3, 0
	s_cmp_lg_u32 s8, s9
	s_waitcnt lgkmcnt(0)
	v_mul_hi_u32 v7, s21, v6
	s_delay_alu instid0(VALU_DEP_1) | instskip(NEXT) | instid1(VALU_DEP_1)
	v_add_nc_u32_e32 v7, v6, v7
	v_lshrrev_b32_e32 v7, s22, v7
	s_delay_alu instid0(VALU_DEP_1) | instskip(SKIP_1) | instid1(VALU_DEP_2)
	v_mul_hi_u32 v8, s24, v7
	v_mul_lo_u32 v11, v7, s20
	v_add_nc_u32_e32 v8, v7, v8
	s_delay_alu instid0(VALU_DEP_2) | instskip(NEXT) | instid1(VALU_DEP_2)
	v_sub_nc_u32_e32 v11, v6, v11
	v_lshrrev_b32_e32 v8, s25, v8
	s_delay_alu instid0(VALU_DEP_2) | instskip(NEXT) | instid1(VALU_DEP_2)
	v_mul_lo_u32 v11, v11, s28
	v_mul_hi_u32 v9, s27, v8
	v_mul_lo_u32 v12, v8, s23
	s_delay_alu instid0(VALU_DEP_2) | instskip(NEXT) | instid1(VALU_DEP_2)
	v_add_nc_u32_e32 v9, v8, v9
	v_sub_nc_u32_e32 v7, v7, v12
	s_delay_alu instid0(VALU_DEP_2) | instskip(NEXT) | instid1(VALU_DEP_2)
	v_lshrrev_b32_e32 v9, s12, v9
	v_mul_lo_u32 v7, v7, s29
	s_delay_alu instid0(VALU_DEP_2) | instskip(NEXT) | instid1(VALU_DEP_2)
	v_mul_hi_u32 v10, s14, v9
	v_add3_u32 v2, v11, v2, v7
	s_delay_alu instid0(VALU_DEP_2) | instskip(NEXT) | instid1(VALU_DEP_1)
	v_add_nc_u32_e32 v10, v9, v10
	v_lshrrev_b32_e32 v6, s15, v10
	v_mul_lo_u32 v10, v9, s26
	s_delay_alu instid0(VALU_DEP_2) | instskip(NEXT) | instid1(VALU_DEP_2)
	v_mul_lo_u32 v13, v6, s13
	v_sub_nc_u32_e32 v8, v8, v10
	s_delay_alu instid0(VALU_DEP_2) | instskip(NEXT) | instid1(VALU_DEP_2)
	v_sub_nc_u32_e32 v9, v9, v13
	v_mul_lo_u32 v8, v8, s30
	s_delay_alu instid0(VALU_DEP_2) | instskip(NEXT) | instid1(VALU_DEP_1)
	v_mul_lo_u32 v9, v9, s31
	v_add3_u32 v2, v8, v2, v9
	s_cbranch_scc1 .LBB53_46
; %bb.47:
	s_and_b32 s7, s7, 3
	s_delay_alu instid0(SALU_CYCLE_1)
	s_cmp_eq_u32 s7, 0
	s_cbranch_scc0 .LBB53_50
	s_branch .LBB53_52
.LBB53_48:
	s_mov_b32 s6, -1
                                        ; implicit-def: $vgpr2
	s_branch .LBB53_52
.LBB53_49:
	v_mov_b32_e32 v6, v5
	s_and_b32 s7, s7, 3
	s_delay_alu instid0(SALU_CYCLE_1)
	s_cmp_eq_u32 s7, 0
	s_cbranch_scc1 .LBB53_52
.LBB53_50:
	s_lshl_b32 s2, s8, 2
	s_mul_i32 s4, s8, 12
	s_add_u32 s2, s2, s0
	s_addc_u32 s3, 0, s1
	s_add_u32 s2, s2, 0xc4
	s_addc_u32 s3, s3, 0
	;; [unrolled: 2-line block ×3, first 2 shown]
	.p2align	6
.LBB53_51:                              ; =>This Inner Loop Header: Depth=1
	s_clause 0x1
	s_load_b64 s[8:9], s[4:5], 0x4
	s_load_b32 s10, s[4:5], 0xc
	s_add_u32 s4, s4, 12
	s_addc_u32 s5, s5, 0
	s_waitcnt lgkmcnt(0)
	v_mul_hi_u32 v7, s9, v6
	s_load_b32 s9, s[2:3], 0x0
	s_add_u32 s2, s2, 4
	s_addc_u32 s3, s3, 0
	s_add_i32 s7, s7, -1
	s_delay_alu instid0(SALU_CYCLE_1) | instskip(NEXT) | instid1(VALU_DEP_1)
	s_cmp_lg_u32 s7, 0
	v_add_nc_u32_e32 v7, v6, v7
	s_delay_alu instid0(VALU_DEP_1) | instskip(NEXT) | instid1(VALU_DEP_1)
	v_lshrrev_b32_e32 v9, s10, v7
	v_mul_lo_u32 v7, v9, s8
	s_delay_alu instid0(VALU_DEP_1) | instskip(SKIP_1) | instid1(VALU_DEP_1)
	v_sub_nc_u32_e32 v6, v6, v7
	s_waitcnt lgkmcnt(0)
	v_mad_u64_u32 v[7:8], null, v6, s9, v[2:3]
	v_mov_b32_e32 v6, v9
	s_delay_alu instid0(VALU_DEP_2)
	v_mov_b32_e32 v2, v7
	s_cbranch_scc1 .LBB53_51
.LBB53_52:
	s_and_not1_b32 vcc_lo, exec_lo, s6
	s_cbranch_vccnz .LBB53_55
; %bb.53:
	s_clause 0x1
	s_load_b128 s[4:7], s[0:1], 0x4
	s_load_b32 s2, s[0:1], 0xc4
	s_cmp_lt_u32 s18, 2
	s_waitcnt lgkmcnt(0)
	v_mul_hi_u32 v2, s5, v5
	s_delay_alu instid0(VALU_DEP_1) | instskip(NEXT) | instid1(VALU_DEP_1)
	v_add_nc_u32_e32 v2, v5, v2
	v_lshrrev_b32_e32 v6, s6, v2
	s_delay_alu instid0(VALU_DEP_1) | instskip(NEXT) | instid1(VALU_DEP_1)
	v_mul_lo_u32 v2, v6, s4
	v_sub_nc_u32_e32 v2, v5, v2
	s_delay_alu instid0(VALU_DEP_1)
	v_mul_lo_u32 v2, v2, s2
	s_cbranch_scc1 .LBB53_55
; %bb.54:
	s_clause 0x1
	s_load_b128 s[4:7], s[0:1], 0x10
	s_load_b32 s2, s[0:1], 0xc8
	s_waitcnt lgkmcnt(0)
	v_mul_hi_u32 v5, s5, v6
	s_delay_alu instid0(VALU_DEP_1) | instskip(NEXT) | instid1(VALU_DEP_1)
	v_add_nc_u32_e32 v5, v6, v5
	v_lshrrev_b32_e32 v5, s6, v5
	s_delay_alu instid0(VALU_DEP_1) | instskip(NEXT) | instid1(VALU_DEP_1)
	v_mul_lo_u32 v5, v5, s4
	v_sub_nc_u32_e32 v7, v6, v5
	s_delay_alu instid0(VALU_DEP_1) | instskip(NEXT) | instid1(VALU_DEP_1)
	v_mad_u64_u32 v[5:6], null, v7, s2, v[2:3]
	v_mov_b32_e32 v2, v5
.LBB53_55:
	v_cmp_ne_u32_e32 vcc_lo, 1, v3
	s_cbranch_vccnz .LBB53_61
; %bb.56:
	v_mov_b32_e32 v3, 0
	s_cmp_eq_u32 s18, 0
	s_mov_b32 s6, 0
	s_cbranch_scc1 .LBB53_65
; %bb.57:
	s_min_u32 s7, s19, 15
	v_mov_b32_e32 v3, 0
	s_add_i32 s7, s7, 1
	s_cmp_eq_u32 s19, 2
	s_mov_b32 s8, 0
	s_cbranch_scc1 .LBB53_62
; %bb.58:
	v_mov_b32_e32 v3, 0
	v_mov_b32_e32 v5, v4
	s_add_u32 s2, s0, 0xc4
	s_addc_u32 s3, s1, 0
	s_and_b32 s8, s7, 28
	s_mov_b32 s9, 0
	s_mov_b64 s[4:5], s[0:1]
.LBB53_59:                              ; =>This Inner Loop Header: Depth=1
	s_clause 0x1
	s_load_b256 s[20:27], s[4:5], 0x4
	s_load_b128 s[12:15], s[4:5], 0x24
	s_load_b128 s[28:31], s[2:3], 0x0
	s_add_u32 s4, s4, 48
	s_addc_u32 s5, s5, 0
	s_add_i32 s9, s9, 4
	s_add_u32 s2, s2, 16
	s_addc_u32 s3, s3, 0
	s_cmp_lg_u32 s8, s9
	s_waitcnt lgkmcnt(0)
	v_mul_hi_u32 v6, s21, v5
	s_delay_alu instid0(VALU_DEP_1) | instskip(NEXT) | instid1(VALU_DEP_1)
	v_add_nc_u32_e32 v6, v5, v6
	v_lshrrev_b32_e32 v6, s22, v6
	s_delay_alu instid0(VALU_DEP_1) | instskip(SKIP_1) | instid1(VALU_DEP_2)
	v_mul_hi_u32 v7, s24, v6
	v_mul_lo_u32 v10, v6, s20
	v_add_nc_u32_e32 v7, v6, v7
	s_delay_alu instid0(VALU_DEP_2) | instskip(NEXT) | instid1(VALU_DEP_2)
	v_sub_nc_u32_e32 v10, v5, v10
	v_lshrrev_b32_e32 v7, s25, v7
	s_delay_alu instid0(VALU_DEP_2) | instskip(NEXT) | instid1(VALU_DEP_2)
	v_mul_lo_u32 v10, v10, s28
	v_mul_hi_u32 v8, s27, v7
	v_mul_lo_u32 v11, v7, s23
	s_delay_alu instid0(VALU_DEP_2) | instskip(NEXT) | instid1(VALU_DEP_2)
	v_add_nc_u32_e32 v8, v7, v8
	v_sub_nc_u32_e32 v6, v6, v11
	s_delay_alu instid0(VALU_DEP_2) | instskip(NEXT) | instid1(VALU_DEP_2)
	v_lshrrev_b32_e32 v8, s12, v8
	v_mul_lo_u32 v6, v6, s29
	s_delay_alu instid0(VALU_DEP_2) | instskip(NEXT) | instid1(VALU_DEP_2)
	v_mul_hi_u32 v9, s14, v8
	v_add3_u32 v3, v10, v3, v6
	s_delay_alu instid0(VALU_DEP_2) | instskip(NEXT) | instid1(VALU_DEP_1)
	v_add_nc_u32_e32 v9, v8, v9
	v_lshrrev_b32_e32 v5, s15, v9
	v_mul_lo_u32 v9, v8, s26
	s_delay_alu instid0(VALU_DEP_2) | instskip(NEXT) | instid1(VALU_DEP_2)
	v_mul_lo_u32 v12, v5, s13
	v_sub_nc_u32_e32 v7, v7, v9
	s_delay_alu instid0(VALU_DEP_2) | instskip(NEXT) | instid1(VALU_DEP_2)
	v_sub_nc_u32_e32 v8, v8, v12
	v_mul_lo_u32 v7, v7, s30
	s_delay_alu instid0(VALU_DEP_2) | instskip(NEXT) | instid1(VALU_DEP_1)
	v_mul_lo_u32 v8, v8, s31
	v_add3_u32 v3, v7, v3, v8
	s_cbranch_scc1 .LBB53_59
; %bb.60:
	s_and_b32 s7, s7, 3
	s_delay_alu instid0(SALU_CYCLE_1)
	s_cmp_eq_u32 s7, 0
	s_cbranch_scc0 .LBB53_63
	s_branch .LBB53_65
.LBB53_61:
	s_mov_b32 s6, -1
                                        ; implicit-def: $vgpr3
	s_branch .LBB53_65
.LBB53_62:
	v_mov_b32_e32 v5, v4
	s_and_b32 s7, s7, 3
	s_delay_alu instid0(SALU_CYCLE_1)
	s_cmp_eq_u32 s7, 0
	s_cbranch_scc1 .LBB53_65
.LBB53_63:
	s_lshl_b32 s2, s8, 2
	s_mul_i32 s4, s8, 12
	s_add_u32 s2, s2, s0
	s_addc_u32 s3, 0, s1
	s_add_u32 s2, s2, 0xc4
	s_addc_u32 s3, s3, 0
	;; [unrolled: 2-line block ×3, first 2 shown]
	.p2align	6
.LBB53_64:                              ; =>This Inner Loop Header: Depth=1
	s_clause 0x1
	s_load_b64 s[8:9], s[4:5], 0x4
	s_load_b32 s10, s[4:5], 0xc
	s_add_u32 s4, s4, 12
	s_addc_u32 s5, s5, 0
	s_waitcnt lgkmcnt(0)
	v_mul_hi_u32 v6, s9, v5
	s_load_b32 s9, s[2:3], 0x0
	s_add_u32 s2, s2, 4
	s_addc_u32 s3, s3, 0
	s_add_i32 s7, s7, -1
	s_delay_alu instid0(SALU_CYCLE_1) | instskip(NEXT) | instid1(VALU_DEP_1)
	s_cmp_lg_u32 s7, 0
	v_add_nc_u32_e32 v6, v5, v6
	s_delay_alu instid0(VALU_DEP_1) | instskip(NEXT) | instid1(VALU_DEP_1)
	v_lshrrev_b32_e32 v8, s10, v6
	v_mul_lo_u32 v6, v8, s8
	s_delay_alu instid0(VALU_DEP_1) | instskip(SKIP_1) | instid1(VALU_DEP_1)
	v_sub_nc_u32_e32 v5, v5, v6
	s_waitcnt lgkmcnt(0)
	v_mad_u64_u32 v[6:7], null, v5, s9, v[3:4]
	v_mov_b32_e32 v5, v8
	s_delay_alu instid0(VALU_DEP_2)
	v_mov_b32_e32 v3, v6
	s_cbranch_scc1 .LBB53_64
.LBB53_65:
	s_and_not1_b32 vcc_lo, exec_lo, s6
	s_cbranch_vccnz .LBB53_68
; %bb.66:
	s_clause 0x1
	s_load_b128 s[4:7], s[0:1], 0x4
	s_load_b32 s2, s[0:1], 0xc4
	s_cmp_lt_u32 s18, 2
	s_waitcnt lgkmcnt(0)
	v_mul_hi_u32 v3, s5, v4
	s_delay_alu instid0(VALU_DEP_1) | instskip(NEXT) | instid1(VALU_DEP_1)
	v_add_nc_u32_e32 v3, v4, v3
	v_lshrrev_b32_e32 v5, s6, v3
	s_delay_alu instid0(VALU_DEP_1) | instskip(NEXT) | instid1(VALU_DEP_1)
	v_mul_lo_u32 v3, v5, s4
	v_sub_nc_u32_e32 v3, v4, v3
	s_delay_alu instid0(VALU_DEP_1)
	v_mul_lo_u32 v3, v3, s2
	s_cbranch_scc1 .LBB53_68
; %bb.67:
	s_clause 0x1
	s_load_b128 s[4:7], s[0:1], 0x10
	s_load_b32 s2, s[0:1], 0xc8
	s_waitcnt lgkmcnt(0)
	v_mul_hi_u32 v4, s5, v5
	s_delay_alu instid0(VALU_DEP_1) | instskip(NEXT) | instid1(VALU_DEP_1)
	v_add_nc_u32_e32 v4, v5, v4
	v_lshrrev_b32_e32 v4, s6, v4
	s_delay_alu instid0(VALU_DEP_1) | instskip(NEXT) | instid1(VALU_DEP_1)
	v_mul_lo_u32 v4, v4, s4
	v_sub_nc_u32_e32 v6, v5, v4
	s_delay_alu instid0(VALU_DEP_1) | instskip(NEXT) | instid1(VALU_DEP_1)
	v_mad_u64_u32 v[4:5], null, v6, s2, v[3:4]
	v_mov_b32_e32 v3, v4
.LBB53_68:
	s_clause 0x1
	s_load_b32 s2, s[0:1], 0x110
	s_load_b64 s[0:1], s[0:1], 0x108
	s_waitcnt lgkmcnt(0)
	v_mov_b32_e32 v4, s2
	s_clause 0x3
	global_store_b32 v0, v4, s[0:1]
	global_store_b32 v1, v4, s[0:1]
	;; [unrolled: 1-line block ×4, first 2 shown]
	s_nop 0
	s_sendmsg sendmsg(MSG_DEALLOC_VGPRS)
	s_endpgm
.LBB53_69:
	v_mov_b32_e32 v1, v2
.LBB53_70:
	s_and_b32 s29, s29, 3
	s_delay_alu instid0(SALU_CYCLE_1)
	s_cmp_eq_u32 s29, 0
	s_cbranch_scc1 .LBB53_73
; %bb.71:
	s_lshl_b32 s14, s28, 2
	s_mul_i32 s16, s28, 12
	s_add_u32 s14, s14, s0
	s_addc_u32 s15, s1, 0
	s_add_u32 s14, s14, 0xc4
	s_addc_u32 s15, s15, 0
	s_add_u32 s16, s0, s16
	s_addc_u32 s17, s1, 0
	.p2align	6
.LBB53_72:                              ; =>This Inner Loop Header: Depth=1
	s_clause 0x1
	s_load_b64 s[30:31], s[16:17], 0x4
	s_load_b32 s28, s[16:17], 0xc
	s_add_u32 s16, s16, 12
	s_addc_u32 s17, s17, 0
	s_waitcnt lgkmcnt(0)
	v_mul_hi_u32 v3, s31, v1
	s_load_b32 s31, s[14:15], 0x0
	s_add_u32 s14, s14, 4
	s_addc_u32 s15, s15, 0
	s_add_i32 s29, s29, -1
	s_delay_alu instid0(SALU_CYCLE_1) | instskip(NEXT) | instid1(VALU_DEP_1)
	s_cmp_lg_u32 s29, 0
	v_add_nc_u32_e32 v3, v1, v3
	s_delay_alu instid0(VALU_DEP_1) | instskip(NEXT) | instid1(VALU_DEP_1)
	v_lshrrev_b32_e32 v5, s28, v3
	v_mul_lo_u32 v3, v5, s30
	s_delay_alu instid0(VALU_DEP_1) | instskip(SKIP_1) | instid1(VALU_DEP_1)
	v_sub_nc_u32_e32 v1, v1, v3
	s_waitcnt lgkmcnt(0)
	v_mad_u64_u32 v[3:4], null, v1, s31, v[0:1]
	s_delay_alu instid0(VALU_DEP_1)
	v_dual_mov_b32 v1, v5 :: v_dual_mov_b32 v0, v3
	s_cbranch_scc1 .LBB53_72
.LBB53_73:
	s_cbranch_execnz .LBB53_76
.LBB53_74:
	s_waitcnt lgkmcnt(0)
	v_mul_hi_u32 v0, s5, v2
	s_and_not1_b32 vcc_lo, exec_lo, s23
	s_delay_alu instid0(VALU_DEP_1) | instskip(NEXT) | instid1(VALU_DEP_1)
	v_add_nc_u32_e32 v0, v2, v0
	v_lshrrev_b32_e32 v1, s6, v0
	s_delay_alu instid0(VALU_DEP_1) | instskip(NEXT) | instid1(VALU_DEP_1)
	v_mul_lo_u32 v0, v1, s4
	v_sub_nc_u32_e32 v0, v2, v0
	s_delay_alu instid0(VALU_DEP_1)
	v_mul_lo_u32 v0, v0, s8
	s_cbranch_vccnz .LBB53_76
; %bb.75:
	v_mul_hi_u32 v3, s10, v1
	s_delay_alu instid0(VALU_DEP_1) | instskip(NEXT) | instid1(VALU_DEP_1)
	v_add_nc_u32_e32 v3, v1, v3
	v_lshrrev_b32_e32 v3, s11, v3
	s_delay_alu instid0(VALU_DEP_1) | instskip(NEXT) | instid1(VALU_DEP_1)
	v_mul_lo_u32 v3, v3, s7
	v_sub_nc_u32_e32 v1, v1, v3
	s_delay_alu instid0(VALU_DEP_1) | instskip(NEXT) | instid1(VALU_DEP_1)
	v_mad_u64_u32 v[3:4], null, v1, s9, v[0:1]
	v_mov_b32_e32 v0, v3
.LBB53_76:
	s_waitcnt lgkmcnt(0)
	v_dual_mov_b32 v1, s22 :: v_dual_add_nc_u32 v2, 0x80, v2
	global_store_b32 v0, v1, s[2:3]
	s_or_b32 exec_lo, exec_lo, s27
	s_delay_alu instid0(SALU_CYCLE_1)
	s_mov_b32 s27, exec_lo
	v_cmpx_gt_i32_e64 s24, v2
	s_cbranch_execnz .LBB53_15
.LBB53_77:
	s_or_b32 exec_lo, exec_lo, s27
	s_delay_alu instid0(SALU_CYCLE_1)
	s_mov_b32 s27, exec_lo
	v_cmpx_gt_i32_e64 s24, v2
	s_cbranch_execz .LBB53_92
.LBB53_78:
	s_and_not1_b32 vcc_lo, exec_lo, s20
	s_cbranch_vccnz .LBB53_83
; %bb.79:
	v_mov_b32_e32 v0, 0
	s_and_not1_b32 vcc_lo, exec_lo, s26
	s_cbranch_vccnz .LBB53_99
; %bb.80:
	s_add_i32 s29, s25, 1
	s_cmp_eq_u32 s19, 2
	s_mov_b32 s28, 0
	s_cbranch_scc1 .LBB53_95
; %bb.81:
	v_dual_mov_b32 v0, 0 :: v_dual_mov_b32 v1, v2
	s_and_b32 s28, s29, 28
	s_mov_b32 s30, 0
	s_mov_b64 s[14:15], s[0:1]
	s_mov_b64 s[16:17], s[12:13]
.LBB53_82:                              ; =>This Inner Loop Header: Depth=1
	s_clause 0x1
	s_load_b256 s[36:43], s[14:15], 0x4
	s_load_b128 s[44:47], s[14:15], 0x24
	s_load_b128 s[48:51], s[16:17], 0x0
	s_add_u32 s14, s14, 48
	s_addc_u32 s15, s15, 0
	s_add_i32 s30, s30, 4
	s_add_u32 s16, s16, 16
	s_addc_u32 s17, s17, 0
	s_cmp_eq_u32 s28, s30
	s_waitcnt lgkmcnt(0)
	v_mul_hi_u32 v3, s37, v1
	s_delay_alu instid0(VALU_DEP_1) | instskip(NEXT) | instid1(VALU_DEP_1)
	v_add_nc_u32_e32 v3, v1, v3
	v_lshrrev_b32_e32 v3, s38, v3
	s_delay_alu instid0(VALU_DEP_1) | instskip(SKIP_1) | instid1(VALU_DEP_2)
	v_mul_hi_u32 v4, s40, v3
	v_mul_lo_u32 v7, v3, s36
	v_add_nc_u32_e32 v4, v3, v4
	s_delay_alu instid0(VALU_DEP_2) | instskip(NEXT) | instid1(VALU_DEP_2)
	v_sub_nc_u32_e32 v7, v1, v7
	v_lshrrev_b32_e32 v4, s41, v4
	s_delay_alu instid0(VALU_DEP_2) | instskip(NEXT) | instid1(VALU_DEP_2)
	v_mul_lo_u32 v7, v7, s48
	v_mul_hi_u32 v5, s43, v4
	v_mul_lo_u32 v8, v4, s39
	s_delay_alu instid0(VALU_DEP_2) | instskip(NEXT) | instid1(VALU_DEP_2)
	v_add_nc_u32_e32 v5, v4, v5
	v_sub_nc_u32_e32 v3, v3, v8
	s_delay_alu instid0(VALU_DEP_2) | instskip(NEXT) | instid1(VALU_DEP_2)
	v_lshrrev_b32_e32 v5, s44, v5
	v_mul_lo_u32 v3, v3, s49
	s_delay_alu instid0(VALU_DEP_2) | instskip(NEXT) | instid1(VALU_DEP_2)
	v_mul_hi_u32 v6, s46, v5
	v_add3_u32 v0, v7, v0, v3
	s_delay_alu instid0(VALU_DEP_2) | instskip(NEXT) | instid1(VALU_DEP_1)
	v_add_nc_u32_e32 v6, v5, v6
	v_lshrrev_b32_e32 v1, s47, v6
	v_mul_lo_u32 v6, v5, s42
	s_delay_alu instid0(VALU_DEP_2) | instskip(NEXT) | instid1(VALU_DEP_2)
	v_mul_lo_u32 v9, v1, s45
	v_sub_nc_u32_e32 v4, v4, v6
	s_delay_alu instid0(VALU_DEP_2) | instskip(NEXT) | instid1(VALU_DEP_2)
	v_sub_nc_u32_e32 v5, v5, v9
	v_mul_lo_u32 v4, v4, s50
	s_delay_alu instid0(VALU_DEP_2) | instskip(NEXT) | instid1(VALU_DEP_1)
	v_mul_lo_u32 v5, v5, s51
	v_add3_u32 v0, v4, v0, v5
	s_cbranch_scc0 .LBB53_82
	s_branch .LBB53_96
.LBB53_83:
                                        ; implicit-def: $vgpr0
	s_branch .LBB53_100
.LBB53_84:
	v_mov_b32_e32 v1, v2
.LBB53_85:
	s_and_b32 s29, s29, 3
	s_delay_alu instid0(SALU_CYCLE_1)
	s_cmp_eq_u32 s29, 0
	s_cbranch_scc1 .LBB53_88
; %bb.86:
	s_lshl_b32 s14, s28, 2
	s_mul_i32 s16, s28, 12
	s_add_u32 s14, s14, s0
	s_addc_u32 s15, s1, 0
	s_add_u32 s14, s14, 0xc4
	s_addc_u32 s15, s15, 0
	;; [unrolled: 2-line block ×3, first 2 shown]
	.p2align	6
.LBB53_87:                              ; =>This Inner Loop Header: Depth=1
	s_clause 0x1
	s_load_b64 s[30:31], s[16:17], 0x4
	s_load_b32 s28, s[16:17], 0xc
	s_add_u32 s16, s16, 12
	s_addc_u32 s17, s17, 0
	s_waitcnt lgkmcnt(0)
	v_mul_hi_u32 v3, s31, v1
	s_load_b32 s31, s[14:15], 0x0
	s_add_u32 s14, s14, 4
	s_addc_u32 s15, s15, 0
	s_add_i32 s29, s29, -1
	s_delay_alu instid0(SALU_CYCLE_1) | instskip(NEXT) | instid1(VALU_DEP_1)
	s_cmp_lg_u32 s29, 0
	v_add_nc_u32_e32 v3, v1, v3
	s_delay_alu instid0(VALU_DEP_1) | instskip(NEXT) | instid1(VALU_DEP_1)
	v_lshrrev_b32_e32 v5, s28, v3
	v_mul_lo_u32 v3, v5, s30
	s_delay_alu instid0(VALU_DEP_1) | instskip(SKIP_1) | instid1(VALU_DEP_1)
	v_sub_nc_u32_e32 v1, v1, v3
	s_waitcnt lgkmcnt(0)
	v_mad_u64_u32 v[3:4], null, v1, s31, v[0:1]
	s_delay_alu instid0(VALU_DEP_1)
	v_dual_mov_b32 v1, v5 :: v_dual_mov_b32 v0, v3
	s_cbranch_scc1 .LBB53_87
.LBB53_88:
	s_cbranch_execnz .LBB53_91
.LBB53_89:
	s_waitcnt lgkmcnt(0)
	v_mul_hi_u32 v0, s5, v2
	s_and_not1_b32 vcc_lo, exec_lo, s23
	s_delay_alu instid0(VALU_DEP_1) | instskip(NEXT) | instid1(VALU_DEP_1)
	v_add_nc_u32_e32 v0, v2, v0
	v_lshrrev_b32_e32 v1, s6, v0
	s_delay_alu instid0(VALU_DEP_1) | instskip(NEXT) | instid1(VALU_DEP_1)
	v_mul_lo_u32 v0, v1, s4
	v_sub_nc_u32_e32 v0, v2, v0
	s_delay_alu instid0(VALU_DEP_1)
	v_mul_lo_u32 v0, v0, s8
	s_cbranch_vccnz .LBB53_91
; %bb.90:
	v_mul_hi_u32 v3, s10, v1
	s_delay_alu instid0(VALU_DEP_1) | instskip(NEXT) | instid1(VALU_DEP_1)
	v_add_nc_u32_e32 v3, v1, v3
	v_lshrrev_b32_e32 v3, s11, v3
	s_delay_alu instid0(VALU_DEP_1) | instskip(NEXT) | instid1(VALU_DEP_1)
	v_mul_lo_u32 v3, v3, s7
	v_sub_nc_u32_e32 v1, v1, v3
	s_delay_alu instid0(VALU_DEP_1) | instskip(NEXT) | instid1(VALU_DEP_1)
	v_mad_u64_u32 v[3:4], null, v1, s9, v[0:1]
	v_mov_b32_e32 v0, v3
.LBB53_91:
	s_waitcnt lgkmcnt(0)
	v_dual_mov_b32 v1, s22 :: v_dual_add_nc_u32 v2, 0x80, v2
	global_store_b32 v0, v1, s[2:3]
	s_or_b32 exec_lo, exec_lo, s27
	s_delay_alu instid0(SALU_CYCLE_1)
	s_mov_b32 s27, exec_lo
	v_cmpx_gt_i32_e64 s24, v2
	s_cbranch_execnz .LBB53_78
.LBB53_92:
	s_or_b32 exec_lo, exec_lo, s27
	s_delay_alu instid0(SALU_CYCLE_1)
	s_mov_b32 s16, exec_lo
	v_cmpx_gt_i32_e64 s24, v2
	s_cbranch_execnz .LBB53_103
.LBB53_93:
	s_or_b32 exec_lo, exec_lo, s16
                                        ; implicit-def: $vgpr4
                                        ; implicit-def: $vgpr2
	s_waitcnt lgkmcnt(0)
	s_and_not1_saveexec_b32 s2, s21
	s_cbranch_execnz .LBB53_8
.LBB53_94:
	s_nop 0
	s_sendmsg sendmsg(MSG_DEALLOC_VGPRS)
	s_endpgm
.LBB53_95:
	v_mov_b32_e32 v1, v2
.LBB53_96:
	s_and_b32 s29, s29, 3
	s_delay_alu instid0(SALU_CYCLE_1)
	s_cmp_eq_u32 s29, 0
	s_cbranch_scc1 .LBB53_99
; %bb.97:
	s_lshl_b32 s14, s28, 2
	s_mul_i32 s16, s28, 12
	s_add_u32 s14, s14, s0
	s_addc_u32 s15, s1, 0
	s_add_u32 s14, s14, 0xc4
	s_addc_u32 s15, s15, 0
	;; [unrolled: 2-line block ×3, first 2 shown]
	.p2align	6
.LBB53_98:                              ; =>This Inner Loop Header: Depth=1
	s_clause 0x1
	s_load_b64 s[30:31], s[16:17], 0x4
	s_load_b32 s28, s[16:17], 0xc
	s_add_u32 s16, s16, 12
	s_addc_u32 s17, s17, 0
	s_waitcnt lgkmcnt(0)
	v_mul_hi_u32 v3, s31, v1
	s_load_b32 s31, s[14:15], 0x0
	s_add_u32 s14, s14, 4
	s_addc_u32 s15, s15, 0
	s_add_i32 s29, s29, -1
	s_delay_alu instid0(SALU_CYCLE_1) | instskip(NEXT) | instid1(VALU_DEP_1)
	s_cmp_lg_u32 s29, 0
	v_add_nc_u32_e32 v3, v1, v3
	s_delay_alu instid0(VALU_DEP_1) | instskip(NEXT) | instid1(VALU_DEP_1)
	v_lshrrev_b32_e32 v5, s28, v3
	v_mul_lo_u32 v3, v5, s30
	s_delay_alu instid0(VALU_DEP_1) | instskip(SKIP_1) | instid1(VALU_DEP_1)
	v_sub_nc_u32_e32 v1, v1, v3
	s_waitcnt lgkmcnt(0)
	v_mad_u64_u32 v[3:4], null, v1, s31, v[0:1]
	s_delay_alu instid0(VALU_DEP_1)
	v_dual_mov_b32 v1, v5 :: v_dual_mov_b32 v0, v3
	s_cbranch_scc1 .LBB53_98
.LBB53_99:
	s_cbranch_execnz .LBB53_102
.LBB53_100:
	s_waitcnt lgkmcnt(0)
	v_mul_hi_u32 v0, s5, v2
	s_and_not1_b32 vcc_lo, exec_lo, s23
	s_delay_alu instid0(VALU_DEP_1) | instskip(NEXT) | instid1(VALU_DEP_1)
	v_add_nc_u32_e32 v0, v2, v0
	v_lshrrev_b32_e32 v1, s6, v0
	s_delay_alu instid0(VALU_DEP_1) | instskip(NEXT) | instid1(VALU_DEP_1)
	v_mul_lo_u32 v0, v1, s4
	v_sub_nc_u32_e32 v0, v2, v0
	s_delay_alu instid0(VALU_DEP_1)
	v_mul_lo_u32 v0, v0, s8
	s_cbranch_vccnz .LBB53_102
; %bb.101:
	v_mul_hi_u32 v3, s10, v1
	s_delay_alu instid0(VALU_DEP_1) | instskip(NEXT) | instid1(VALU_DEP_1)
	v_add_nc_u32_e32 v3, v1, v3
	v_lshrrev_b32_e32 v3, s11, v3
	s_delay_alu instid0(VALU_DEP_1) | instskip(NEXT) | instid1(VALU_DEP_1)
	v_mul_lo_u32 v3, v3, s7
	v_sub_nc_u32_e32 v1, v1, v3
	s_delay_alu instid0(VALU_DEP_1) | instskip(NEXT) | instid1(VALU_DEP_1)
	v_mad_u64_u32 v[3:4], null, v1, s9, v[0:1]
	v_mov_b32_e32 v0, v3
.LBB53_102:
	s_waitcnt lgkmcnt(0)
	v_dual_mov_b32 v1, s22 :: v_dual_add_nc_u32 v2, 0x80, v2
	global_store_b32 v0, v1, s[2:3]
	s_or_b32 exec_lo, exec_lo, s27
	s_delay_alu instid0(SALU_CYCLE_1)
	s_mov_b32 s16, exec_lo
	v_cmpx_gt_i32_e64 s24, v2
	s_cbranch_execz .LBB53_93
.LBB53_103:
	s_and_not1_b32 vcc_lo, exec_lo, s20
	s_cbranch_vccnz .LBB53_108
; %bb.104:
	v_mov_b32_e32 v0, 0
	s_and_not1_b32 vcc_lo, exec_lo, s26
	s_cbranch_vccnz .LBB53_113
; %bb.105:
	s_add_i32 s25, s25, 1
	s_cmp_eq_u32 s19, 2
	s_mov_b32 s17, 0
	s_cbranch_scc1 .LBB53_109
; %bb.106:
	v_dual_mov_b32 v0, 0 :: v_dual_mov_b32 v1, v2
	s_and_b32 s17, s25, 28
	s_mov_b32 s24, 0
	s_mov_b64 s[14:15], s[0:1]
.LBB53_107:                             ; =>This Inner Loop Header: Depth=1
	s_clause 0x1
	s_load_b256 s[36:43], s[14:15], 0x4
	s_load_b128 s[28:31], s[14:15], 0x24
	s_load_b128 s[44:47], s[12:13], 0x0
	s_add_u32 s14, s14, 48
	s_addc_u32 s15, s15, 0
	s_add_i32 s24, s24, 4
	s_add_u32 s12, s12, 16
	s_addc_u32 s13, s13, 0
	s_cmp_eq_u32 s17, s24
	s_waitcnt lgkmcnt(0)
	v_mul_hi_u32 v3, s37, v1
	s_delay_alu instid0(VALU_DEP_1) | instskip(NEXT) | instid1(VALU_DEP_1)
	v_add_nc_u32_e32 v3, v1, v3
	v_lshrrev_b32_e32 v3, s38, v3
	s_delay_alu instid0(VALU_DEP_1) | instskip(SKIP_1) | instid1(VALU_DEP_2)
	v_mul_hi_u32 v4, s40, v3
	v_mul_lo_u32 v7, v3, s36
	v_add_nc_u32_e32 v4, v3, v4
	s_delay_alu instid0(VALU_DEP_2) | instskip(NEXT) | instid1(VALU_DEP_2)
	v_sub_nc_u32_e32 v7, v1, v7
	v_lshrrev_b32_e32 v4, s41, v4
	s_delay_alu instid0(VALU_DEP_2) | instskip(NEXT) | instid1(VALU_DEP_2)
	v_mul_lo_u32 v7, v7, s44
	v_mul_hi_u32 v5, s43, v4
	v_mul_lo_u32 v8, v4, s39
	s_delay_alu instid0(VALU_DEP_2) | instskip(NEXT) | instid1(VALU_DEP_2)
	v_add_nc_u32_e32 v5, v4, v5
	v_sub_nc_u32_e32 v3, v3, v8
	s_delay_alu instid0(VALU_DEP_2) | instskip(NEXT) | instid1(VALU_DEP_2)
	v_lshrrev_b32_e32 v5, s28, v5
	v_mul_lo_u32 v3, v3, s45
	s_delay_alu instid0(VALU_DEP_2) | instskip(NEXT) | instid1(VALU_DEP_2)
	v_mul_hi_u32 v6, s30, v5
	v_add3_u32 v0, v7, v0, v3
	s_delay_alu instid0(VALU_DEP_2) | instskip(NEXT) | instid1(VALU_DEP_1)
	v_add_nc_u32_e32 v6, v5, v6
	v_lshrrev_b32_e32 v1, s31, v6
	v_mul_lo_u32 v6, v5, s42
	s_delay_alu instid0(VALU_DEP_2) | instskip(NEXT) | instid1(VALU_DEP_2)
	v_mul_lo_u32 v9, v1, s29
	v_sub_nc_u32_e32 v4, v4, v6
	s_delay_alu instid0(VALU_DEP_2) | instskip(NEXT) | instid1(VALU_DEP_2)
	v_sub_nc_u32_e32 v5, v5, v9
	v_mul_lo_u32 v4, v4, s46
	s_delay_alu instid0(VALU_DEP_2) | instskip(NEXT) | instid1(VALU_DEP_1)
	v_mul_lo_u32 v5, v5, s47
	v_add3_u32 v0, v4, v0, v5
	s_cbranch_scc0 .LBB53_107
	s_branch .LBB53_110
.LBB53_108:
                                        ; implicit-def: $vgpr0
	s_branch .LBB53_114
.LBB53_109:
	v_mov_b32_e32 v1, v2
.LBB53_110:
	s_and_b32 s24, s25, 3
	s_delay_alu instid0(SALU_CYCLE_1)
	s_cmp_eq_u32 s24, 0
	s_cbranch_scc1 .LBB53_113
; %bb.111:
	s_lshl_b32 s12, s17, 2
	s_mul_i32 s14, s17, 12
	s_add_u32 s12, s12, s0
	s_addc_u32 s13, s1, 0
	s_add_u32 s12, s12, 0xc4
	s_addc_u32 s13, s13, 0
	;; [unrolled: 2-line block ×3, first 2 shown]
	.p2align	6
.LBB53_112:                             ; =>This Inner Loop Header: Depth=1
	s_clause 0x1
	s_load_b64 s[26:27], s[14:15], 0x4
	s_load_b32 s17, s[14:15], 0xc
	s_load_b32 s25, s[12:13], 0x0
	s_add_u32 s14, s14, 12
	s_addc_u32 s15, s15, 0
	s_add_u32 s12, s12, 4
	s_addc_u32 s13, s13, 0
	s_add_i32 s24, s24, -1
	s_delay_alu instid0(SALU_CYCLE_1) | instskip(SKIP_2) | instid1(VALU_DEP_1)
	s_cmp_lg_u32 s24, 0
	s_waitcnt lgkmcnt(0)
	v_mul_hi_u32 v3, s27, v1
	v_add_nc_u32_e32 v3, v1, v3
	s_delay_alu instid0(VALU_DEP_1) | instskip(NEXT) | instid1(VALU_DEP_1)
	v_lshrrev_b32_e32 v5, s17, v3
	v_mul_lo_u32 v3, v5, s26
	s_delay_alu instid0(VALU_DEP_1) | instskip(NEXT) | instid1(VALU_DEP_1)
	v_sub_nc_u32_e32 v1, v1, v3
	v_mad_u64_u32 v[3:4], null, v1, s25, v[0:1]
	s_delay_alu instid0(VALU_DEP_1)
	v_dual_mov_b32 v1, v5 :: v_dual_mov_b32 v0, v3
	s_cbranch_scc1 .LBB53_112
.LBB53_113:
	s_cbranch_execnz .LBB53_116
.LBB53_114:
	s_waitcnt lgkmcnt(0)
	v_mul_hi_u32 v0, s5, v2
	s_and_not1_b32 vcc_lo, exec_lo, s23
	s_delay_alu instid0(VALU_DEP_1) | instskip(NEXT) | instid1(VALU_DEP_1)
	v_add_nc_u32_e32 v0, v2, v0
	v_lshrrev_b32_e32 v1, s6, v0
	s_delay_alu instid0(VALU_DEP_1) | instskip(NEXT) | instid1(VALU_DEP_1)
	v_mul_lo_u32 v0, v1, s4
	v_sub_nc_u32_e32 v0, v2, v0
	s_delay_alu instid0(VALU_DEP_1)
	v_mul_lo_u32 v0, v0, s8
	s_cbranch_vccnz .LBB53_116
; %bb.115:
	v_mul_hi_u32 v2, s10, v1
	s_delay_alu instid0(VALU_DEP_1) | instskip(NEXT) | instid1(VALU_DEP_1)
	v_add_nc_u32_e32 v2, v1, v2
	v_lshrrev_b32_e32 v2, s11, v2
	s_delay_alu instid0(VALU_DEP_1) | instskip(NEXT) | instid1(VALU_DEP_1)
	v_mul_lo_u32 v2, v2, s7
	v_sub_nc_u32_e32 v3, v1, v2
	s_delay_alu instid0(VALU_DEP_1) | instskip(NEXT) | instid1(VALU_DEP_1)
	v_mad_u64_u32 v[1:2], null, v3, s9, v[0:1]
	v_mov_b32_e32 v0, v1
.LBB53_116:
	s_waitcnt lgkmcnt(0)
	v_mov_b32_e32 v1, s22
	global_store_b32 v0, v1, s[2:3]
	s_or_b32 exec_lo, exec_lo, s16
                                        ; implicit-def: $vgpr4
                                        ; implicit-def: $vgpr2
	s_and_not1_saveexec_b32 s2, s21
	s_cbranch_execz .LBB53_94
	s_branch .LBB53_8
	.section	.rodata,"a",@progbits
	.p2align	6, 0x0
	.amdhsa_kernel _ZN2at6native32elementwise_kernel_manual_unrollILi128ELi4EZNS0_22gpu_kernel_impl_nocastINS0_11FillFunctorIfEEEEvRNS_18TensorIteratorBaseERKT_EUlibE_EEviT1_
		.amdhsa_group_segment_fixed_size 0
		.amdhsa_private_segment_fixed_size 0
		.amdhsa_kernarg_size 288
		.amdhsa_user_sgpr_count 15
		.amdhsa_user_sgpr_dispatch_ptr 0
		.amdhsa_user_sgpr_queue_ptr 0
		.amdhsa_user_sgpr_kernarg_segment_ptr 1
		.amdhsa_user_sgpr_dispatch_id 0
		.amdhsa_user_sgpr_private_segment_size 0
		.amdhsa_wavefront_size32 1
		.amdhsa_uses_dynamic_stack 0
		.amdhsa_enable_private_segment 0
		.amdhsa_system_sgpr_workgroup_id_x 1
		.amdhsa_system_sgpr_workgroup_id_y 0
		.amdhsa_system_sgpr_workgroup_id_z 0
		.amdhsa_system_sgpr_workgroup_info 0
		.amdhsa_system_vgpr_workitem_id 0
		.amdhsa_next_free_vgpr 14
		.amdhsa_next_free_sgpr 52
		.amdhsa_reserve_vcc 1
		.amdhsa_float_round_mode_32 0
		.amdhsa_float_round_mode_16_64 0
		.amdhsa_float_denorm_mode_32 3
		.amdhsa_float_denorm_mode_16_64 3
		.amdhsa_dx10_clamp 1
		.amdhsa_ieee_mode 1
		.amdhsa_fp16_overflow 0
		.amdhsa_workgroup_processor_mode 1
		.amdhsa_memory_ordered 1
		.amdhsa_forward_progress 0
		.amdhsa_shared_vgpr_count 0
		.amdhsa_exception_fp_ieee_invalid_op 0
		.amdhsa_exception_fp_denorm_src 0
		.amdhsa_exception_fp_ieee_div_zero 0
		.amdhsa_exception_fp_ieee_overflow 0
		.amdhsa_exception_fp_ieee_underflow 0
		.amdhsa_exception_fp_ieee_inexact 0
		.amdhsa_exception_int_div_zero 0
	.end_amdhsa_kernel
	.section	.text._ZN2at6native32elementwise_kernel_manual_unrollILi128ELi4EZNS0_22gpu_kernel_impl_nocastINS0_11FillFunctorIfEEEEvRNS_18TensorIteratorBaseERKT_EUlibE_EEviT1_,"axG",@progbits,_ZN2at6native32elementwise_kernel_manual_unrollILi128ELi4EZNS0_22gpu_kernel_impl_nocastINS0_11FillFunctorIfEEEEvRNS_18TensorIteratorBaseERKT_EUlibE_EEviT1_,comdat
.Lfunc_end53:
	.size	_ZN2at6native32elementwise_kernel_manual_unrollILi128ELi4EZNS0_22gpu_kernel_impl_nocastINS0_11FillFunctorIfEEEEvRNS_18TensorIteratorBaseERKT_EUlibE_EEviT1_, .Lfunc_end53-_ZN2at6native32elementwise_kernel_manual_unrollILi128ELi4EZNS0_22gpu_kernel_impl_nocastINS0_11FillFunctorIfEEEEvRNS_18TensorIteratorBaseERKT_EUlibE_EEviT1_
                                        ; -- End function
	.section	.AMDGPU.csdata,"",@progbits
; Kernel info:
; codeLenInByte = 5924
; NumSgprs: 54
; NumVgprs: 14
; ScratchSize: 0
; MemoryBound: 0
; FloatMode: 240
; IeeeMode: 1
; LDSByteSize: 0 bytes/workgroup (compile time only)
; SGPRBlocks: 6
; VGPRBlocks: 1
; NumSGPRsForWavesPerEU: 54
; NumVGPRsForWavesPerEU: 14
; Occupancy: 16
; WaveLimiterHint : 1
; COMPUTE_PGM_RSRC2:SCRATCH_EN: 0
; COMPUTE_PGM_RSRC2:USER_SGPR: 15
; COMPUTE_PGM_RSRC2:TRAP_HANDLER: 0
; COMPUTE_PGM_RSRC2:TGID_X_EN: 1
; COMPUTE_PGM_RSRC2:TGID_Y_EN: 0
; COMPUTE_PGM_RSRC2:TGID_Z_EN: 0
; COMPUTE_PGM_RSRC2:TIDIG_COMP_CNT: 0
	.section	.text._ZN2at6native32elementwise_kernel_manual_unrollILi128ELi4EZNS0_15gpu_kernel_implINS0_11FillFunctorIfEEEEvRNS_18TensorIteratorBaseERKT_EUlibE_EEviT1_,"axG",@progbits,_ZN2at6native32elementwise_kernel_manual_unrollILi128ELi4EZNS0_15gpu_kernel_implINS0_11FillFunctorIfEEEEvRNS_18TensorIteratorBaseERKT_EUlibE_EEviT1_,comdat
	.protected	_ZN2at6native32elementwise_kernel_manual_unrollILi128ELi4EZNS0_15gpu_kernel_implINS0_11FillFunctorIfEEEEvRNS_18TensorIteratorBaseERKT_EUlibE_EEviT1_ ; -- Begin function _ZN2at6native32elementwise_kernel_manual_unrollILi128ELi4EZNS0_15gpu_kernel_implINS0_11FillFunctorIfEEEEvRNS_18TensorIteratorBaseERKT_EUlibE_EEviT1_
	.globl	_ZN2at6native32elementwise_kernel_manual_unrollILi128ELi4EZNS0_15gpu_kernel_implINS0_11FillFunctorIfEEEEvRNS_18TensorIteratorBaseERKT_EUlibE_EEviT1_
	.p2align	8
	.type	_ZN2at6native32elementwise_kernel_manual_unrollILi128ELi4EZNS0_15gpu_kernel_implINS0_11FillFunctorIfEEEEvRNS_18TensorIteratorBaseERKT_EUlibE_EEviT1_,@function
_ZN2at6native32elementwise_kernel_manual_unrollILi128ELi4EZNS0_15gpu_kernel_implINS0_11FillFunctorIfEEEEvRNS_18TensorIteratorBaseERKT_EUlibE_EEviT1_: ; @_ZN2at6native32elementwise_kernel_manual_unrollILi128ELi4EZNS0_15gpu_kernel_implINS0_11FillFunctorIfEEEEvRNS_18TensorIteratorBaseERKT_EUlibE_EEviT1_
; %bb.0:
	s_clause 0x2
	s_load_b32 s31, s[0:1], 0x0
	s_load_b128 s[4:7], s[0:1], 0x8
	s_load_b32 s8, s[0:1], 0x18
	v_lshl_or_b32 v15, s15, 9, v0
	s_mov_b32 s3, 0
	s_mov_b32 s1, 0
	s_mov_b32 s0, exec_lo
	s_delay_alu instid0(VALU_DEP_1) | instskip(SKIP_1) | instid1(VALU_DEP_1)
	v_or_b32_e32 v0, 0x180, v15
	s_waitcnt lgkmcnt(0)
	v_cmpx_le_i32_e64 s31, v0
	s_xor_b32 s2, exec_lo, s0
	s_cbranch_execz .LBB54_151
; %bb.1:
	s_bfe_u32 s0, s7, 0x80017
	s_lshr_b32 s10, s7, 23
	s_cmpk_eq_i32 s0, 0xff
	v_add_f32_e64 v0, 0x46000000, |s7|
	s_cselect_b32 s30, -1, 0
	s_bitcmp1_b32 s7, 22
	v_trunc_f32_e32 v2, s7
	s_cselect_b32 s1, -1, 0
	s_and_b32 s9, s7, 0x3fffff
	v_readfirstlane_b32 s25, v0
	s_or_b32 s0, s0, s9
	v_mul_f32_e32 v0, 0x2f800000, v2
	s_cmp_lg_u32 s0, 0
	v_add_f32_e64 v1, 0x42800000, |s7|
	s_cselect_b32 s0, -1, 0
	s_and_b32 s16, s7, 0x7fffffff
	s_and_b32 s0, s1, s0
	s_cmp_lt_u32 s16, 0x43800000
	v_floor_f32_e32 v0, v0
	s_cselect_b32 s28, -1, 0
	s_cmp_gt_u32 s16, 0x3bffffff
	v_readfirstlane_b32 s14, v1
	s_cselect_b32 s26, -1, 0
	s_bfe_u32 s1, s7, 0x10014
	s_and_b32 s9, s25, 0xff
	s_add_i32 s15, s7, s1
	v_cvt_u32_f32_e32 v7, v0
	s_add_i32 s1, s15, 0x487ffff
	v_fmamk_f32 v0, v0, 0xcf800000, v2
	s_lshr_b32 s27, s1, 20
	s_cmp_lg_u32 s9, 0
	v_add_f32_e64 v1, 0x46800000, |s7|
	s_cselect_b32 s29, -1, 0
	s_lshr_b32 s1, s7, 24
	v_cvt_u32_f32_e32 v6, v0
	s_and_b32 s1, s1, 0x80
	s_cmp_gt_u32 s16, 0x477fffff
	v_cndmask_b32_e64 v0, 0, 1, s0
	s_cselect_b32 s9, -1, 0
	s_cmp_lt_u32 s16, 0x47800000
	v_readfirstlane_b32 s17, v1
	s_cselect_b32 s20, -1, 0
	s_cmp_gt_u32 s16, 0x37ffffff
	v_add_nc_u32_e32 v16, s10, v0
	s_cselect_b32 s13, -1, 0
	s_bfe_u32 s11, s7, 0x10015
	s_and_b32 s12, s14, 0xff
	s_add_i32 s19, s7, s11
	v_cvt_f64_f32_e32 v[0:1], s7
	s_add_i32 s11, s19, 0x88fffff
	v_mul_f32_e64 v3, 0x2f800000, |v2|
	s_lshr_b32 s18, s11, 21
	s_cmp_lg_u32 s12, 0
	v_add_f32_e64 v4, 0x43000000, |s7|
	s_cselect_b32 s23, -1, 0
	s_cmp_gt_u32 s16, 0x43efffff
	v_floor_f32_e32 v3, v3
	s_cselect_b32 s11, -1, 0
	s_cmp_lt_u32 s16, 0x3c800000
	v_readfirstlane_b32 s22, v4
	s_cselect_b32 s12, -1, 0
	s_add_i32 s15, s15, 0x407ffff
	v_fma_f32 v5, 0xcf800000, v3, |v2|
	s_lshr_b32 s0, s15, 20
	s_and_b32 s15, s15, 0xff00000
	v_ashrrev_i32_e32 v2, 31, v2
	s_cmp_lg_u32 s15, 0x7f00000
	v_cvt_u32_f32_e32 v4, v5
	s_cselect_b32 s15, s0, 0x7e
	s_cmp_lt_u32 s16, 0x38800000
	s_movk_i32 s0, 0x7f
	s_cselect_b32 s10, -1, 0
	s_add_i32 s19, s19, 0x80fffff
	v_cvt_u32_f32_e32 v3, v3
	s_lshr_b32 s19, s19, 21
	s_cmp_gt_u32 s16, 0x7f800000
	s_movk_i32 s16, 0x7c
	s_cselect_b32 s24, s0, 0x7e
	s_cselect_b32 s21, 0x7f, s16
	s_bfe_u32 s0, s7, 0x10010
	v_cmp_o_f32_e64 s16, s7, s7
	s_add_i32 s0, s7, s0
	v_xor_b32_e32 v4, v4, v2
	s_addk_i32 s0, 0x7fff
	v_cvt_f16_f32_e32 v11, s7
	s_lshr_b32 s0, s0, 16
	s_and_b32 s16, s16, exec_lo
	v_cmp_neq_f32_e64 s16, s7, 0
	v_xor_b32_e32 v3, v3, v2
	v_sub_co_u32 v4, vcc_lo, v4, v2
	v_cvt_u32_f32_e32 v14, s7
	s_delay_alu instid0(VALU_DEP_4)
	v_cndmask_b32_e64 v13, 0, 1, s16
	v_and_b32_e32 v12, 0xffff, v11
	v_sub_co_ci_u32_e32 v5, vcc_lo, v3, v2, vcc_lo
	v_cvt_i32_f32_e32 v10, s7
	s_mov_b32 s35, 0
	s_cselect_b32 s16, s0, 0x7fc0
	s_mov_b32 s0, -1
	s_mov_b32 s33, 0
	s_mov_b32 s34, exec_lo
	v_cmpx_gt_i32_e64 s31, v15
	s_cbranch_execz .LBB54_100
; %bb.2:
	v_mul_lo_u32 v2, v15, s6
	v_and_b32_e64 v17, 0xff, s8
	s_delay_alu instid0(VALU_DEP_1) | instskip(NEXT) | instid1(VALU_DEP_3)
	v_cmp_gt_i16_e32 vcc_lo, 11, v17
	v_ashrrev_i32_e32 v3, 31, v2
	v_add_co_u32 v8, s0, s4, v2
	s_delay_alu instid0(VALU_DEP_1)
	v_add_co_ci_u32_e64 v9, s0, s5, v3, s0
	s_cbranch_vccnz .LBB54_9
; %bb.3:
	v_cmp_lt_i16_e32 vcc_lo, 25, v17
	s_cbranch_vccz .LBB54_12
; %bb.4:
	v_cmp_lt_i16_e32 vcc_lo, 28, v17
	s_cbranch_vccz .LBB54_13
	;; [unrolled: 3-line block ×4, first 2 shown]
; %bb.7:
	v_cmp_eq_u16_e32 vcc_lo, 46, v17
	s_mov_b32 s36, 0
	s_mov_b32 s0, -1
	s_cbranch_vccz .LBB54_16
; %bb.8:
	v_mov_b32_e32 v2, s16
	s_mov_b32 s33, -1
	s_mov_b32 s0, 0
	global_store_b32 v[8:9], v2, off
	s_branch .LBB54_16
.LBB54_9:
	s_mov_b32 s0, 0
	s_cbranch_execnz .LBB54_60
.LBB54_10:
	s_and_not1_b32 vcc_lo, exec_lo, s33
	s_cbranch_vccnz .LBB54_98
.LBB54_11:
	v_add_nc_u32_e32 v15, 0x80, v15
	s_mov_b32 s36, -1
	s_branch .LBB54_99
.LBB54_12:
	s_mov_b32 s0, 0
	s_cbranch_execnz .LBB54_38
	s_branch .LBB54_59
.LBB54_13:
	s_mov_b32 s36, -1
	s_mov_b32 s0, 0
	s_branch .LBB54_24
.LBB54_14:
	s_mov_b32 s36, -1
	s_mov_b32 s0, 0
	s_branch .LBB54_20
.LBB54_15:
	s_mov_b32 s36, -1
	s_mov_b32 s0, 0
.LBB54_16:
	s_and_b32 vcc_lo, exec_lo, s36
	s_cbranch_vccz .LBB54_19
; %bb.17:
	v_cmp_eq_u16_e32 vcc_lo, 44, v17
	s_mov_b32 s0, -1
	s_cbranch_vccz .LBB54_19
; %bb.18:
	v_cndmask_b32_e64 v2, v16, 0xff, s30
	s_mov_b32 s33, -1
	s_mov_b32 s0, 0
	s_mov_b32 s36, 0
	global_store_b8 v[8:9], v2, off
	s_branch .LBB54_20
.LBB54_19:
	s_mov_b32 s36, 0
.LBB54_20:
	s_delay_alu instid0(SALU_CYCLE_1)
	s_and_b32 vcc_lo, exec_lo, s36
	s_cbranch_vccz .LBB54_23
; %bb.21:
	v_cmp_eq_u16_e32 vcc_lo, 29, v17
	s_mov_b32 s0, -1
	s_cbranch_vccz .LBB54_23
; %bb.22:
	s_mov_b32 s33, -1
	s_mov_b32 s0, 0
	global_store_b64 v[8:9], v[6:7], off
.LBB54_23:
	s_mov_b32 s36, 0
.LBB54_24:
	s_delay_alu instid0(SALU_CYCLE_1)
	s_and_b32 vcc_lo, exec_lo, s36
	s_cbranch_vccz .LBB54_37
; %bb.25:
	v_cmp_gt_i16_e32 vcc_lo, 27, v17
	s_mov_b32 s33, -1
	s_cbranch_vccnz .LBB54_31
; %bb.26:
	v_cmp_lt_i16_e32 vcc_lo, 27, v17
	s_cbranch_vccz .LBB54_28
; %bb.27:
	s_mov_b32 s33, 0
	global_store_b32 v[8:9], v14, off
.LBB54_28:
	s_and_not1_b32 vcc_lo, exec_lo, s33
	s_cbranch_vccnz .LBB54_30
; %bb.29:
	global_store_b16 v[8:9], v14, off
.LBB54_30:
	s_mov_b32 s33, 0
.LBB54_31:
	s_delay_alu instid0(SALU_CYCLE_1)
	s_and_not1_b32 vcc_lo, exec_lo, s33
	s_cbranch_vccnz .LBB54_36
; %bb.32:
	s_and_not1_b32 vcc_lo, exec_lo, s28
	s_movk_i32 s33, 0x80
	s_cbranch_vccnz .LBB54_35
; %bb.33:
	s_or_b32 s33, s26, s29
	s_delay_alu instid0(SALU_CYCLE_1)
	s_and_not1_b32 vcc_lo, exec_lo, s33
	s_mov_b32 s33, 0
	s_cbranch_vccnz .LBB54_35
; %bb.34:
	s_and_b32 s33, s26, exec_lo
	s_cselect_b32 s33, s27, s25
	s_delay_alu instid0(SALU_CYCLE_1)
	s_or_b32 s33, s33, s1
.LBB54_35:
	s_delay_alu instid0(SALU_CYCLE_1)
	v_mov_b32_e32 v2, s33
	global_store_b8 v[8:9], v2, off
.LBB54_36:
	s_mov_b32 s33, -1
.LBB54_37:
	s_branch .LBB54_59
.LBB54_38:
	v_cmp_lt_i16_e32 vcc_lo, 22, v17
	s_mov_b32 s36, -1
	s_cbranch_vccz .LBB54_51
; %bb.39:
	v_cmp_gt_i16_e32 vcc_lo, 24, v17
	s_mov_b32 s33, -1
	s_cbranch_vccnz .LBB54_48
; %bb.40:
	v_cmp_lt_i16_e32 vcc_lo, 24, v17
	s_cbranch_vccz .LBB54_45
; %bb.41:
	s_and_not1_b32 vcc_lo, exec_lo, s20
	s_movk_i32 s33, 0x80
	s_cbranch_vccnz .LBB54_44
; %bb.42:
	s_or_b32 s33, s13, s23
	s_delay_alu instid0(SALU_CYCLE_1)
	s_and_not1_b32 vcc_lo, exec_lo, s33
	s_mov_b32 s33, 0
	s_cbranch_vccnz .LBB54_44
; %bb.43:
	s_and_b32 s33, s13, exec_lo
	s_cselect_b32 s33, s18, s14
	s_delay_alu instid0(SALU_CYCLE_1)
	s_or_b32 s33, s33, s1
.LBB54_44:
	s_delay_alu instid0(SALU_CYCLE_1)
	v_mov_b32_e32 v2, s33
	s_mov_b32 s33, 0
	global_store_b8 v[8:9], v2, off
.LBB54_45:
	s_and_b32 vcc_lo, exec_lo, s33
	s_cbranch_vccz .LBB54_47
; %bb.46:
	s_and_b32 s33, s12, exec_lo
	s_cselect_b32 s33, s17, s15
	s_and_b32 s36, s11, exec_lo
	s_cselect_b32 s33, s24, s33
	s_delay_alu instid0(SALU_CYCLE_1) | instskip(NEXT) | instid1(SALU_CYCLE_1)
	s_or_b32 s33, s33, s1
	v_mov_b32_e32 v2, s33
	global_store_b8 v[8:9], v2, off
.LBB54_47:
	s_mov_b32 s33, 0
.LBB54_48:
	s_delay_alu instid0(SALU_CYCLE_1)
	s_and_not1_b32 vcc_lo, exec_lo, s33
	s_cbranch_vccnz .LBB54_50
; %bb.49:
	s_and_b32 s33, s10, exec_lo
	s_cselect_b32 s33, s22, s19
	s_and_b32 s36, s9, exec_lo
	s_cselect_b32 s33, s21, s33
	s_delay_alu instid0(SALU_CYCLE_1) | instskip(NEXT) | instid1(SALU_CYCLE_1)
	s_or_b32 s33, s33, s1
	v_mov_b32_e32 v2, s33
	global_store_b8 v[8:9], v2, off
.LBB54_50:
	s_mov_b32 s36, 0
	s_mov_b32 s33, -1
.LBB54_51:
	s_and_not1_b32 vcc_lo, exec_lo, s36
	s_cbranch_vccnz .LBB54_59
; %bb.52:
	v_cmp_lt_i16_e32 vcc_lo, 14, v17
	s_mov_b32 s36, -1
	s_cbranch_vccz .LBB54_56
; %bb.53:
	v_cmp_eq_u16_e32 vcc_lo, 15, v17
	s_mov_b32 s0, -1
	s_cbranch_vccz .LBB54_55
; %bb.54:
	v_mov_b32_e32 v2, s16
	s_mov_b32 s33, -1
	s_mov_b32 s0, 0
	global_store_b16 v[8:9], v2, off
.LBB54_55:
	s_mov_b32 s36, 0
.LBB54_56:
	s_delay_alu instid0(SALU_CYCLE_1)
	s_and_b32 vcc_lo, exec_lo, s36
	s_cbranch_vccz .LBB54_59
; %bb.57:
	v_cmp_eq_u16_e32 vcc_lo, 11, v17
	s_mov_b32 s0, -1
	s_cbranch_vccz .LBB54_59
; %bb.58:
	s_mov_b32 s33, -1
	s_mov_b32 s0, 0
	global_store_b8 v[8:9], v13, off
.LBB54_59:
	s_branch .LBB54_10
.LBB54_60:
	v_cmp_gt_i16_e32 vcc_lo, 5, v17
	s_mov_b32 s33, -1
	s_cbranch_vccnz .LBB54_81
; %bb.61:
	v_cmp_gt_i16_e32 vcc_lo, 8, v17
	s_cbranch_vccnz .LBB54_71
; %bb.62:
	v_cmp_gt_i16_e32 vcc_lo, 9, v17
	s_cbranch_vccnz .LBB54_68
; %bb.63:
	v_cmp_lt_i16_e32 vcc_lo, 9, v17
	s_cbranch_vccz .LBB54_65
; %bb.64:
	v_mov_b32_e32 v2, 0
	s_mov_b32 s33, 0
	s_delay_alu instid0(VALU_DEP_1)
	v_mov_b32_e32 v3, v2
	global_store_b128 v[8:9], v[0:3], off
.LBB54_65:
	s_and_not1_b32 vcc_lo, exec_lo, s33
	s_cbranch_vccnz .LBB54_67
; %bb.66:
	v_dual_mov_b32 v2, s7 :: v_dual_mov_b32 v3, 0
	global_store_b64 v[8:9], v[2:3], off
.LBB54_67:
	s_mov_b32 s33, 0
.LBB54_68:
	s_delay_alu instid0(SALU_CYCLE_1)
	s_and_not1_b32 vcc_lo, exec_lo, s33
	s_cbranch_vccnz .LBB54_70
; %bb.69:
	global_store_b32 v[8:9], v12, off
.LBB54_70:
	s_mov_b32 s33, 0
.LBB54_71:
	s_delay_alu instid0(SALU_CYCLE_1)
	s_and_not1_b32 vcc_lo, exec_lo, s33
	s_cbranch_vccnz .LBB54_80
; %bb.72:
	v_cmp_gt_i16_e32 vcc_lo, 6, v17
	s_mov_b32 s33, -1
	s_cbranch_vccnz .LBB54_78
; %bb.73:
	v_cmp_lt_i16_e32 vcc_lo, 6, v17
	s_cbranch_vccz .LBB54_75
; %bb.74:
	s_mov_b32 s33, 0
	global_store_b64 v[8:9], v[0:1], off
.LBB54_75:
	s_and_not1_b32 vcc_lo, exec_lo, s33
	s_cbranch_vccnz .LBB54_77
; %bb.76:
	v_mov_b32_e32 v2, s7
	global_store_b32 v[8:9], v2, off
.LBB54_77:
	s_mov_b32 s33, 0
.LBB54_78:
	s_delay_alu instid0(SALU_CYCLE_1)
	s_and_not1_b32 vcc_lo, exec_lo, s33
	s_cbranch_vccnz .LBB54_80
; %bb.79:
	global_store_b16 v[8:9], v11, off
.LBB54_80:
	s_mov_b32 s33, 0
.LBB54_81:
	s_delay_alu instid0(SALU_CYCLE_1)
	s_and_not1_b32 vcc_lo, exec_lo, s33
	s_cbranch_vccnz .LBB54_97
; %bb.82:
	v_cmp_gt_i16_e32 vcc_lo, 2, v17
	s_mov_b32 s33, -1
	s_cbranch_vccnz .LBB54_92
; %bb.83:
	v_cmp_gt_i16_e32 vcc_lo, 3, v17
	s_cbranch_vccnz .LBB54_89
; %bb.84:
	v_cmp_lt_i16_e32 vcc_lo, 3, v17
	s_cbranch_vccz .LBB54_86
; %bb.85:
	s_mov_b32 s33, 0
	global_store_b64 v[8:9], v[4:5], off
.LBB54_86:
	s_and_not1_b32 vcc_lo, exec_lo, s33
	s_cbranch_vccnz .LBB54_88
; %bb.87:
	global_store_b32 v[8:9], v10, off
.LBB54_88:
	s_mov_b32 s33, 0
.LBB54_89:
	s_delay_alu instid0(SALU_CYCLE_1)
	s_and_not1_b32 vcc_lo, exec_lo, s33
	s_cbranch_vccnz .LBB54_91
; %bb.90:
	global_store_b16 v[8:9], v10, off
.LBB54_91:
	s_mov_b32 s33, 0
.LBB54_92:
	s_delay_alu instid0(SALU_CYCLE_1)
	s_and_not1_b32 vcc_lo, exec_lo, s33
	s_cbranch_vccnz .LBB54_97
; %bb.93:
	v_cmp_lt_i16_e32 vcc_lo, 0, v17
	s_mov_b32 s33, -1
	s_cbranch_vccz .LBB54_95
; %bb.94:
	s_mov_b32 s33, 0
	global_store_b8 v[8:9], v10, off
.LBB54_95:
	s_and_not1_b32 vcc_lo, exec_lo, s33
	s_cbranch_vccnz .LBB54_97
; %bb.96:
	global_store_b8 v[8:9], v4, off
.LBB54_97:
	s_branch .LBB54_11
.LBB54_98:
	s_mov_b32 s36, 0
                                        ; implicit-def: $vgpr15
.LBB54_99:
	s_and_b32 s33, s0, exec_lo
	s_or_not1_b32 s0, s36, exec_lo
.LBB54_100:
	s_or_b32 exec_lo, exec_lo, s34
	s_mov_b32 s36, 0
                                        ; implicit-def: $vgpr17
                                        ; implicit-def: $vgpr8_vgpr9
	s_and_saveexec_b32 s34, s0
	s_cbranch_execz .LBB54_109
; %bb.101:
	s_mov_b32 s38, -1
	s_mov_b32 s35, s33
	s_mov_b32 s36, exec_lo
	v_cmpx_gt_i32_e64 s31, v15
	s_cbranch_execz .LBB54_326
; %bb.102:
	v_mul_lo_u32 v2, v15, s6
	v_and_b32_e64 v17, 0xff, s8
	s_delay_alu instid0(VALU_DEP_1) | instskip(NEXT) | instid1(VALU_DEP_3)
	v_cmp_gt_i16_e32 vcc_lo, 11, v17
	v_ashrrev_i32_e32 v3, 31, v2
	v_add_co_u32 v8, s0, s4, v2
	s_delay_alu instid0(VALU_DEP_1)
	v_add_co_ci_u32_e64 v9, s0, s5, v3, s0
	s_cbranch_vccnz .LBB54_219
; %bb.103:
	v_cmp_lt_i16_e32 vcc_lo, 25, v17
	s_cbranch_vccz .LBB54_222
; %bb.104:
	v_cmp_lt_i16_e32 vcc_lo, 28, v17
	s_cbranch_vccz .LBB54_223
	;; [unrolled: 3-line block ×4, first 2 shown]
; %bb.107:
	v_cmp_eq_u16_e32 vcc_lo, 46, v17
	s_mov_b32 s37, 0
	s_mov_b32 s0, -1
	s_mov_b32 s35, 0
	s_cbranch_vccz .LBB54_241
; %bb.108:
	v_mov_b32_e32 v2, s16
	s_mov_b32 s35, -1
	s_mov_b32 s0, 0
	global_store_b32 v[8:9], v2, off
	s_branch .LBB54_241
.LBB54_109:
	s_or_b32 exec_lo, exec_lo, s34
	s_mov_b32 s0, 0
	s_and_saveexec_b32 s1, s33
	s_cbranch_execnz .LBB54_883
.LBB54_110:
	s_or_b32 exec_lo, exec_lo, s1
	s_and_saveexec_b32 s1, s35
	s_delay_alu instid0(SALU_CYCLE_1)
	s_xor_b32 s1, exec_lo, s1
	s_cbranch_execz .LBB54_112
.LBB54_111:
	global_store_b8 v[8:9], v13, off
.LBB54_112:
	s_or_b32 exec_lo, exec_lo, s1
	s_and_saveexec_b32 s1, s36
	s_delay_alu instid0(SALU_CYCLE_1)
	s_xor_b32 s1, exec_lo, s1
	s_cbranch_execz .LBB54_150
; %bb.113:
	v_cmp_gt_i16_e32 vcc_lo, 5, v17
	s_mov_b32 s9, -1
	s_cbranch_vccnz .LBB54_134
; %bb.114:
	v_cmp_gt_i16_e32 vcc_lo, 8, v17
	s_cbranch_vccnz .LBB54_124
; %bb.115:
	v_cmp_gt_i16_e32 vcc_lo, 9, v17
	s_cbranch_vccnz .LBB54_121
; %bb.116:
	v_cmp_lt_i16_e32 vcc_lo, 9, v17
	s_cbranch_vccz .LBB54_118
; %bb.117:
	v_mov_b32_e32 v2, 0
	s_mov_b32 s9, 0
	s_delay_alu instid0(VALU_DEP_1)
	v_mov_b32_e32 v3, v2
	global_store_b128 v[8:9], v[0:3], off
.LBB54_118:
	s_and_not1_b32 vcc_lo, exec_lo, s9
	s_cbranch_vccnz .LBB54_120
; %bb.119:
	v_dual_mov_b32 v2, s7 :: v_dual_mov_b32 v3, 0
	global_store_b64 v[8:9], v[2:3], off
.LBB54_120:
	s_mov_b32 s9, 0
.LBB54_121:
	s_delay_alu instid0(SALU_CYCLE_1)
	s_and_not1_b32 vcc_lo, exec_lo, s9
	s_cbranch_vccnz .LBB54_123
; %bb.122:
	global_store_b32 v[8:9], v12, off
.LBB54_123:
	s_mov_b32 s9, 0
.LBB54_124:
	s_delay_alu instid0(SALU_CYCLE_1)
	s_and_not1_b32 vcc_lo, exec_lo, s9
	s_cbranch_vccnz .LBB54_133
; %bb.125:
	v_cmp_gt_i16_e32 vcc_lo, 6, v17
	s_mov_b32 s9, -1
	s_cbranch_vccnz .LBB54_131
; %bb.126:
	v_cmp_lt_i16_e32 vcc_lo, 6, v17
	s_cbranch_vccz .LBB54_128
; %bb.127:
	s_mov_b32 s9, 0
	global_store_b64 v[8:9], v[0:1], off
.LBB54_128:
	s_and_not1_b32 vcc_lo, exec_lo, s9
	s_cbranch_vccnz .LBB54_130
; %bb.129:
	v_mov_b32_e32 v0, s7
	global_store_b32 v[8:9], v0, off
.LBB54_130:
	s_mov_b32 s9, 0
.LBB54_131:
	s_delay_alu instid0(SALU_CYCLE_1)
	s_and_not1_b32 vcc_lo, exec_lo, s9
	s_cbranch_vccnz .LBB54_133
; %bb.132:
	global_store_b16 v[8:9], v11, off
.LBB54_133:
	s_mov_b32 s9, 0
.LBB54_134:
	s_delay_alu instid0(SALU_CYCLE_1)
	s_and_not1_b32 vcc_lo, exec_lo, s9
	s_cbranch_vccnz .LBB54_150
; %bb.135:
	v_cmp_gt_i16_e32 vcc_lo, 2, v17
	s_mov_b32 s9, -1
	s_cbranch_vccnz .LBB54_145
; %bb.136:
	v_cmp_gt_i16_e32 vcc_lo, 3, v17
	s_cbranch_vccnz .LBB54_142
; %bb.137:
	v_cmp_lt_i16_e32 vcc_lo, 3, v17
	s_cbranch_vccz .LBB54_139
; %bb.138:
	s_mov_b32 s9, 0
	global_store_b64 v[8:9], v[4:5], off
.LBB54_139:
	s_and_not1_b32 vcc_lo, exec_lo, s9
	s_cbranch_vccnz .LBB54_141
; %bb.140:
	global_store_b32 v[8:9], v10, off
.LBB54_141:
	s_mov_b32 s9, 0
.LBB54_142:
	s_delay_alu instid0(SALU_CYCLE_1)
	s_and_not1_b32 vcc_lo, exec_lo, s9
	s_cbranch_vccnz .LBB54_144
; %bb.143:
	global_store_b16 v[8:9], v10, off
.LBB54_144:
	s_mov_b32 s9, 0
.LBB54_145:
	s_delay_alu instid0(SALU_CYCLE_1)
	s_and_not1_b32 vcc_lo, exec_lo, s9
	s_cbranch_vccnz .LBB54_150
; %bb.146:
	v_cmp_lt_i16_e32 vcc_lo, 0, v17
	s_mov_b32 s9, -1
	s_cbranch_vccz .LBB54_148
; %bb.147:
	s_mov_b32 s9, 0
	global_store_b8 v[8:9], v10, off
.LBB54_148:
	s_and_not1_b32 vcc_lo, exec_lo, s9
	s_cbranch_vccnz .LBB54_150
; %bb.149:
	global_store_b8 v[8:9], v4, off
.LBB54_150:
	s_or_b32 exec_lo, exec_lo, s1
	s_delay_alu instid0(SALU_CYCLE_1)
	s_and_b32 s1, s0, exec_lo
                                        ; implicit-def: $vgpr15
.LBB54_151:
	s_or_saveexec_b32 s2, s2
	s_mov_b32 s0, 0
                                        ; implicit-def: $vgpr2
                                        ; implicit-def: $vgpr0_vgpr1
	s_xor_b32 exec_lo, exec_lo, s2
	s_cbranch_execz .LBB54_681
; %bb.152:
	v_mul_lo_u32 v3, s6, v15
	v_and_b32_e64 v2, 0xff, s8
	s_delay_alu instid0(VALU_DEP_1) | instskip(NEXT) | instid1(VALU_DEP_3)
	v_cmp_gt_i16_e32 vcc_lo, 11, v2
	v_ashrrev_i32_e32 v1, 31, v3
	v_add_co_u32 v0, s0, s4, v3
	s_delay_alu instid0(VALU_DEP_1)
	v_add_co_ci_u32_e64 v1, s0, s5, v1, s0
	s_cbranch_vccnz .LBB54_180
; %bb.153:
	v_cmp_lt_i16_e32 vcc_lo, 25, v2
	s_mov_b32 s3, -1
	s_mov_b32 s8, 0
	s_mov_b32 s9, 0
	;; [unrolled: 1-line block ×3, first 2 shown]
	s_cbranch_vccz .LBB54_233
; %bb.154:
	v_cmp_lt_i16_e32 vcc_lo, 28, v2
	s_cbranch_vccz .LBB54_169
; %bb.155:
	v_cmp_lt_i16_e32 vcc_lo, 43, v2
	s_cbranch_vccz .LBB54_165
; %bb.156:
	v_cmp_lt_i16_e32 vcc_lo, 45, v2
	s_cbranch_vccz .LBB54_159
; %bb.157:
	v_cmp_eq_u16_e32 vcc_lo, 46, v2
	s_mov_b32 s0, -1
	s_mov_b32 s3, 0
	s_cbranch_vccz .LBB54_159
; %bb.158:
	s_bfe_u32 s0, s7, 0x10010
	v_cmp_o_f32_e64 s9, s7, s7
	s_add_i32 s0, s7, s0
	s_delay_alu instid0(SALU_CYCLE_1) | instskip(NEXT) | instid1(SALU_CYCLE_1)
	s_addk_i32 s0, 0x7fff
	s_lshr_b32 s0, s0, 16
	s_delay_alu instid0(VALU_DEP_1)
	s_and_b32 s9, s9, exec_lo
	s_cselect_b32 s0, s0, 0x7fc0
	s_mov_b32 s9, -1
	v_mov_b32_e32 v4, s0
	s_mov_b32 s0, 0
	global_store_b32 v[0:1], v4, off
.LBB54_159:
	s_and_b32 vcc_lo, exec_lo, s3
	s_cbranch_vccz .LBB54_164
; %bb.160:
	v_cmp_eq_u16_e32 vcc_lo, 44, v2
	s_mov_b32 s0, -1
	s_cbranch_vccz .LBB54_164
; %bb.161:
	v_mov_b32_e32 v4, 0xff
	s_bfe_u32 s0, s7, 0x80017
	s_delay_alu instid0(SALU_CYCLE_1)
	s_cmpk_eq_i32 s0, 0xff
	s_cbranch_scc1 .LBB54_163
; %bb.162:
	s_lshr_b32 s3, s7, 23
	s_bitcmp1_b32 s7, 22
	s_cselect_b32 s9, -1, 0
	s_and_b32 s10, s7, 0x3fffff
	s_delay_alu instid0(SALU_CYCLE_1) | instskip(NEXT) | instid1(SALU_CYCLE_1)
	s_or_b32 s0, s0, s10
	s_cmp_lg_u32 s0, 0
	s_cselect_b32 s0, -1, 0
	s_delay_alu instid0(SALU_CYCLE_1) | instskip(NEXT) | instid1(SALU_CYCLE_1)
	s_and_b32 s0, s9, s0
	v_cndmask_b32_e64 v4, 0, 1, s0
	s_delay_alu instid0(VALU_DEP_1)
	v_add_nc_u32_e32 v4, s3, v4
.LBB54_163:
	s_mov_b32 s0, 0
	s_mov_b32 s9, -1
	global_store_b8 v[0:1], v4, off
.LBB54_164:
	s_mov_b32 s3, 0
.LBB54_165:
	s_delay_alu instid0(SALU_CYCLE_1)
	s_and_b32 vcc_lo, exec_lo, s3
	s_cbranch_vccz .LBB54_168
; %bb.166:
	v_cmp_eq_u16_e32 vcc_lo, 29, v2
	s_mov_b32 s0, -1
	s_cbranch_vccz .LBB54_168
; %bb.167:
	v_trunc_f32_e32 v4, s7
	s_mov_b32 s0, 0
	s_mov_b32 s9, -1
	s_delay_alu instid0(VALU_DEP_1) | instskip(NEXT) | instid1(VALU_DEP_1)
	v_mul_f32_e32 v5, 0x2f800000, v4
	v_floor_f32_e32 v5, v5
	s_delay_alu instid0(VALU_DEP_1) | instskip(SKIP_1) | instid1(VALU_DEP_2)
	v_fmamk_f32 v4, v5, 0xcf800000, v4
	v_cvt_u32_f32_e32 v5, v5
	v_cvt_u32_f32_e32 v4, v4
	global_store_b64 v[0:1], v[4:5], off
.LBB54_168:
	s_mov_b32 s3, 0
.LBB54_169:
	s_delay_alu instid0(SALU_CYCLE_1)
	s_and_b32 vcc_lo, exec_lo, s3
	s_cbranch_vccz .LBB54_232
; %bb.170:
	v_cmp_gt_i16_e32 vcc_lo, 27, v2
	s_mov_b32 s3, -1
	s_cbranch_vccnz .LBB54_176
; %bb.171:
	v_cmp_lt_i16_e32 vcc_lo, 27, v2
	s_cbranch_vccz .LBB54_173
; %bb.172:
	v_cvt_u32_f32_e32 v4, s7
	s_mov_b32 s3, 0
	global_store_b32 v[0:1], v4, off
.LBB54_173:
	s_and_not1_b32 vcc_lo, exec_lo, s3
	s_cbranch_vccnz .LBB54_175
; %bb.174:
	v_cvt_u32_f32_e32 v4, s7
	global_store_b16 v[0:1], v4, off
.LBB54_175:
	s_mov_b32 s3, 0
.LBB54_176:
	s_delay_alu instid0(SALU_CYCLE_1)
	s_and_not1_b32 vcc_lo, exec_lo, s3
	s_cbranch_vccnz .LBB54_231
; %bb.177:
	v_mov_b32_e32 v5, 0x80
	s_and_b32 s3, s7, 0x7fffffff
	s_delay_alu instid0(SALU_CYCLE_1)
	s_cmp_gt_u32 s3, 0x437fffff
	s_cbranch_scc1 .LBB54_230
; %bb.178:
	s_cmp_gt_u32 s3, 0x3bffffff
	s_cbranch_scc0 .LBB54_225
; %bb.179:
	s_bfe_u32 s3, s7, 0x10014
	s_mov_b32 s9, 0
	s_add_i32 s3, s7, s3
	s_delay_alu instid0(SALU_CYCLE_1) | instskip(NEXT) | instid1(SALU_CYCLE_1)
	s_add_i32 s3, s3, 0x487ffff
	s_lshr_b32 s10, s3, 20
	s_mov_b32 s3, -1
	s_branch .LBB54_226
.LBB54_180:
	s_mov_b32 s9, 0
	s_mov_b32 s3, s1
	s_cbranch_execz .LBB54_382
; %bb.181:
	v_cmp_gt_i16_e32 vcc_lo, 5, v2
	s_mov_b32 s0, -1
	s_cbranch_vccnz .LBB54_202
; %bb.182:
	v_cmp_gt_i16_e32 vcc_lo, 8, v2
	s_cbranch_vccnz .LBB54_192
; %bb.183:
	v_cmp_gt_i16_e32 vcc_lo, 9, v2
	s_cbranch_vccnz .LBB54_189
; %bb.184:
	v_cmp_lt_i16_e32 vcc_lo, 9, v2
	s_cbranch_vccz .LBB54_186
; %bb.185:
	v_cvt_f64_f32_e32 v[4:5], s7
	v_mov_b32_e32 v6, 0
	s_mov_b32 s0, 0
	s_delay_alu instid0(VALU_DEP_1)
	v_mov_b32_e32 v7, v6
	global_store_b128 v[0:1], v[4:7], off
.LBB54_186:
	s_and_not1_b32 vcc_lo, exec_lo, s0
	s_cbranch_vccnz .LBB54_188
; %bb.187:
	v_dual_mov_b32 v4, s7 :: v_dual_mov_b32 v5, 0
	global_store_b64 v[0:1], v[4:5], off
.LBB54_188:
	s_mov_b32 s0, 0
.LBB54_189:
	s_delay_alu instid0(SALU_CYCLE_1)
	s_and_not1_b32 vcc_lo, exec_lo, s0
	s_cbranch_vccnz .LBB54_191
; %bb.190:
	v_cvt_f16_f32_e32 v4, s7
	s_delay_alu instid0(VALU_DEP_1)
	v_and_b32_e32 v4, 0xffff, v4
	global_store_b32 v[0:1], v4, off
.LBB54_191:
	s_mov_b32 s0, 0
.LBB54_192:
	s_delay_alu instid0(SALU_CYCLE_1)
	s_and_not1_b32 vcc_lo, exec_lo, s0
	s_cbranch_vccnz .LBB54_201
; %bb.193:
	v_cmp_gt_i16_e32 vcc_lo, 6, v2
	s_mov_b32 s0, -1
	s_cbranch_vccnz .LBB54_199
; %bb.194:
	v_cmp_lt_i16_e32 vcc_lo, 6, v2
	s_cbranch_vccz .LBB54_196
; %bb.195:
	v_cvt_f64_f32_e32 v[4:5], s7
	s_mov_b32 s0, 0
	global_store_b64 v[0:1], v[4:5], off
.LBB54_196:
	s_and_not1_b32 vcc_lo, exec_lo, s0
	s_cbranch_vccnz .LBB54_198
; %bb.197:
	v_mov_b32_e32 v4, s7
	global_store_b32 v[0:1], v4, off
.LBB54_198:
	s_mov_b32 s0, 0
.LBB54_199:
	s_delay_alu instid0(SALU_CYCLE_1)
	s_and_not1_b32 vcc_lo, exec_lo, s0
	s_cbranch_vccnz .LBB54_201
; %bb.200:
	v_cvt_f16_f32_e32 v4, s7
	global_store_b16 v[0:1], v4, off
.LBB54_201:
	s_mov_b32 s0, 0
.LBB54_202:
	s_delay_alu instid0(SALU_CYCLE_1)
	s_and_not1_b32 vcc_lo, exec_lo, s0
	s_cbranch_vccnz .LBB54_218
; %bb.203:
	v_cmp_gt_i16_e32 vcc_lo, 2, v2
	s_mov_b32 s0, -1
	s_cbranch_vccnz .LBB54_213
; %bb.204:
	v_cmp_gt_i16_e32 vcc_lo, 3, v2
	s_cbranch_vccnz .LBB54_210
; %bb.205:
	v_cmp_lt_i16_e32 vcc_lo, 3, v2
	s_cbranch_vccz .LBB54_207
; %bb.206:
	v_trunc_f32_e32 v4, s7
	s_mov_b32 s0, 0
	s_delay_alu instid0(VALU_DEP_1) | instskip(SKIP_1) | instid1(VALU_DEP_2)
	v_mul_f32_e64 v5, 0x2f800000, |v4|
	v_ashrrev_i32_e32 v7, 31, v4
	v_floor_f32_e32 v5, v5
	s_delay_alu instid0(VALU_DEP_1) | instskip(SKIP_1) | instid1(VALU_DEP_2)
	v_fma_f32 v6, 0xcf800000, v5, |v4|
	v_cvt_u32_f32_e32 v5, v5
	v_cvt_u32_f32_e32 v4, v6
	s_delay_alu instid0(VALU_DEP_2) | instskip(NEXT) | instid1(VALU_DEP_2)
	v_xor_b32_e32 v5, v5, v7
	v_xor_b32_e32 v4, v4, v7
	s_delay_alu instid0(VALU_DEP_1) | instskip(NEXT) | instid1(VALU_DEP_3)
	v_sub_co_u32 v4, vcc_lo, v4, v7
	v_sub_co_ci_u32_e32 v5, vcc_lo, v5, v7, vcc_lo
	global_store_b64 v[0:1], v[4:5], off
.LBB54_207:
	s_and_not1_b32 vcc_lo, exec_lo, s0
	s_cbranch_vccnz .LBB54_209
; %bb.208:
	v_cvt_i32_f32_e32 v4, s7
	global_store_b32 v[0:1], v4, off
.LBB54_209:
	s_mov_b32 s0, 0
.LBB54_210:
	s_delay_alu instid0(SALU_CYCLE_1)
	s_and_not1_b32 vcc_lo, exec_lo, s0
	s_cbranch_vccnz .LBB54_212
; %bb.211:
	v_cvt_i32_f32_e32 v4, s7
	global_store_b16 v[0:1], v4, off
.LBB54_212:
	s_mov_b32 s0, 0
.LBB54_213:
	s_delay_alu instid0(SALU_CYCLE_1)
	s_and_not1_b32 vcc_lo, exec_lo, s0
	s_cbranch_vccnz .LBB54_218
; %bb.214:
	v_cmp_lt_i16_e32 vcc_lo, 0, v2
	s_mov_b32 s0, -1
	s_cbranch_vccz .LBB54_216
; %bb.215:
	v_cvt_i32_f32_e32 v4, s7
	s_mov_b32 s0, 0
	global_store_b8 v[0:1], v4, off
.LBB54_216:
	s_and_not1_b32 vcc_lo, exec_lo, s0
	s_cbranch_vccnz .LBB54_218
; %bb.217:
	v_trunc_f32_e32 v4, s7
	s_delay_alu instid0(VALU_DEP_1) | instskip(NEXT) | instid1(VALU_DEP_1)
	v_mul_f32_e64 v5, 0x2f800000, |v4|
	v_floor_f32_e32 v5, v5
	s_delay_alu instid0(VALU_DEP_1) | instskip(SKIP_1) | instid1(VALU_DEP_2)
	v_fma_f32 v5, 0xcf800000, v5, |v4|
	v_ashrrev_i32_e32 v4, 31, v4
	v_cvt_u32_f32_e32 v5, v5
	s_delay_alu instid0(VALU_DEP_1) | instskip(NEXT) | instid1(VALU_DEP_1)
	v_xor_b32_e32 v5, v5, v4
	v_sub_nc_u32_e32 v4, v5, v4
	global_store_b8 v[0:1], v4, off
.LBB54_218:
	s_branch .LBB54_383
.LBB54_219:
	s_mov_b32 s35, 0
	s_mov_b32 s0, s33
	s_cbranch_execnz .LBB54_286
.LBB54_220:
	s_and_not1_b32 vcc_lo, exec_lo, s35
	s_cbranch_vccnz .LBB54_324
.LBB54_221:
	v_add_nc_u32_e32 v15, 0x80, v15
	s_mov_b32 s37, -1
	s_branch .LBB54_325
.LBB54_222:
	s_mov_b32 s37, -1
	s_mov_b32 s35, 0
	s_mov_b32 s0, s33
	s_branch .LBB54_263
.LBB54_223:
	s_mov_b32 s37, -1
	s_mov_b32 s35, 0
	s_mov_b32 s0, s33
	s_branch .LBB54_249
.LBB54_224:
	s_mov_b32 s37, -1
	s_mov_b32 s35, 0
	s_mov_b32 s0, s33
	s_branch .LBB54_245
.LBB54_225:
	s_mov_b32 s9, -1
	s_mov_b32 s3, 0
                                        ; implicit-def: $sgpr10
.LBB54_226:
	v_mov_b32_e32 v4, s10
	s_and_not1_b32 vcc_lo, exec_lo, s9
                                        ; implicit-def: $sgpr9
	s_cbranch_vccnz .LBB54_228
; %bb.227:
	v_add_f32_e64 v4, 0x46000000, |s7|
	s_mov_b32 s9, 0
	s_delay_alu instid0(VALU_DEP_1) | instskip(NEXT) | instid1(VALU_DEP_1)
	v_and_b32_e32 v4, 0xff, v4
	v_cmp_ne_u32_e64 s3, 0, v4
.LBB54_228:
	v_mov_b32_e32 v5, s9
	s_delay_alu instid0(VALU_DEP_2)
	s_and_not1_b32 vcc_lo, exec_lo, s3
	s_cbranch_vccnz .LBB54_230
; %bb.229:
	s_lshr_b32 s3, s7, 24
	s_delay_alu instid0(SALU_CYCLE_1) | instskip(NEXT) | instid1(SALU_CYCLE_1)
	s_and_b32 s3, s3, 0x80
	v_or_b32_e32 v5, s3, v4
.LBB54_230:
	global_store_b8 v[0:1], v5, off
.LBB54_231:
	s_mov_b32 s9, -1
.LBB54_232:
	s_mov_b32 s3, 0
.LBB54_233:
	s_delay_alu instid0(SALU_CYCLE_1)
	s_and_b32 vcc_lo, exec_lo, s3
	s_cbranch_vccz .LBB54_378
; %bb.234:
	v_cmp_lt_i16_e32 vcc_lo, 22, v2
	s_mov_b32 s3, -1
	s_cbranch_vccz .LBB54_371
; %bb.235:
	v_cmp_gt_i16_e32 vcc_lo, 24, v2
	s_cbranch_vccnz .LBB54_358
; %bb.236:
	v_cmp_lt_i16_e32 vcc_lo, 24, v2
	s_cbranch_vccz .LBB54_345
; %bb.237:
	v_mov_b32_e32 v5, 0x80
	s_and_b32 s3, s7, 0x7fffffff
	s_delay_alu instid0(SALU_CYCLE_1)
	s_cmp_gt_u32 s3, 0x477fffff
	s_cbranch_scc1 .LBB54_344
; %bb.238:
	s_cmp_gt_u32 s3, 0x37ffffff
	s_cbranch_scc0 .LBB54_339
; %bb.239:
	s_bfe_u32 s3, s7, 0x10015
	s_delay_alu instid0(SALU_CYCLE_1) | instskip(NEXT) | instid1(SALU_CYCLE_1)
	s_add_i32 s3, s7, s3
	s_add_i32 s3, s3, 0x88fffff
	s_delay_alu instid0(SALU_CYCLE_1)
	s_lshr_b32 s9, s3, 21
	s_mov_b32 s3, -1
	s_branch .LBB54_340
.LBB54_240:
	s_mov_b32 s37, -1
	s_mov_b32 s35, 0
	s_mov_b32 s0, s33
.LBB54_241:
	s_and_b32 vcc_lo, exec_lo, s37
	s_cbranch_vccz .LBB54_244
; %bb.242:
	v_cmp_eq_u16_e32 vcc_lo, 44, v17
	s_mov_b32 s0, -1
	s_cbranch_vccz .LBB54_244
; %bb.243:
	v_cndmask_b32_e64 v2, v16, 0xff, s30
	s_mov_b32 s35, -1
	s_mov_b32 s0, 0
	global_store_b8 v[8:9], v2, off
.LBB54_244:
	s_mov_b32 s37, 0
.LBB54_245:
	s_delay_alu instid0(SALU_CYCLE_1)
	s_and_b32 vcc_lo, exec_lo, s37
	s_cbranch_vccz .LBB54_248
; %bb.246:
	v_cmp_eq_u16_e32 vcc_lo, 29, v17
	s_mov_b32 s0, -1
	s_cbranch_vccz .LBB54_248
; %bb.247:
	s_mov_b32 s35, -1
	s_mov_b32 s0, 0
	global_store_b64 v[8:9], v[6:7], off
.LBB54_248:
	s_mov_b32 s37, 0
.LBB54_249:
	s_delay_alu instid0(SALU_CYCLE_1)
	s_and_b32 vcc_lo, exec_lo, s37
	s_cbranch_vccz .LBB54_262
; %bb.250:
	v_cmp_gt_i16_e32 vcc_lo, 27, v17
	s_mov_b32 s35, -1
	s_cbranch_vccnz .LBB54_256
; %bb.251:
	v_cmp_lt_i16_e32 vcc_lo, 27, v17
	s_cbranch_vccz .LBB54_253
; %bb.252:
	s_mov_b32 s35, 0
	global_store_b32 v[8:9], v14, off
.LBB54_253:
	s_and_not1_b32 vcc_lo, exec_lo, s35
	s_cbranch_vccnz .LBB54_255
; %bb.254:
	global_store_b16 v[8:9], v14, off
.LBB54_255:
	s_mov_b32 s35, 0
.LBB54_256:
	s_delay_alu instid0(SALU_CYCLE_1)
	s_and_not1_b32 vcc_lo, exec_lo, s35
	s_cbranch_vccnz .LBB54_261
; %bb.257:
	s_and_not1_b32 vcc_lo, exec_lo, s28
	s_movk_i32 s35, 0x80
	s_cbranch_vccnz .LBB54_260
; %bb.258:
	s_or_b32 s35, s26, s29
	s_delay_alu instid0(SALU_CYCLE_1)
	s_and_not1_b32 vcc_lo, exec_lo, s35
	s_mov_b32 s35, 0
	s_cbranch_vccnz .LBB54_260
; %bb.259:
	s_and_b32 s35, s26, exec_lo
	s_cselect_b32 s35, s27, s25
	s_delay_alu instid0(SALU_CYCLE_1)
	s_or_b32 s35, s35, s1
.LBB54_260:
	s_delay_alu instid0(SALU_CYCLE_1)
	v_mov_b32_e32 v2, s35
	global_store_b8 v[8:9], v2, off
.LBB54_261:
	s_mov_b32 s35, -1
.LBB54_262:
	s_mov_b32 s37, 0
.LBB54_263:
	s_delay_alu instid0(SALU_CYCLE_1)
	s_and_b32 vcc_lo, exec_lo, s37
	s_cbranch_vccz .LBB54_285
; %bb.264:
	v_cmp_lt_i16_e32 vcc_lo, 22, v17
	s_mov_b32 s37, -1
	s_cbranch_vccz .LBB54_277
; %bb.265:
	v_cmp_gt_i16_e32 vcc_lo, 24, v17
	s_mov_b32 s35, -1
	s_cbranch_vccnz .LBB54_274
; %bb.266:
	v_cmp_lt_i16_e32 vcc_lo, 24, v17
	s_cbranch_vccz .LBB54_271
; %bb.267:
	s_and_not1_b32 vcc_lo, exec_lo, s20
	s_movk_i32 s35, 0x80
	s_cbranch_vccnz .LBB54_270
; %bb.268:
	s_or_b32 s35, s13, s23
	s_delay_alu instid0(SALU_CYCLE_1)
	s_and_not1_b32 vcc_lo, exec_lo, s35
	s_mov_b32 s35, 0
	s_cbranch_vccnz .LBB54_270
; %bb.269:
	s_and_b32 s35, s13, exec_lo
	s_cselect_b32 s35, s18, s14
	s_delay_alu instid0(SALU_CYCLE_1)
	s_or_b32 s35, s35, s1
.LBB54_270:
	s_delay_alu instid0(SALU_CYCLE_1)
	v_mov_b32_e32 v2, s35
	s_mov_b32 s35, 0
	global_store_b8 v[8:9], v2, off
.LBB54_271:
	s_and_b32 vcc_lo, exec_lo, s35
	s_cbranch_vccz .LBB54_273
; %bb.272:
	s_and_b32 s35, s12, exec_lo
	s_cselect_b32 s35, s17, s15
	s_and_b32 s37, s11, exec_lo
	s_cselect_b32 s35, s24, s35
	s_delay_alu instid0(SALU_CYCLE_1) | instskip(NEXT) | instid1(SALU_CYCLE_1)
	s_or_b32 s35, s35, s1
	v_mov_b32_e32 v2, s35
	global_store_b8 v[8:9], v2, off
.LBB54_273:
	s_mov_b32 s35, 0
.LBB54_274:
	s_delay_alu instid0(SALU_CYCLE_1)
	s_and_not1_b32 vcc_lo, exec_lo, s35
	s_cbranch_vccnz .LBB54_276
; %bb.275:
	s_and_b32 s35, s10, exec_lo
	s_cselect_b32 s35, s22, s19
	s_and_b32 s37, s9, exec_lo
	s_cselect_b32 s35, s21, s35
	s_delay_alu instid0(SALU_CYCLE_1) | instskip(NEXT) | instid1(SALU_CYCLE_1)
	s_or_b32 s35, s35, s1
	v_mov_b32_e32 v2, s35
	global_store_b8 v[8:9], v2, off
.LBB54_276:
	s_mov_b32 s37, 0
	s_mov_b32 s35, -1
.LBB54_277:
	s_and_not1_b32 vcc_lo, exec_lo, s37
	s_cbranch_vccnz .LBB54_285
; %bb.278:
	v_cmp_lt_i16_e32 vcc_lo, 14, v17
	s_mov_b32 s37, -1
	s_cbranch_vccz .LBB54_282
; %bb.279:
	v_cmp_eq_u16_e32 vcc_lo, 15, v17
	s_mov_b32 s0, -1
	s_cbranch_vccz .LBB54_281
; %bb.280:
	v_mov_b32_e32 v2, s16
	s_mov_b32 s35, -1
	s_mov_b32 s0, 0
	global_store_b16 v[8:9], v2, off
.LBB54_281:
	s_mov_b32 s37, 0
.LBB54_282:
	s_delay_alu instid0(SALU_CYCLE_1)
	s_and_b32 vcc_lo, exec_lo, s37
	s_cbranch_vccz .LBB54_285
; %bb.283:
	v_cmp_eq_u16_e32 vcc_lo, 11, v17
	s_mov_b32 s0, -1
	s_cbranch_vccz .LBB54_285
; %bb.284:
	s_mov_b32 s35, -1
	s_mov_b32 s0, 0
	global_store_b8 v[8:9], v13, off
.LBB54_285:
	s_branch .LBB54_220
.LBB54_286:
	v_cmp_gt_i16_e32 vcc_lo, 5, v17
	s_mov_b32 s35, -1
	s_cbranch_vccnz .LBB54_307
; %bb.287:
	v_cmp_gt_i16_e32 vcc_lo, 8, v17
	s_cbranch_vccnz .LBB54_297
; %bb.288:
	v_cmp_gt_i16_e32 vcc_lo, 9, v17
	s_cbranch_vccnz .LBB54_294
; %bb.289:
	v_cmp_lt_i16_e32 vcc_lo, 9, v17
	s_cbranch_vccz .LBB54_291
; %bb.290:
	v_mov_b32_e32 v2, 0
	s_mov_b32 s35, 0
	s_delay_alu instid0(VALU_DEP_1)
	v_mov_b32_e32 v3, v2
	global_store_b128 v[8:9], v[0:3], off
.LBB54_291:
	s_and_not1_b32 vcc_lo, exec_lo, s35
	s_cbranch_vccnz .LBB54_293
; %bb.292:
	v_dual_mov_b32 v2, s7 :: v_dual_mov_b32 v3, 0
	global_store_b64 v[8:9], v[2:3], off
.LBB54_293:
	s_mov_b32 s35, 0
.LBB54_294:
	s_delay_alu instid0(SALU_CYCLE_1)
	s_and_not1_b32 vcc_lo, exec_lo, s35
	s_cbranch_vccnz .LBB54_296
; %bb.295:
	global_store_b32 v[8:9], v12, off
.LBB54_296:
	s_mov_b32 s35, 0
.LBB54_297:
	s_delay_alu instid0(SALU_CYCLE_1)
	s_and_not1_b32 vcc_lo, exec_lo, s35
	s_cbranch_vccnz .LBB54_306
; %bb.298:
	v_cmp_gt_i16_e32 vcc_lo, 6, v17
	s_mov_b32 s35, -1
	s_cbranch_vccnz .LBB54_304
; %bb.299:
	v_cmp_lt_i16_e32 vcc_lo, 6, v17
	s_cbranch_vccz .LBB54_301
; %bb.300:
	s_mov_b32 s35, 0
	global_store_b64 v[8:9], v[0:1], off
.LBB54_301:
	s_and_not1_b32 vcc_lo, exec_lo, s35
	s_cbranch_vccnz .LBB54_303
; %bb.302:
	v_mov_b32_e32 v2, s7
	global_store_b32 v[8:9], v2, off
.LBB54_303:
	s_mov_b32 s35, 0
.LBB54_304:
	s_delay_alu instid0(SALU_CYCLE_1)
	s_and_not1_b32 vcc_lo, exec_lo, s35
	s_cbranch_vccnz .LBB54_306
; %bb.305:
	global_store_b16 v[8:9], v11, off
.LBB54_306:
	s_mov_b32 s35, 0
.LBB54_307:
	s_delay_alu instid0(SALU_CYCLE_1)
	s_and_not1_b32 vcc_lo, exec_lo, s35
	s_cbranch_vccnz .LBB54_323
; %bb.308:
	v_cmp_gt_i16_e32 vcc_lo, 2, v17
	s_mov_b32 s35, -1
	s_cbranch_vccnz .LBB54_318
; %bb.309:
	v_cmp_gt_i16_e32 vcc_lo, 3, v17
	s_cbranch_vccnz .LBB54_315
; %bb.310:
	v_cmp_lt_i16_e32 vcc_lo, 3, v17
	s_cbranch_vccz .LBB54_312
; %bb.311:
	s_mov_b32 s35, 0
	global_store_b64 v[8:9], v[4:5], off
.LBB54_312:
	s_and_not1_b32 vcc_lo, exec_lo, s35
	s_cbranch_vccnz .LBB54_314
; %bb.313:
	global_store_b32 v[8:9], v10, off
.LBB54_314:
	s_mov_b32 s35, 0
.LBB54_315:
	s_delay_alu instid0(SALU_CYCLE_1)
	s_and_not1_b32 vcc_lo, exec_lo, s35
	s_cbranch_vccnz .LBB54_317
; %bb.316:
	global_store_b16 v[8:9], v10, off
.LBB54_317:
	s_mov_b32 s35, 0
.LBB54_318:
	s_delay_alu instid0(SALU_CYCLE_1)
	s_and_not1_b32 vcc_lo, exec_lo, s35
	s_cbranch_vccnz .LBB54_323
; %bb.319:
	v_cmp_lt_i16_e32 vcc_lo, 0, v17
	s_mov_b32 s35, -1
	s_cbranch_vccz .LBB54_321
; %bb.320:
	s_mov_b32 s35, 0
	global_store_b8 v[8:9], v10, off
.LBB54_321:
	s_and_not1_b32 vcc_lo, exec_lo, s35
	s_cbranch_vccnz .LBB54_323
; %bb.322:
	global_store_b8 v[8:9], v4, off
.LBB54_323:
	s_branch .LBB54_221
.LBB54_324:
	s_mov_b32 s37, 0
                                        ; implicit-def: $vgpr15
.LBB54_325:
	s_and_not1_b32 s35, s33, exec_lo
	s_and_b32 s0, s0, exec_lo
	s_or_not1_b32 s38, s37, exec_lo
	s_or_b32 s35, s35, s0
.LBB54_326:
	s_or_b32 exec_lo, exec_lo, s36
	s_mov_b32 s0, 0
	s_mov_b32 s37, 0
                                        ; implicit-def: $vgpr17
                                        ; implicit-def: $vgpr8_vgpr9
	s_and_saveexec_b32 s36, s38
	s_cbranch_execz .LBB54_882
; %bb.327:
	s_mov_b32 s40, -1
	s_mov_b32 s38, s35
	s_mov_b32 s37, exec_lo
	v_cmpx_gt_i32_e64 s31, v15
	s_cbranch_execz .LBB54_558
; %bb.328:
	v_mul_lo_u32 v2, v15, s6
	v_and_b32_e64 v17, 0xff, s8
	s_delay_alu instid0(VALU_DEP_1) | instskip(NEXT) | instid1(VALU_DEP_3)
	v_cmp_gt_i16_e32 vcc_lo, 11, v17
	v_ashrrev_i32_e32 v3, 31, v2
	v_add_co_u32 v8, s0, s4, v2
	s_delay_alu instid0(VALU_DEP_1)
	v_add_co_ci_u32_e64 v9, s0, s5, v3, s0
	s_cbranch_vccnz .LBB54_335
; %bb.329:
	v_cmp_lt_i16_e32 vcc_lo, 25, v17
	s_cbranch_vccz .LBB54_336
; %bb.330:
	v_cmp_lt_i16_e32 vcc_lo, 28, v17
	s_cbranch_vccz .LBB54_337
	;; [unrolled: 3-line block ×4, first 2 shown]
; %bb.333:
	v_cmp_eq_u16_e32 vcc_lo, 46, v17
	s_mov_b32 s39, 0
	s_mov_b32 s0, -1
	s_mov_b32 s38, 0
	s_cbranch_vccz .LBB54_470
; %bb.334:
	v_mov_b32_e32 v2, s16
	s_mov_b32 s38, -1
	s_mov_b32 s0, 0
	global_store_b32 v[8:9], v2, off
	s_branch .LBB54_470
.LBB54_335:
	s_mov_b32 s39, -1
	s_mov_b32 s38, 0
	s_mov_b32 s0, s35
	s_branch .LBB54_515
.LBB54_336:
	s_mov_b32 s39, -1
	s_mov_b32 s38, 0
	s_mov_b32 s0, s35
	s_branch .LBB54_492
.LBB54_337:
	s_mov_b32 s39, -1
	s_mov_b32 s38, 0
	s_mov_b32 s0, s35
	s_branch .LBB54_478
.LBB54_338:
	s_mov_b32 s39, -1
	s_mov_b32 s38, 0
	s_mov_b32 s0, s35
	s_branch .LBB54_474
.LBB54_339:
	s_mov_b32 s8, -1
	s_mov_b32 s3, 0
                                        ; implicit-def: $sgpr9
.LBB54_340:
	v_mov_b32_e32 v4, s9
	s_and_not1_b32 vcc_lo, exec_lo, s8
                                        ; implicit-def: $sgpr8
	s_cbranch_vccnz .LBB54_342
; %bb.341:
	v_add_f32_e64 v4, 0x42800000, |s7|
	s_mov_b32 s8, 0
	s_delay_alu instid0(VALU_DEP_1) | instskip(NEXT) | instid1(VALU_DEP_1)
	v_and_b32_e32 v4, 0xff, v4
	v_cmp_ne_u32_e64 s3, 0, v4
.LBB54_342:
	v_mov_b32_e32 v5, s8
	s_delay_alu instid0(VALU_DEP_2)
	s_and_not1_b32 vcc_lo, exec_lo, s3
	s_cbranch_vccnz .LBB54_344
; %bb.343:
	s_lshr_b32 s3, s7, 24
	s_delay_alu instid0(SALU_CYCLE_1) | instskip(NEXT) | instid1(SALU_CYCLE_1)
	s_and_b32 s3, s3, 0x80
	v_or_b32_e32 v5, s3, v4
.LBB54_344:
	s_mov_b32 s3, 0
	global_store_b8 v[0:1], v5, off
.LBB54_345:
	s_and_b32 vcc_lo, exec_lo, s3
	s_cbranch_vccz .LBB54_357
; %bb.346:
	s_and_b32 s3, s7, 0x7fffffff
	s_delay_alu instid0(SALU_CYCLE_1)
	s_cmp_lt_u32 s3, 0x43f00000
	s_cbranch_scc0 .LBB54_349
; %bb.347:
	s_cmp_gt_u32 s3, 0x3c7fffff
	s_cbranch_scc0 .LBB54_350
; %bb.348:
	s_bfe_u32 s8, s7, 0x10014
	s_delay_alu instid0(SALU_CYCLE_1) | instskip(NEXT) | instid1(SALU_CYCLE_1)
	s_add_i32 s8, s7, s8
	s_add_i32 s8, s8, 0x407ffff
	s_delay_alu instid0(SALU_CYCLE_1)
	s_and_b32 s9, s8, 0xff00000
	s_lshr_b32 s8, s8, 20
	s_cmp_lg_u32 s9, 0x7f00000
	s_cselect_b32 s9, s8, 0x7e
	s_mov_b32 s8, 0
	s_branch .LBB54_351
.LBB54_349:
	s_mov_b32 s8, -1
                                        ; implicit-def: $vgpr4
	s_branch .LBB54_354
.LBB54_350:
	s_mov_b32 s8, -1
                                        ; implicit-def: $sgpr9
.LBB54_351:
	v_mov_b32_e32 v4, s9
	s_and_not1_b32 vcc_lo, exec_lo, s8
	s_cbranch_vccnz .LBB54_353
; %bb.352:
	v_add_f32_e64 v4, 0x46800000, |s7|
.LBB54_353:
	s_mov_b32 s8, 0
.LBB54_354:
	s_delay_alu instid0(SALU_CYCLE_1)
	s_and_not1_b32 vcc_lo, exec_lo, s8
	s_cbranch_vccnz .LBB54_356
; %bb.355:
	s_cmp_gt_u32 s3, 0x7f800000
	s_movk_i32 s3, 0x7f
	s_delay_alu instid0(SALU_CYCLE_1) | instskip(NEXT) | instid1(SALU_CYCLE_1)
	s_cselect_b32 s3, s3, 0x7e
	v_mov_b32_e32 v4, s3
.LBB54_356:
	s_lshr_b32 s3, s7, 24
	s_delay_alu instid0(SALU_CYCLE_1)
	s_and_b32 s3, s3, 0x80
	s_delay_alu instid0(VALU_DEP_1) | instid1(SALU_CYCLE_1)
	v_or_b32_e32 v4, s3, v4
	global_store_b8 v[0:1], v4, off
.LBB54_357:
	s_mov_b32 s3, 0
.LBB54_358:
	s_delay_alu instid0(SALU_CYCLE_1)
	s_and_not1_b32 vcc_lo, exec_lo, s3
	s_cbranch_vccnz .LBB54_370
; %bb.359:
	s_and_b32 s3, s7, 0x7fffffff
	s_delay_alu instid0(SALU_CYCLE_1)
	s_cmp_lt_u32 s3, 0x47800000
	s_cbranch_scc0 .LBB54_362
; %bb.360:
	s_cmp_gt_u32 s3, 0x387fffff
	s_cbranch_scc0 .LBB54_363
; %bb.361:
	s_bfe_u32 s8, s7, 0x10015
	s_delay_alu instid0(SALU_CYCLE_1) | instskip(NEXT) | instid1(SALU_CYCLE_1)
	s_add_i32 s8, s7, s8
	s_add_i32 s8, s8, 0x80fffff
	s_delay_alu instid0(SALU_CYCLE_1)
	s_lshr_b32 s9, s8, 21
	s_mov_b32 s8, 0
	s_branch .LBB54_364
.LBB54_362:
	s_mov_b32 s8, -1
                                        ; implicit-def: $vgpr4
	s_branch .LBB54_367
.LBB54_363:
	s_mov_b32 s8, -1
                                        ; implicit-def: $sgpr9
.LBB54_364:
	v_mov_b32_e32 v4, s9
	s_and_not1_b32 vcc_lo, exec_lo, s8
	s_cbranch_vccnz .LBB54_366
; %bb.365:
	v_add_f32_e64 v4, 0x43000000, |s7|
.LBB54_366:
	s_mov_b32 s8, 0
.LBB54_367:
	s_delay_alu instid0(SALU_CYCLE_1)
	s_and_not1_b32 vcc_lo, exec_lo, s8
	s_cbranch_vccnz .LBB54_369
; %bb.368:
	s_cmp_gt_u32 s3, 0x7f800000
	s_movk_i32 s3, 0x7f
	s_delay_alu instid0(SALU_CYCLE_1) | instskip(NEXT) | instid1(SALU_CYCLE_1)
	s_cselect_b32 s3, s3, 0x7c
	v_mov_b32_e32 v4, s3
.LBB54_369:
	s_lshr_b32 s3, s7, 24
	s_delay_alu instid0(SALU_CYCLE_1)
	s_and_b32 s3, s3, 0x80
	s_delay_alu instid0(VALU_DEP_1) | instid1(SALU_CYCLE_1)
	v_or_b32_e32 v4, s3, v4
	global_store_b8 v[0:1], v4, off
.LBB54_370:
	s_mov_b32 s3, 0
	s_mov_b32 s9, -1
.LBB54_371:
	s_and_not1_b32 vcc_lo, exec_lo, s3
	s_mov_b32 s8, 0
	s_cbranch_vccnz .LBB54_378
; %bb.372:
	v_cmp_lt_i16_e32 vcc_lo, 14, v2
	s_mov_b32 s3, -1
	s_cbranch_vccz .LBB54_376
; %bb.373:
	v_cmp_eq_u16_e32 vcc_lo, 15, v2
	s_mov_b32 s0, -1
	s_cbranch_vccz .LBB54_375
; %bb.374:
	s_bfe_u32 s0, s7, 0x10010
	v_cmp_o_f32_e64 s3, s7, s7
	s_add_i32 s0, s7, s0
	s_mov_b32 s9, -1
	s_addk_i32 s0, 0x7fff
	s_delay_alu instid0(SALU_CYCLE_1) | instskip(SKIP_2) | instid1(SALU_CYCLE_1)
	s_lshr_b32 s0, s0, 16
	s_and_b32 s3, s3, exec_lo
	s_cselect_b32 s0, s0, 0x7fc0
	v_mov_b32_e32 v4, s0
	s_mov_b32 s0, 0
	global_store_b16 v[0:1], v4, off
.LBB54_375:
	s_mov_b32 s3, 0
.LBB54_376:
	s_delay_alu instid0(SALU_CYCLE_1)
	s_and_b32 vcc_lo, exec_lo, s3
	s_cbranch_vccz .LBB54_378
; %bb.377:
	v_cmp_ne_u16_e64 s0, 11, v2
	s_mov_b32 s8, -1
.LBB54_378:
	s_delay_alu instid0(VALU_DEP_1)
	s_and_b32 vcc_lo, exec_lo, s0
	s_mov_b32 s3, s1
	s_cbranch_vccnz .LBB54_450
; %bb.379:
	s_and_not1_b32 vcc_lo, exec_lo, s8
	s_cbranch_vccnz .LBB54_381
.LBB54_380:
	v_cmp_neq_f32_e64 s0, s7, 0
	s_mov_b32 s9, -1
	s_delay_alu instid0(VALU_DEP_1)
	v_cndmask_b32_e64 v4, 0, 1, s0
	global_store_b8 v[0:1], v4, off
.LBB54_381:
.LBB54_382:
	s_and_not1_b32 vcc_lo, exec_lo, s9
	s_cbranch_vccnz .LBB54_679
.LBB54_383:
	s_lshl_b32 s6, s6, 7
	v_cmp_gt_i16_e32 vcc_lo, 11, v2
	v_add_nc_u32_e32 v3, s6, v3
	s_delay_alu instid0(VALU_DEP_1) | instskip(SKIP_1) | instid1(VALU_DEP_1)
	v_ashrrev_i32_e32 v1, 31, v3
	v_add_co_u32 v0, s0, s4, v3
	v_add_co_ci_u32_e64 v1, s0, s5, v1, s0
	s_cbranch_vccnz .LBB54_411
; %bb.384:
	v_cmp_lt_i16_e32 vcc_lo, 25, v2
	s_mov_b32 s10, -1
	s_mov_b32 s8, 0
	s_mov_b32 s9, 0
	;; [unrolled: 1-line block ×3, first 2 shown]
	s_cbranch_vccz .LBB54_462
; %bb.385:
	v_cmp_lt_i16_e32 vcc_lo, 28, v2
	s_cbranch_vccz .LBB54_400
; %bb.386:
	v_cmp_lt_i16_e32 vcc_lo, 43, v2
	;; [unrolled: 3-line block ×3, first 2 shown]
	s_cbranch_vccz .LBB54_390
; %bb.388:
	v_cmp_eq_u16_e32 vcc_lo, 46, v2
	s_mov_b32 s0, -1
	s_mov_b32 s10, 0
	s_cbranch_vccz .LBB54_390
; %bb.389:
	s_bfe_u32 s0, s7, 0x10010
	v_cmp_o_f32_e64 s9, s7, s7
	s_add_i32 s0, s7, s0
	s_delay_alu instid0(SALU_CYCLE_1) | instskip(NEXT) | instid1(SALU_CYCLE_1)
	s_addk_i32 s0, 0x7fff
	s_lshr_b32 s0, s0, 16
	s_delay_alu instid0(VALU_DEP_1)
	s_and_b32 s9, s9, exec_lo
	s_cselect_b32 s0, s0, 0x7fc0
	s_mov_b32 s9, -1
	v_mov_b32_e32 v4, s0
	s_mov_b32 s0, 0
	global_store_b32 v[0:1], v4, off
.LBB54_390:
	s_and_b32 vcc_lo, exec_lo, s10
	s_cbranch_vccz .LBB54_395
; %bb.391:
	v_cmp_eq_u16_e32 vcc_lo, 44, v2
	s_mov_b32 s0, -1
	s_cbranch_vccz .LBB54_395
; %bb.392:
	v_mov_b32_e32 v4, 0xff
	s_bfe_u32 s0, s7, 0x80017
	s_delay_alu instid0(SALU_CYCLE_1)
	s_cmpk_eq_i32 s0, 0xff
	s_cbranch_scc1 .LBB54_394
; %bb.393:
	s_lshr_b32 s9, s7, 23
	s_bitcmp1_b32 s7, 22
	s_cselect_b32 s10, -1, 0
	s_and_b32 s11, s7, 0x3fffff
	s_delay_alu instid0(SALU_CYCLE_1) | instskip(NEXT) | instid1(SALU_CYCLE_1)
	s_or_b32 s0, s0, s11
	s_cmp_lg_u32 s0, 0
	s_cselect_b32 s0, -1, 0
	s_delay_alu instid0(SALU_CYCLE_1) | instskip(NEXT) | instid1(SALU_CYCLE_1)
	s_and_b32 s0, s10, s0
	v_cndmask_b32_e64 v4, 0, 1, s0
	s_delay_alu instid0(VALU_DEP_1)
	v_add_nc_u32_e32 v4, s9, v4
.LBB54_394:
	s_mov_b32 s0, 0
	s_mov_b32 s9, -1
	global_store_b8 v[0:1], v4, off
.LBB54_395:
	s_mov_b32 s10, 0
.LBB54_396:
	s_delay_alu instid0(SALU_CYCLE_1)
	s_and_b32 vcc_lo, exec_lo, s10
	s_cbranch_vccz .LBB54_399
; %bb.397:
	v_cmp_eq_u16_e32 vcc_lo, 29, v2
	s_mov_b32 s0, -1
	s_cbranch_vccz .LBB54_399
; %bb.398:
	v_trunc_f32_e32 v4, s7
	s_mov_b32 s0, 0
	s_mov_b32 s9, -1
	s_delay_alu instid0(VALU_DEP_1) | instskip(NEXT) | instid1(VALU_DEP_1)
	v_mul_f32_e32 v5, 0x2f800000, v4
	v_floor_f32_e32 v5, v5
	s_delay_alu instid0(VALU_DEP_1) | instskip(SKIP_1) | instid1(VALU_DEP_2)
	v_fmamk_f32 v4, v5, 0xcf800000, v4
	v_cvt_u32_f32_e32 v5, v5
	v_cvt_u32_f32_e32 v4, v4
	global_store_b64 v[0:1], v[4:5], off
.LBB54_399:
	s_mov_b32 s10, 0
.LBB54_400:
	s_delay_alu instid0(SALU_CYCLE_1)
	s_and_b32 vcc_lo, exec_lo, s10
	s_cbranch_vccz .LBB54_461
; %bb.401:
	v_cmp_gt_i16_e32 vcc_lo, 27, v2
	s_mov_b32 s9, -1
	s_cbranch_vccnz .LBB54_407
; %bb.402:
	v_cmp_lt_i16_e32 vcc_lo, 27, v2
	s_cbranch_vccz .LBB54_404
; %bb.403:
	v_cvt_u32_f32_e32 v4, s7
	s_mov_b32 s9, 0
	global_store_b32 v[0:1], v4, off
.LBB54_404:
	s_and_not1_b32 vcc_lo, exec_lo, s9
	s_cbranch_vccnz .LBB54_406
; %bb.405:
	v_cvt_u32_f32_e32 v4, s7
	global_store_b16 v[0:1], v4, off
.LBB54_406:
	s_mov_b32 s9, 0
.LBB54_407:
	s_delay_alu instid0(SALU_CYCLE_1)
	s_and_not1_b32 vcc_lo, exec_lo, s9
	s_cbranch_vccnz .LBB54_460
; %bb.408:
	v_mov_b32_e32 v5, 0x80
	s_and_b32 s9, s7, 0x7fffffff
	s_delay_alu instid0(SALU_CYCLE_1)
	s_cmp_gt_u32 s9, 0x437fffff
	s_cbranch_scc1 .LBB54_459
; %bb.409:
	s_cmp_gt_u32 s9, 0x3bffffff
	s_cbranch_scc0 .LBB54_454
; %bb.410:
	s_bfe_u32 s9, s7, 0x10014
	s_mov_b32 s10, 0
	s_add_i32 s9, s7, s9
	s_delay_alu instid0(SALU_CYCLE_1) | instskip(NEXT) | instid1(SALU_CYCLE_1)
	s_add_i32 s9, s9, 0x487ffff
	s_lshr_b32 s11, s9, 20
	s_mov_b32 s9, -1
	s_branch .LBB54_455
.LBB54_411:
	s_mov_b32 s9, 0
	s_cbranch_execz .LBB54_611
; %bb.412:
	v_cmp_gt_i16_e32 vcc_lo, 5, v2
	s_mov_b32 s0, -1
	s_cbranch_vccnz .LBB54_433
; %bb.413:
	v_cmp_gt_i16_e32 vcc_lo, 8, v2
	s_cbranch_vccnz .LBB54_423
; %bb.414:
	v_cmp_gt_i16_e32 vcc_lo, 9, v2
	s_cbranch_vccnz .LBB54_420
; %bb.415:
	v_cmp_lt_i16_e32 vcc_lo, 9, v2
	s_cbranch_vccz .LBB54_417
; %bb.416:
	v_cvt_f64_f32_e32 v[4:5], s7
	v_mov_b32_e32 v6, 0
	s_mov_b32 s0, 0
	s_delay_alu instid0(VALU_DEP_1)
	v_mov_b32_e32 v7, v6
	global_store_b128 v[0:1], v[4:7], off
.LBB54_417:
	s_and_not1_b32 vcc_lo, exec_lo, s0
	s_cbranch_vccnz .LBB54_419
; %bb.418:
	v_dual_mov_b32 v4, s7 :: v_dual_mov_b32 v5, 0
	global_store_b64 v[0:1], v[4:5], off
.LBB54_419:
	s_mov_b32 s0, 0
.LBB54_420:
	s_delay_alu instid0(SALU_CYCLE_1)
	s_and_not1_b32 vcc_lo, exec_lo, s0
	s_cbranch_vccnz .LBB54_422
; %bb.421:
	v_cvt_f16_f32_e32 v4, s7
	s_delay_alu instid0(VALU_DEP_1)
	v_and_b32_e32 v4, 0xffff, v4
	global_store_b32 v[0:1], v4, off
.LBB54_422:
	s_mov_b32 s0, 0
.LBB54_423:
	s_delay_alu instid0(SALU_CYCLE_1)
	s_and_not1_b32 vcc_lo, exec_lo, s0
	s_cbranch_vccnz .LBB54_432
; %bb.424:
	v_cmp_gt_i16_e32 vcc_lo, 6, v2
	s_mov_b32 s0, -1
	s_cbranch_vccnz .LBB54_430
; %bb.425:
	v_cmp_lt_i16_e32 vcc_lo, 6, v2
	s_cbranch_vccz .LBB54_427
; %bb.426:
	v_cvt_f64_f32_e32 v[4:5], s7
	s_mov_b32 s0, 0
	global_store_b64 v[0:1], v[4:5], off
.LBB54_427:
	s_and_not1_b32 vcc_lo, exec_lo, s0
	s_cbranch_vccnz .LBB54_429
; %bb.428:
	v_mov_b32_e32 v4, s7
	global_store_b32 v[0:1], v4, off
.LBB54_429:
	s_mov_b32 s0, 0
.LBB54_430:
	s_delay_alu instid0(SALU_CYCLE_1)
	s_and_not1_b32 vcc_lo, exec_lo, s0
	s_cbranch_vccnz .LBB54_432
; %bb.431:
	v_cvt_f16_f32_e32 v4, s7
	global_store_b16 v[0:1], v4, off
.LBB54_432:
	s_mov_b32 s0, 0
.LBB54_433:
	s_delay_alu instid0(SALU_CYCLE_1)
	s_and_not1_b32 vcc_lo, exec_lo, s0
	s_cbranch_vccnz .LBB54_449
; %bb.434:
	v_cmp_gt_i16_e32 vcc_lo, 2, v2
	s_mov_b32 s0, -1
	s_cbranch_vccnz .LBB54_444
; %bb.435:
	v_cmp_gt_i16_e32 vcc_lo, 3, v2
	s_cbranch_vccnz .LBB54_441
; %bb.436:
	v_cmp_lt_i16_e32 vcc_lo, 3, v2
	s_cbranch_vccz .LBB54_438
; %bb.437:
	v_trunc_f32_e32 v4, s7
	s_mov_b32 s0, 0
	s_delay_alu instid0(VALU_DEP_1) | instskip(SKIP_1) | instid1(VALU_DEP_2)
	v_mul_f32_e64 v5, 0x2f800000, |v4|
	v_ashrrev_i32_e32 v7, 31, v4
	v_floor_f32_e32 v5, v5
	s_delay_alu instid0(VALU_DEP_1) | instskip(SKIP_1) | instid1(VALU_DEP_2)
	v_fma_f32 v6, 0xcf800000, v5, |v4|
	v_cvt_u32_f32_e32 v5, v5
	v_cvt_u32_f32_e32 v4, v6
	s_delay_alu instid0(VALU_DEP_2) | instskip(NEXT) | instid1(VALU_DEP_2)
	v_xor_b32_e32 v5, v5, v7
	v_xor_b32_e32 v4, v4, v7
	s_delay_alu instid0(VALU_DEP_1) | instskip(NEXT) | instid1(VALU_DEP_3)
	v_sub_co_u32 v4, vcc_lo, v4, v7
	v_sub_co_ci_u32_e32 v5, vcc_lo, v5, v7, vcc_lo
	global_store_b64 v[0:1], v[4:5], off
.LBB54_438:
	s_and_not1_b32 vcc_lo, exec_lo, s0
	s_cbranch_vccnz .LBB54_440
; %bb.439:
	v_cvt_i32_f32_e32 v4, s7
	global_store_b32 v[0:1], v4, off
.LBB54_440:
	s_mov_b32 s0, 0
.LBB54_441:
	s_delay_alu instid0(SALU_CYCLE_1)
	s_and_not1_b32 vcc_lo, exec_lo, s0
	s_cbranch_vccnz .LBB54_443
; %bb.442:
	v_cvt_i32_f32_e32 v4, s7
	global_store_b16 v[0:1], v4, off
.LBB54_443:
	s_mov_b32 s0, 0
.LBB54_444:
	s_delay_alu instid0(SALU_CYCLE_1)
	s_and_not1_b32 vcc_lo, exec_lo, s0
	s_cbranch_vccnz .LBB54_449
; %bb.445:
	v_cmp_lt_i16_e32 vcc_lo, 0, v2
	s_mov_b32 s0, -1
	s_cbranch_vccz .LBB54_447
; %bb.446:
	v_cvt_i32_f32_e32 v4, s7
	s_mov_b32 s0, 0
	global_store_b8 v[0:1], v4, off
.LBB54_447:
	s_and_not1_b32 vcc_lo, exec_lo, s0
	s_cbranch_vccnz .LBB54_449
; %bb.448:
	v_trunc_f32_e32 v4, s7
	s_delay_alu instid0(VALU_DEP_1) | instskip(NEXT) | instid1(VALU_DEP_1)
	v_mul_f32_e64 v5, 0x2f800000, |v4|
	v_floor_f32_e32 v5, v5
	s_delay_alu instid0(VALU_DEP_1) | instskip(SKIP_1) | instid1(VALU_DEP_2)
	v_fma_f32 v5, 0xcf800000, v5, |v4|
	v_ashrrev_i32_e32 v4, 31, v4
	v_cvt_u32_f32_e32 v5, v5
	s_delay_alu instid0(VALU_DEP_1) | instskip(NEXT) | instid1(VALU_DEP_1)
	v_xor_b32_e32 v5, v5, v4
	v_sub_nc_u32_e32 v4, v5, v4
	global_store_b8 v[0:1], v4, off
.LBB54_449:
	s_branch .LBB54_612
.LBB54_450:
	s_cbranch_execnz .LBB54_452
; %bb.451:
	s_or_b32 s3, s1, exec_lo
	s_cbranch_execz .LBB54_380
	s_branch .LBB54_381
.LBB54_452:
	s_trap 2
	s_sendmsg_rtn_b32 s0, sendmsg(MSG_RTN_GET_DOORBELL)
	s_mov_b32 ttmp2, m0
	s_waitcnt lgkmcnt(0)
	s_and_b32 s0, s0, 0x3ff
	s_delay_alu instid0(SALU_CYCLE_1) | instskip(NEXT) | instid1(SALU_CYCLE_1)
	s_bitset1_b32 s0, 10
	s_mov_b32 m0, s0
	s_sendmsg sendmsg(MSG_INTERRUPT)
	s_mov_b32 m0, ttmp2
.LBB54_453:                             ; =>This Inner Loop Header: Depth=1
	s_sethalt 5
	s_branch .LBB54_453
.LBB54_454:
	s_mov_b32 s10, -1
	s_mov_b32 s9, 0
                                        ; implicit-def: $sgpr11
.LBB54_455:
	v_mov_b32_e32 v4, s11
	s_and_not1_b32 vcc_lo, exec_lo, s10
                                        ; implicit-def: $sgpr10
	s_cbranch_vccnz .LBB54_457
; %bb.456:
	v_add_f32_e64 v4, 0x46000000, |s7|
	s_mov_b32 s10, 0
	s_delay_alu instid0(VALU_DEP_1) | instskip(NEXT) | instid1(VALU_DEP_1)
	v_and_b32_e32 v4, 0xff, v4
	v_cmp_ne_u32_e64 s9, 0, v4
.LBB54_457:
	v_mov_b32_e32 v5, s10
	s_delay_alu instid0(VALU_DEP_2)
	s_and_not1_b32 vcc_lo, exec_lo, s9
	s_cbranch_vccnz .LBB54_459
; %bb.458:
	s_lshr_b32 s9, s7, 24
	s_delay_alu instid0(SALU_CYCLE_1) | instskip(NEXT) | instid1(SALU_CYCLE_1)
	s_and_b32 s9, s9, 0x80
	v_or_b32_e32 v5, s9, v4
.LBB54_459:
	global_store_b8 v[0:1], v5, off
.LBB54_460:
	s_mov_b32 s9, -1
.LBB54_461:
	s_mov_b32 s10, 0
.LBB54_462:
	s_delay_alu instid0(SALU_CYCLE_1)
	s_and_b32 vcc_lo, exec_lo, s10
	s_cbranch_vccz .LBB54_607
; %bb.463:
	v_cmp_lt_i16_e32 vcc_lo, 22, v2
	s_mov_b32 s8, -1
	s_cbranch_vccz .LBB54_600
; %bb.464:
	v_cmp_gt_i16_e32 vcc_lo, 24, v2
	s_cbranch_vccnz .LBB54_587
; %bb.465:
	v_cmp_lt_i16_e32 vcc_lo, 24, v2
	s_cbranch_vccz .LBB54_574
; %bb.466:
	v_mov_b32_e32 v5, 0x80
	s_and_b32 s8, s7, 0x7fffffff
	s_delay_alu instid0(SALU_CYCLE_1)
	s_cmp_gt_u32 s8, 0x477fffff
	s_cbranch_scc1 .LBB54_573
; %bb.467:
	s_cmp_gt_u32 s8, 0x37ffffff
	s_cbranch_scc0 .LBB54_568
; %bb.468:
	s_bfe_u32 s8, s7, 0x10015
	s_mov_b32 s9, 0
	s_add_i32 s8, s7, s8
	s_delay_alu instid0(SALU_CYCLE_1) | instskip(NEXT) | instid1(SALU_CYCLE_1)
	s_add_i32 s8, s8, 0x88fffff
	s_lshr_b32 s10, s8, 21
	s_mov_b32 s8, -1
	s_branch .LBB54_569
.LBB54_469:
	s_mov_b32 s39, -1
	s_mov_b32 s38, 0
	s_mov_b32 s0, s35
.LBB54_470:
	s_and_b32 vcc_lo, exec_lo, s39
	s_cbranch_vccz .LBB54_473
; %bb.471:
	v_cmp_eq_u16_e32 vcc_lo, 44, v17
	s_mov_b32 s0, -1
	s_cbranch_vccz .LBB54_473
; %bb.472:
	v_cndmask_b32_e64 v2, v16, 0xff, s30
	s_mov_b32 s38, -1
	s_mov_b32 s0, 0
	global_store_b8 v[8:9], v2, off
.LBB54_473:
	s_mov_b32 s39, 0
.LBB54_474:
	s_delay_alu instid0(SALU_CYCLE_1)
	s_and_b32 vcc_lo, exec_lo, s39
	s_cbranch_vccz .LBB54_477
; %bb.475:
	v_cmp_eq_u16_e32 vcc_lo, 29, v17
	s_mov_b32 s0, -1
	s_cbranch_vccz .LBB54_477
; %bb.476:
	s_mov_b32 s38, -1
	s_mov_b32 s0, 0
	global_store_b64 v[8:9], v[6:7], off
.LBB54_477:
	s_mov_b32 s39, 0
.LBB54_478:
	s_delay_alu instid0(SALU_CYCLE_1)
	s_and_b32 vcc_lo, exec_lo, s39
	s_cbranch_vccz .LBB54_491
; %bb.479:
	v_cmp_gt_i16_e32 vcc_lo, 27, v17
	s_mov_b32 s38, -1
	s_cbranch_vccnz .LBB54_485
; %bb.480:
	v_cmp_lt_i16_e32 vcc_lo, 27, v17
	s_cbranch_vccz .LBB54_482
; %bb.481:
	s_mov_b32 s38, 0
	global_store_b32 v[8:9], v14, off
.LBB54_482:
	s_and_not1_b32 vcc_lo, exec_lo, s38
	s_cbranch_vccnz .LBB54_484
; %bb.483:
	global_store_b16 v[8:9], v14, off
.LBB54_484:
	s_mov_b32 s38, 0
.LBB54_485:
	s_delay_alu instid0(SALU_CYCLE_1)
	s_and_not1_b32 vcc_lo, exec_lo, s38
	s_cbranch_vccnz .LBB54_490
; %bb.486:
	s_and_not1_b32 vcc_lo, exec_lo, s28
	s_movk_i32 s38, 0x80
	s_cbranch_vccnz .LBB54_489
; %bb.487:
	s_or_b32 s38, s26, s29
	s_delay_alu instid0(SALU_CYCLE_1)
	s_and_not1_b32 vcc_lo, exec_lo, s38
	s_mov_b32 s38, 0
	s_cbranch_vccnz .LBB54_489
; %bb.488:
	s_and_b32 s38, s26, exec_lo
	s_cselect_b32 s38, s27, s25
	s_delay_alu instid0(SALU_CYCLE_1)
	s_or_b32 s38, s38, s1
.LBB54_489:
	s_delay_alu instid0(SALU_CYCLE_1)
	v_mov_b32_e32 v2, s38
	global_store_b8 v[8:9], v2, off
.LBB54_490:
	s_mov_b32 s38, -1
.LBB54_491:
	s_mov_b32 s39, 0
.LBB54_492:
	s_delay_alu instid0(SALU_CYCLE_1)
	s_and_b32 vcc_lo, exec_lo, s39
	s_cbranch_vccz .LBB54_514
; %bb.493:
	v_cmp_lt_i16_e32 vcc_lo, 22, v17
	s_mov_b32 s39, -1
	s_cbranch_vccz .LBB54_506
; %bb.494:
	v_cmp_gt_i16_e32 vcc_lo, 24, v17
	s_mov_b32 s38, -1
	s_cbranch_vccnz .LBB54_503
; %bb.495:
	v_cmp_lt_i16_e32 vcc_lo, 24, v17
	s_cbranch_vccz .LBB54_500
; %bb.496:
	s_and_not1_b32 vcc_lo, exec_lo, s20
	s_movk_i32 s38, 0x80
	s_cbranch_vccnz .LBB54_499
; %bb.497:
	s_or_b32 s38, s13, s23
	s_delay_alu instid0(SALU_CYCLE_1)
	s_and_not1_b32 vcc_lo, exec_lo, s38
	s_mov_b32 s38, 0
	s_cbranch_vccnz .LBB54_499
; %bb.498:
	s_and_b32 s38, s13, exec_lo
	s_cselect_b32 s38, s18, s14
	s_delay_alu instid0(SALU_CYCLE_1)
	s_or_b32 s38, s38, s1
.LBB54_499:
	s_delay_alu instid0(SALU_CYCLE_1)
	v_mov_b32_e32 v2, s38
	s_mov_b32 s38, 0
	global_store_b8 v[8:9], v2, off
.LBB54_500:
	s_and_b32 vcc_lo, exec_lo, s38
	s_cbranch_vccz .LBB54_502
; %bb.501:
	s_and_b32 s38, s12, exec_lo
	s_cselect_b32 s38, s17, s15
	s_and_b32 s39, s11, exec_lo
	s_cselect_b32 s38, s24, s38
	s_delay_alu instid0(SALU_CYCLE_1) | instskip(NEXT) | instid1(SALU_CYCLE_1)
	s_or_b32 s38, s38, s1
	v_mov_b32_e32 v2, s38
	global_store_b8 v[8:9], v2, off
.LBB54_502:
	s_mov_b32 s38, 0
.LBB54_503:
	s_delay_alu instid0(SALU_CYCLE_1)
	s_and_not1_b32 vcc_lo, exec_lo, s38
	s_cbranch_vccnz .LBB54_505
; %bb.504:
	s_and_b32 s38, s10, exec_lo
	s_cselect_b32 s38, s22, s19
	s_and_b32 s39, s9, exec_lo
	s_cselect_b32 s38, s21, s38
	s_delay_alu instid0(SALU_CYCLE_1) | instskip(NEXT) | instid1(SALU_CYCLE_1)
	s_or_b32 s38, s38, s1
	v_mov_b32_e32 v2, s38
	global_store_b8 v[8:9], v2, off
.LBB54_505:
	s_mov_b32 s39, 0
	s_mov_b32 s38, -1
.LBB54_506:
	s_and_not1_b32 vcc_lo, exec_lo, s39
	s_cbranch_vccnz .LBB54_514
; %bb.507:
	v_cmp_lt_i16_e32 vcc_lo, 14, v17
	s_mov_b32 s39, -1
	s_cbranch_vccz .LBB54_511
; %bb.508:
	v_cmp_eq_u16_e32 vcc_lo, 15, v17
	s_mov_b32 s0, -1
	s_cbranch_vccz .LBB54_510
; %bb.509:
	v_mov_b32_e32 v2, s16
	s_mov_b32 s38, -1
	s_mov_b32 s0, 0
	global_store_b16 v[8:9], v2, off
.LBB54_510:
	s_mov_b32 s39, 0
.LBB54_511:
	s_delay_alu instid0(SALU_CYCLE_1)
	s_and_b32 vcc_lo, exec_lo, s39
	s_cbranch_vccz .LBB54_514
; %bb.512:
	v_cmp_eq_u16_e32 vcc_lo, 11, v17
	s_mov_b32 s0, -1
	s_cbranch_vccz .LBB54_514
; %bb.513:
	s_mov_b32 s38, -1
	s_mov_b32 s0, 0
	global_store_b8 v[8:9], v13, off
.LBB54_514:
	s_mov_b32 s39, 0
.LBB54_515:
	s_delay_alu instid0(SALU_CYCLE_1)
	s_and_b32 vcc_lo, exec_lo, s39
	s_cbranch_vccz .LBB54_554
; %bb.516:
	v_cmp_gt_i16_e32 vcc_lo, 5, v17
	s_mov_b32 s38, -1
	s_cbranch_vccnz .LBB54_537
; %bb.517:
	v_cmp_gt_i16_e32 vcc_lo, 8, v17
	s_cbranch_vccnz .LBB54_527
; %bb.518:
	v_cmp_gt_i16_e32 vcc_lo, 9, v17
	s_cbranch_vccnz .LBB54_524
; %bb.519:
	v_cmp_lt_i16_e32 vcc_lo, 9, v17
	s_cbranch_vccz .LBB54_521
; %bb.520:
	v_mov_b32_e32 v2, 0
	s_mov_b32 s38, 0
	s_delay_alu instid0(VALU_DEP_1)
	v_mov_b32_e32 v3, v2
	global_store_b128 v[8:9], v[0:3], off
.LBB54_521:
	s_and_not1_b32 vcc_lo, exec_lo, s38
	s_cbranch_vccnz .LBB54_523
; %bb.522:
	v_dual_mov_b32 v2, s7 :: v_dual_mov_b32 v3, 0
	global_store_b64 v[8:9], v[2:3], off
.LBB54_523:
	s_mov_b32 s38, 0
.LBB54_524:
	s_delay_alu instid0(SALU_CYCLE_1)
	s_and_not1_b32 vcc_lo, exec_lo, s38
	s_cbranch_vccnz .LBB54_526
; %bb.525:
	global_store_b32 v[8:9], v12, off
.LBB54_526:
	s_mov_b32 s38, 0
.LBB54_527:
	s_delay_alu instid0(SALU_CYCLE_1)
	s_and_not1_b32 vcc_lo, exec_lo, s38
	s_cbranch_vccnz .LBB54_536
; %bb.528:
	v_cmp_gt_i16_e32 vcc_lo, 6, v17
	s_mov_b32 s38, -1
	s_cbranch_vccnz .LBB54_534
; %bb.529:
	v_cmp_lt_i16_e32 vcc_lo, 6, v17
	s_cbranch_vccz .LBB54_531
; %bb.530:
	s_mov_b32 s38, 0
	global_store_b64 v[8:9], v[0:1], off
.LBB54_531:
	s_and_not1_b32 vcc_lo, exec_lo, s38
	s_cbranch_vccnz .LBB54_533
; %bb.532:
	v_mov_b32_e32 v2, s7
	global_store_b32 v[8:9], v2, off
.LBB54_533:
	s_mov_b32 s38, 0
.LBB54_534:
	s_delay_alu instid0(SALU_CYCLE_1)
	s_and_not1_b32 vcc_lo, exec_lo, s38
	s_cbranch_vccnz .LBB54_536
; %bb.535:
	global_store_b16 v[8:9], v11, off
.LBB54_536:
	s_mov_b32 s38, 0
.LBB54_537:
	s_delay_alu instid0(SALU_CYCLE_1)
	s_and_not1_b32 vcc_lo, exec_lo, s38
	s_cbranch_vccnz .LBB54_553
; %bb.538:
	v_cmp_gt_i16_e32 vcc_lo, 2, v17
	s_mov_b32 s38, -1
	s_cbranch_vccnz .LBB54_548
; %bb.539:
	v_cmp_gt_i16_e32 vcc_lo, 3, v17
	s_cbranch_vccnz .LBB54_545
; %bb.540:
	v_cmp_lt_i16_e32 vcc_lo, 3, v17
	s_cbranch_vccz .LBB54_542
; %bb.541:
	s_mov_b32 s38, 0
	global_store_b64 v[8:9], v[4:5], off
.LBB54_542:
	s_and_not1_b32 vcc_lo, exec_lo, s38
	s_cbranch_vccnz .LBB54_544
; %bb.543:
	global_store_b32 v[8:9], v10, off
.LBB54_544:
	s_mov_b32 s38, 0
.LBB54_545:
	s_delay_alu instid0(SALU_CYCLE_1)
	s_and_not1_b32 vcc_lo, exec_lo, s38
	s_cbranch_vccnz .LBB54_547
; %bb.546:
	global_store_b16 v[8:9], v10, off
.LBB54_547:
	s_mov_b32 s38, 0
.LBB54_548:
	s_delay_alu instid0(SALU_CYCLE_1)
	s_and_not1_b32 vcc_lo, exec_lo, s38
	s_cbranch_vccnz .LBB54_553
; %bb.549:
	v_cmp_lt_i16_e32 vcc_lo, 0, v17
	s_mov_b32 s38, -1
	s_cbranch_vccz .LBB54_551
; %bb.550:
	s_mov_b32 s38, 0
	global_store_b8 v[8:9], v10, off
.LBB54_551:
	s_and_not1_b32 vcc_lo, exec_lo, s38
	s_cbranch_vccnz .LBB54_553
; %bb.552:
	global_store_b8 v[8:9], v4, off
.LBB54_553:
	s_mov_b32 s38, -1
.LBB54_554:
	s_delay_alu instid0(SALU_CYCLE_1)
	s_and_not1_b32 vcc_lo, exec_lo, s38
	s_cbranch_vccnz .LBB54_556
; %bb.555:
	v_add_nc_u32_e32 v15, 0x80, v15
	s_mov_b32 s39, -1
	s_branch .LBB54_557
.LBB54_556:
	s_mov_b32 s39, 0
                                        ; implicit-def: $vgpr15
.LBB54_557:
	s_and_not1_b32 s38, s35, exec_lo
	s_and_b32 s0, s0, exec_lo
	s_or_not1_b32 s40, s39, exec_lo
	s_or_b32 s38, s38, s0
.LBB54_558:
	s_or_b32 exec_lo, exec_lo, s37
	s_mov_b32 s0, 0
	s_mov_b32 s39, 0
                                        ; implicit-def: $vgpr17
                                        ; implicit-def: $vgpr8_vgpr9
	s_and_saveexec_b32 s37, s40
	s_cbranch_execz .LBB54_881
; %bb.559:
	v_cmp_gt_i32_e32 vcc_lo, s31, v15
	s_mov_b32 s40, s38
                                        ; implicit-def: $vgpr17
                                        ; implicit-def: $vgpr8_vgpr9
	s_and_saveexec_b32 s31, vcc_lo
	s_cbranch_execz .LBB54_880
; %bb.560:
	v_mul_lo_u32 v2, v15, s6
	v_and_b32_e64 v17, 0xff, s8
	s_delay_alu instid0(VALU_DEP_1) | instskip(NEXT) | instid1(VALU_DEP_3)
	v_cmp_gt_i16_e32 vcc_lo, 11, v17
	v_ashrrev_i32_e32 v3, 31, v2
	v_add_co_u32 v8, s0, s4, v2
	s_delay_alu instid0(VALU_DEP_1)
	v_add_co_ci_u32_e64 v9, s0, s5, v3, s0
	s_cbranch_vccnz .LBB54_567
; %bb.561:
	v_cmp_lt_i16_e32 vcc_lo, 25, v17
	s_mov_b32 s39, -1
	s_mov_b32 s0, s38
	s_cbranch_vccz .LBB54_857
; %bb.562:
	v_cmp_lt_i16_e32 vcc_lo, 28, v17
	s_mov_b32 s0, s38
	s_cbranch_vccz .LBB54_844
; %bb.563:
	v_cmp_lt_i16_e32 vcc_lo, 43, v17
	;; [unrolled: 4-line block ×3, first 2 shown]
	s_mov_b32 s0, s38
	s_cbranch_vccz .LBB54_836
; %bb.565:
	v_cmp_eq_u16_e32 vcc_lo, 46, v17
	s_mov_b32 s0, -1
	s_cbranch_vccz .LBB54_835
; %bb.566:
	v_mov_b32_e32 v2, s16
	s_mov_b32 s0, 0
	s_mov_b32 s39, 0
	global_store_b32 v[8:9], v2, off
	s_branch .LBB54_836
.LBB54_567:
	s_mov_b32 s1, 0
	s_mov_b32 s25, -1
	s_mov_b32 s0, s38
	s_branch .LBB54_879
.LBB54_568:
	s_mov_b32 s9, -1
	s_mov_b32 s8, 0
                                        ; implicit-def: $sgpr10
.LBB54_569:
	v_mov_b32_e32 v4, s10
	s_and_not1_b32 vcc_lo, exec_lo, s9
                                        ; implicit-def: $sgpr9
	s_cbranch_vccnz .LBB54_571
; %bb.570:
	v_add_f32_e64 v4, 0x42800000, |s7|
	s_mov_b32 s9, 0
	s_delay_alu instid0(VALU_DEP_1) | instskip(NEXT) | instid1(VALU_DEP_1)
	v_and_b32_e32 v4, 0xff, v4
	v_cmp_ne_u32_e64 s8, 0, v4
.LBB54_571:
	v_mov_b32_e32 v5, s9
	s_delay_alu instid0(VALU_DEP_2)
	s_and_not1_b32 vcc_lo, exec_lo, s8
	s_cbranch_vccnz .LBB54_573
; %bb.572:
	s_lshr_b32 s8, s7, 24
	s_delay_alu instid0(SALU_CYCLE_1) | instskip(NEXT) | instid1(SALU_CYCLE_1)
	s_and_b32 s8, s8, 0x80
	v_or_b32_e32 v5, s8, v4
.LBB54_573:
	s_mov_b32 s8, 0
	global_store_b8 v[0:1], v5, off
.LBB54_574:
	s_and_b32 vcc_lo, exec_lo, s8
	s_cbranch_vccz .LBB54_586
; %bb.575:
	s_and_b32 s8, s7, 0x7fffffff
	s_delay_alu instid0(SALU_CYCLE_1)
	s_cmp_lt_u32 s8, 0x43f00000
	s_cbranch_scc0 .LBB54_578
; %bb.576:
	s_cmp_gt_u32 s8, 0x3c7fffff
	s_cbranch_scc0 .LBB54_579
; %bb.577:
	s_bfe_u32 s9, s7, 0x10014
	s_delay_alu instid0(SALU_CYCLE_1) | instskip(NEXT) | instid1(SALU_CYCLE_1)
	s_add_i32 s9, s7, s9
	s_add_i32 s9, s9, 0x407ffff
	s_delay_alu instid0(SALU_CYCLE_1)
	s_and_b32 s10, s9, 0xff00000
	s_lshr_b32 s9, s9, 20
	s_cmp_lg_u32 s10, 0x7f00000
	s_cselect_b32 s10, s9, 0x7e
	s_mov_b32 s9, 0
	s_branch .LBB54_580
.LBB54_578:
	s_mov_b32 s9, -1
                                        ; implicit-def: $vgpr4
	s_branch .LBB54_583
.LBB54_579:
	s_mov_b32 s9, -1
                                        ; implicit-def: $sgpr10
.LBB54_580:
	v_mov_b32_e32 v4, s10
	s_and_not1_b32 vcc_lo, exec_lo, s9
	s_cbranch_vccnz .LBB54_582
; %bb.581:
	v_add_f32_e64 v4, 0x46800000, |s7|
.LBB54_582:
	s_mov_b32 s9, 0
.LBB54_583:
	s_delay_alu instid0(SALU_CYCLE_1)
	s_and_not1_b32 vcc_lo, exec_lo, s9
	s_cbranch_vccnz .LBB54_585
; %bb.584:
	s_cmp_gt_u32 s8, 0x7f800000
	s_movk_i32 s8, 0x7f
	s_delay_alu instid0(SALU_CYCLE_1) | instskip(NEXT) | instid1(SALU_CYCLE_1)
	s_cselect_b32 s8, s8, 0x7e
	v_mov_b32_e32 v4, s8
.LBB54_585:
	s_lshr_b32 s8, s7, 24
	s_delay_alu instid0(SALU_CYCLE_1)
	s_and_b32 s8, s8, 0x80
	s_delay_alu instid0(VALU_DEP_1) | instid1(SALU_CYCLE_1)
	v_or_b32_e32 v4, s8, v4
	global_store_b8 v[0:1], v4, off
.LBB54_586:
	s_mov_b32 s8, 0
.LBB54_587:
	s_delay_alu instid0(SALU_CYCLE_1)
	s_and_not1_b32 vcc_lo, exec_lo, s8
	s_cbranch_vccnz .LBB54_599
; %bb.588:
	s_and_b32 s8, s7, 0x7fffffff
	s_delay_alu instid0(SALU_CYCLE_1)
	s_cmp_lt_u32 s8, 0x47800000
	s_cbranch_scc0 .LBB54_591
; %bb.589:
	s_cmp_gt_u32 s8, 0x387fffff
	s_cbranch_scc0 .LBB54_592
; %bb.590:
	s_bfe_u32 s9, s7, 0x10015
	s_delay_alu instid0(SALU_CYCLE_1) | instskip(NEXT) | instid1(SALU_CYCLE_1)
	s_add_i32 s9, s7, s9
	s_add_i32 s9, s9, 0x80fffff
	s_delay_alu instid0(SALU_CYCLE_1)
	s_lshr_b32 s10, s9, 21
	s_mov_b32 s9, 0
	s_branch .LBB54_593
.LBB54_591:
	s_mov_b32 s9, -1
                                        ; implicit-def: $vgpr4
	s_branch .LBB54_596
.LBB54_592:
	s_mov_b32 s9, -1
                                        ; implicit-def: $sgpr10
.LBB54_593:
	v_mov_b32_e32 v4, s10
	s_and_not1_b32 vcc_lo, exec_lo, s9
	s_cbranch_vccnz .LBB54_595
; %bb.594:
	v_add_f32_e64 v4, 0x43000000, |s7|
.LBB54_595:
	s_mov_b32 s9, 0
.LBB54_596:
	s_delay_alu instid0(SALU_CYCLE_1)
	s_and_not1_b32 vcc_lo, exec_lo, s9
	s_cbranch_vccnz .LBB54_598
; %bb.597:
	s_cmp_gt_u32 s8, 0x7f800000
	s_movk_i32 s8, 0x7f
	s_delay_alu instid0(SALU_CYCLE_1) | instskip(NEXT) | instid1(SALU_CYCLE_1)
	s_cselect_b32 s8, s8, 0x7c
	v_mov_b32_e32 v4, s8
.LBB54_598:
	s_lshr_b32 s8, s7, 24
	s_delay_alu instid0(SALU_CYCLE_1)
	s_and_b32 s8, s8, 0x80
	s_delay_alu instid0(VALU_DEP_1) | instid1(SALU_CYCLE_1)
	v_or_b32_e32 v4, s8, v4
	global_store_b8 v[0:1], v4, off
.LBB54_599:
	s_mov_b32 s8, 0
	s_mov_b32 s9, -1
.LBB54_600:
	s_and_not1_b32 vcc_lo, exec_lo, s8
	s_mov_b32 s8, 0
	s_cbranch_vccnz .LBB54_607
; %bb.601:
	v_cmp_lt_i16_e32 vcc_lo, 14, v2
	s_mov_b32 s8, -1
	s_cbranch_vccz .LBB54_605
; %bb.602:
	v_cmp_eq_u16_e32 vcc_lo, 15, v2
	s_mov_b32 s0, -1
	s_cbranch_vccz .LBB54_604
; %bb.603:
	s_bfe_u32 s0, s7, 0x10010
	v_cmp_o_f32_e64 s8, s7, s7
	s_add_i32 s0, s7, s0
	s_mov_b32 s9, -1
	s_addk_i32 s0, 0x7fff
	s_delay_alu instid0(SALU_CYCLE_1) | instskip(SKIP_2) | instid1(SALU_CYCLE_1)
	s_lshr_b32 s0, s0, 16
	s_and_b32 s8, s8, exec_lo
	s_cselect_b32 s0, s0, 0x7fc0
	v_mov_b32_e32 v4, s0
	s_mov_b32 s0, 0
	global_store_b16 v[0:1], v4, off
.LBB54_604:
	s_mov_b32 s8, 0
.LBB54_605:
	s_delay_alu instid0(SALU_CYCLE_1)
	s_and_b32 vcc_lo, exec_lo, s8
	s_mov_b32 s8, 0
	s_cbranch_vccz .LBB54_607
; %bb.606:
	v_cmp_ne_u16_e64 s0, 11, v2
	s_mov_b32 s8, -1
.LBB54_607:
	s_delay_alu instid0(VALU_DEP_1)
	s_and_b32 vcc_lo, exec_lo, s0
	s_cbranch_vccnz .LBB54_724
; %bb.608:
	s_and_not1_b32 vcc_lo, exec_lo, s8
	s_cbranch_vccnz .LBB54_610
.LBB54_609:
	v_cmp_neq_f32_e64 s0, s7, 0
	s_mov_b32 s9, -1
	s_delay_alu instid0(VALU_DEP_1)
	v_cndmask_b32_e64 v4, 0, 1, s0
	global_store_b8 v[0:1], v4, off
.LBB54_610:
.LBB54_611:
	s_and_not1_b32 vcc_lo, exec_lo, s9
	s_cbranch_vccnz .LBB54_679
.LBB54_612:
	v_add_nc_u32_e32 v3, s6, v3
	v_cmp_gt_i16_e32 vcc_lo, 11, v2
	s_delay_alu instid0(VALU_DEP_2) | instskip(SKIP_1) | instid1(VALU_DEP_1)
	v_ashrrev_i32_e32 v1, 31, v3
	v_add_co_u32 v0, s0, s4, v3
	v_add_co_ci_u32_e64 v1, s0, s5, v1, s0
	s_cbranch_vccnz .LBB54_640
; %bb.613:
	v_cmp_lt_i16_e32 vcc_lo, 25, v2
	s_mov_b32 s10, -1
	s_mov_b32 s8, 0
	s_mov_b32 s9, 0
	;; [unrolled: 1-line block ×3, first 2 shown]
	s_cbranch_vccz .LBB54_736
; %bb.614:
	v_cmp_lt_i16_e32 vcc_lo, 28, v2
	s_cbranch_vccz .LBB54_629
; %bb.615:
	v_cmp_lt_i16_e32 vcc_lo, 43, v2
	s_cbranch_vccz .LBB54_625
; %bb.616:
	v_cmp_lt_i16_e32 vcc_lo, 45, v2
	s_cbranch_vccz .LBB54_619
; %bb.617:
	v_cmp_eq_u16_e32 vcc_lo, 46, v2
	s_mov_b32 s0, -1
	s_mov_b32 s10, 0
	s_cbranch_vccz .LBB54_619
; %bb.618:
	s_bfe_u32 s0, s7, 0x10010
	v_cmp_o_f32_e64 s9, s7, s7
	s_add_i32 s0, s7, s0
	s_delay_alu instid0(SALU_CYCLE_1) | instskip(NEXT) | instid1(SALU_CYCLE_1)
	s_addk_i32 s0, 0x7fff
	s_lshr_b32 s0, s0, 16
	s_delay_alu instid0(VALU_DEP_1)
	s_and_b32 s9, s9, exec_lo
	s_cselect_b32 s0, s0, 0x7fc0
	s_mov_b32 s9, -1
	v_mov_b32_e32 v4, s0
	s_mov_b32 s0, 0
	global_store_b32 v[0:1], v4, off
.LBB54_619:
	s_and_b32 vcc_lo, exec_lo, s10
	s_cbranch_vccz .LBB54_624
; %bb.620:
	v_cmp_eq_u16_e32 vcc_lo, 44, v2
	s_mov_b32 s0, -1
	s_cbranch_vccz .LBB54_624
; %bb.621:
	v_mov_b32_e32 v4, 0xff
	s_bfe_u32 s0, s7, 0x80017
	s_delay_alu instid0(SALU_CYCLE_1)
	s_cmpk_eq_i32 s0, 0xff
	s_cbranch_scc1 .LBB54_623
; %bb.622:
	s_lshr_b32 s9, s7, 23
	s_bitcmp1_b32 s7, 22
	s_cselect_b32 s10, -1, 0
	s_and_b32 s11, s7, 0x3fffff
	s_delay_alu instid0(SALU_CYCLE_1) | instskip(NEXT) | instid1(SALU_CYCLE_1)
	s_or_b32 s0, s0, s11
	s_cmp_lg_u32 s0, 0
	s_cselect_b32 s0, -1, 0
	s_delay_alu instid0(SALU_CYCLE_1) | instskip(NEXT) | instid1(SALU_CYCLE_1)
	s_and_b32 s0, s10, s0
	v_cndmask_b32_e64 v4, 0, 1, s0
	s_delay_alu instid0(VALU_DEP_1)
	v_add_nc_u32_e32 v4, s9, v4
.LBB54_623:
	s_mov_b32 s0, 0
	s_mov_b32 s9, -1
	global_store_b8 v[0:1], v4, off
.LBB54_624:
	s_mov_b32 s10, 0
.LBB54_625:
	s_delay_alu instid0(SALU_CYCLE_1)
	s_and_b32 vcc_lo, exec_lo, s10
	s_cbranch_vccz .LBB54_628
; %bb.626:
	v_cmp_eq_u16_e32 vcc_lo, 29, v2
	s_mov_b32 s0, -1
	s_cbranch_vccz .LBB54_628
; %bb.627:
	v_trunc_f32_e32 v4, s7
	s_mov_b32 s0, 0
	s_mov_b32 s9, -1
	s_delay_alu instid0(VALU_DEP_1) | instskip(NEXT) | instid1(VALU_DEP_1)
	v_mul_f32_e32 v5, 0x2f800000, v4
	v_floor_f32_e32 v5, v5
	s_delay_alu instid0(VALU_DEP_1) | instskip(SKIP_1) | instid1(VALU_DEP_2)
	v_fmamk_f32 v4, v5, 0xcf800000, v4
	v_cvt_u32_f32_e32 v5, v5
	v_cvt_u32_f32_e32 v4, v4
	global_store_b64 v[0:1], v[4:5], off
.LBB54_628:
	s_mov_b32 s10, 0
.LBB54_629:
	s_delay_alu instid0(SALU_CYCLE_1)
	s_and_b32 vcc_lo, exec_lo, s10
	s_cbranch_vccz .LBB54_735
; %bb.630:
	v_cmp_gt_i16_e32 vcc_lo, 27, v2
	s_mov_b32 s9, -1
	s_cbranch_vccnz .LBB54_636
; %bb.631:
	v_cmp_lt_i16_e32 vcc_lo, 27, v2
	s_cbranch_vccz .LBB54_633
; %bb.632:
	v_cvt_u32_f32_e32 v4, s7
	s_mov_b32 s9, 0
	global_store_b32 v[0:1], v4, off
.LBB54_633:
	s_and_not1_b32 vcc_lo, exec_lo, s9
	s_cbranch_vccnz .LBB54_635
; %bb.634:
	v_cvt_u32_f32_e32 v4, s7
	global_store_b16 v[0:1], v4, off
.LBB54_635:
	s_mov_b32 s9, 0
.LBB54_636:
	s_delay_alu instid0(SALU_CYCLE_1)
	s_and_not1_b32 vcc_lo, exec_lo, s9
	s_cbranch_vccnz .LBB54_734
; %bb.637:
	v_mov_b32_e32 v5, 0x80
	s_and_b32 s9, s7, 0x7fffffff
	s_delay_alu instid0(SALU_CYCLE_1)
	s_cmp_gt_u32 s9, 0x437fffff
	s_cbranch_scc1 .LBB54_733
; %bb.638:
	s_cmp_gt_u32 s9, 0x3bffffff
	s_cbranch_scc0 .LBB54_728
; %bb.639:
	s_bfe_u32 s9, s7, 0x10014
	s_mov_b32 s10, 0
	s_add_i32 s9, s7, s9
	s_delay_alu instid0(SALU_CYCLE_1) | instskip(NEXT) | instid1(SALU_CYCLE_1)
	s_add_i32 s9, s9, 0x487ffff
	s_lshr_b32 s11, s9, 20
	s_mov_b32 s9, -1
	s_branch .LBB54_729
.LBB54_640:
	s_mov_b32 s9, 0
	s_cbranch_execz .LBB54_786
; %bb.641:
	v_cmp_gt_i16_e32 vcc_lo, 5, v2
	s_mov_b32 s0, -1
	s_cbranch_vccnz .LBB54_662
; %bb.642:
	v_cmp_gt_i16_e32 vcc_lo, 8, v2
	s_cbranch_vccnz .LBB54_652
; %bb.643:
	v_cmp_gt_i16_e32 vcc_lo, 9, v2
	s_cbranch_vccnz .LBB54_649
; %bb.644:
	v_cmp_lt_i16_e32 vcc_lo, 9, v2
	s_cbranch_vccz .LBB54_646
; %bb.645:
	v_cvt_f64_f32_e32 v[4:5], s7
	v_mov_b32_e32 v6, 0
	s_mov_b32 s0, 0
	s_delay_alu instid0(VALU_DEP_1)
	v_mov_b32_e32 v7, v6
	global_store_b128 v[0:1], v[4:7], off
.LBB54_646:
	s_and_not1_b32 vcc_lo, exec_lo, s0
	s_cbranch_vccnz .LBB54_648
; %bb.647:
	v_dual_mov_b32 v4, s7 :: v_dual_mov_b32 v5, 0
	global_store_b64 v[0:1], v[4:5], off
.LBB54_648:
	s_mov_b32 s0, 0
.LBB54_649:
	s_delay_alu instid0(SALU_CYCLE_1)
	s_and_not1_b32 vcc_lo, exec_lo, s0
	s_cbranch_vccnz .LBB54_651
; %bb.650:
	v_cvt_f16_f32_e32 v4, s7
	s_delay_alu instid0(VALU_DEP_1)
	v_and_b32_e32 v4, 0xffff, v4
	global_store_b32 v[0:1], v4, off
.LBB54_651:
	s_mov_b32 s0, 0
.LBB54_652:
	s_delay_alu instid0(SALU_CYCLE_1)
	s_and_not1_b32 vcc_lo, exec_lo, s0
	s_cbranch_vccnz .LBB54_661
; %bb.653:
	v_cmp_gt_i16_e32 vcc_lo, 6, v2
	s_mov_b32 s0, -1
	s_cbranch_vccnz .LBB54_659
; %bb.654:
	v_cmp_lt_i16_e32 vcc_lo, 6, v2
	s_cbranch_vccz .LBB54_656
; %bb.655:
	v_cvt_f64_f32_e32 v[4:5], s7
	s_mov_b32 s0, 0
	global_store_b64 v[0:1], v[4:5], off
.LBB54_656:
	s_and_not1_b32 vcc_lo, exec_lo, s0
	s_cbranch_vccnz .LBB54_658
; %bb.657:
	v_mov_b32_e32 v4, s7
	global_store_b32 v[0:1], v4, off
.LBB54_658:
	s_mov_b32 s0, 0
.LBB54_659:
	s_delay_alu instid0(SALU_CYCLE_1)
	s_and_not1_b32 vcc_lo, exec_lo, s0
	s_cbranch_vccnz .LBB54_661
; %bb.660:
	v_cvt_f16_f32_e32 v4, s7
	global_store_b16 v[0:1], v4, off
.LBB54_661:
	s_mov_b32 s0, 0
.LBB54_662:
	s_delay_alu instid0(SALU_CYCLE_1)
	s_and_not1_b32 vcc_lo, exec_lo, s0
	s_cbranch_vccnz .LBB54_678
; %bb.663:
	v_cmp_gt_i16_e32 vcc_lo, 2, v2
	s_mov_b32 s0, -1
	s_cbranch_vccnz .LBB54_673
; %bb.664:
	v_cmp_gt_i16_e32 vcc_lo, 3, v2
	s_cbranch_vccnz .LBB54_670
; %bb.665:
	v_cmp_lt_i16_e32 vcc_lo, 3, v2
	s_cbranch_vccz .LBB54_667
; %bb.666:
	v_trunc_f32_e32 v4, s7
	s_mov_b32 s0, 0
	s_delay_alu instid0(VALU_DEP_1) | instskip(SKIP_1) | instid1(VALU_DEP_2)
	v_mul_f32_e64 v5, 0x2f800000, |v4|
	v_ashrrev_i32_e32 v7, 31, v4
	v_floor_f32_e32 v5, v5
	s_delay_alu instid0(VALU_DEP_1) | instskip(SKIP_1) | instid1(VALU_DEP_2)
	v_fma_f32 v6, 0xcf800000, v5, |v4|
	v_cvt_u32_f32_e32 v5, v5
	v_cvt_u32_f32_e32 v4, v6
	s_delay_alu instid0(VALU_DEP_2) | instskip(NEXT) | instid1(VALU_DEP_2)
	v_xor_b32_e32 v5, v5, v7
	v_xor_b32_e32 v4, v4, v7
	s_delay_alu instid0(VALU_DEP_1) | instskip(NEXT) | instid1(VALU_DEP_3)
	v_sub_co_u32 v4, vcc_lo, v4, v7
	v_sub_co_ci_u32_e32 v5, vcc_lo, v5, v7, vcc_lo
	global_store_b64 v[0:1], v[4:5], off
.LBB54_667:
	s_and_not1_b32 vcc_lo, exec_lo, s0
	s_cbranch_vccnz .LBB54_669
; %bb.668:
	v_cvt_i32_f32_e32 v4, s7
	global_store_b32 v[0:1], v4, off
.LBB54_669:
	s_mov_b32 s0, 0
.LBB54_670:
	s_delay_alu instid0(SALU_CYCLE_1)
	s_and_not1_b32 vcc_lo, exec_lo, s0
	s_cbranch_vccnz .LBB54_672
; %bb.671:
	v_cvt_i32_f32_e32 v4, s7
	global_store_b16 v[0:1], v4, off
.LBB54_672:
	s_mov_b32 s0, 0
.LBB54_673:
	s_delay_alu instid0(SALU_CYCLE_1)
	s_and_not1_b32 vcc_lo, exec_lo, s0
	s_cbranch_vccnz .LBB54_678
; %bb.674:
	v_cmp_lt_i16_e32 vcc_lo, 0, v2
	s_mov_b32 s0, -1
	s_cbranch_vccz .LBB54_676
; %bb.675:
	v_cvt_i32_f32_e32 v4, s7
	s_mov_b32 s0, 0
	global_store_b8 v[0:1], v4, off
.LBB54_676:
	s_and_not1_b32 vcc_lo, exec_lo, s0
	s_cbranch_vccnz .LBB54_678
; %bb.677:
	v_trunc_f32_e32 v4, s7
	s_delay_alu instid0(VALU_DEP_1) | instskip(NEXT) | instid1(VALU_DEP_1)
	v_mul_f32_e64 v5, 0x2f800000, |v4|
	v_floor_f32_e32 v5, v5
	s_delay_alu instid0(VALU_DEP_1) | instskip(SKIP_1) | instid1(VALU_DEP_2)
	v_fma_f32 v5, 0xcf800000, v5, |v4|
	v_ashrrev_i32_e32 v4, 31, v4
	v_cvt_u32_f32_e32 v5, v5
	s_delay_alu instid0(VALU_DEP_1) | instskip(NEXT) | instid1(VALU_DEP_1)
	v_xor_b32_e32 v5, v5, v4
	v_sub_nc_u32_e32 v4, v5, v4
	global_store_b8 v[0:1], v4, off
.LBB54_678:
	s_branch .LBB54_787
.LBB54_679:
	s_mov_b32 s0, 0
	s_mov_b32 s4, 0
                                        ; implicit-def: $vgpr2
                                        ; implicit-def: $vgpr0_vgpr1
.LBB54_680:
	s_and_not1_b32 s1, s1, exec_lo
	s_and_b32 s5, s3, exec_lo
	s_and_b32 s0, s0, exec_lo
	;; [unrolled: 1-line block ×3, first 2 shown]
	s_or_b32 s1, s1, s5
.LBB54_681:
	s_or_b32 exec_lo, exec_lo, s2
	s_and_saveexec_b32 s2, s1
	s_cbranch_execz .LBB54_684
; %bb.682:
	; divergent unreachable
	s_or_b32 exec_lo, exec_lo, s2
	s_and_saveexec_b32 s1, s3
	s_delay_alu instid0(SALU_CYCLE_1)
	s_xor_b32 s1, exec_lo, s1
	s_cbranch_execnz .LBB54_685
.LBB54_683:
	s_or_b32 exec_lo, exec_lo, s1
	s_and_saveexec_b32 s1, s0
	s_cbranch_execnz .LBB54_686
	s_branch .LBB54_723
.LBB54_684:
	s_or_b32 exec_lo, exec_lo, s2
	s_and_saveexec_b32 s1, s3
	s_delay_alu instid0(SALU_CYCLE_1)
	s_xor_b32 s1, exec_lo, s1
	s_cbranch_execz .LBB54_683
.LBB54_685:
	v_cmp_neq_f32_e64 s2, s7, 0
	s_delay_alu instid0(VALU_DEP_1)
	v_cndmask_b32_e64 v3, 0, 1, s2
	global_store_b8 v[0:1], v3, off
	s_or_b32 exec_lo, exec_lo, s1
	s_and_saveexec_b32 s1, s0
	s_cbranch_execz .LBB54_723
.LBB54_686:
	v_cmp_gt_i16_e32 vcc_lo, 5, v2
	s_mov_b32 s0, -1
	s_cbranch_vccnz .LBB54_707
; %bb.687:
	v_cmp_gt_i16_e32 vcc_lo, 8, v2
	s_cbranch_vccnz .LBB54_697
; %bb.688:
	v_cmp_gt_i16_e32 vcc_lo, 9, v2
	s_cbranch_vccnz .LBB54_694
; %bb.689:
	v_cmp_lt_i16_e32 vcc_lo, 9, v2
	s_cbranch_vccz .LBB54_691
; %bb.690:
	v_cvt_f64_f32_e32 v[3:4], s7
	v_mov_b32_e32 v5, 0
	s_mov_b32 s0, 0
	s_delay_alu instid0(VALU_DEP_1)
	v_mov_b32_e32 v6, v5
	global_store_b128 v[0:1], v[3:6], off
.LBB54_691:
	s_and_not1_b32 vcc_lo, exec_lo, s0
	s_cbranch_vccnz .LBB54_693
; %bb.692:
	v_dual_mov_b32 v3, s7 :: v_dual_mov_b32 v4, 0
	global_store_b64 v[0:1], v[3:4], off
.LBB54_693:
	s_mov_b32 s0, 0
.LBB54_694:
	s_delay_alu instid0(SALU_CYCLE_1)
	s_and_not1_b32 vcc_lo, exec_lo, s0
	s_cbranch_vccnz .LBB54_696
; %bb.695:
	v_cvt_f16_f32_e32 v3, s7
	s_delay_alu instid0(VALU_DEP_1)
	v_and_b32_e32 v3, 0xffff, v3
	global_store_b32 v[0:1], v3, off
.LBB54_696:
	s_mov_b32 s0, 0
.LBB54_697:
	s_delay_alu instid0(SALU_CYCLE_1)
	s_and_not1_b32 vcc_lo, exec_lo, s0
	s_cbranch_vccnz .LBB54_706
; %bb.698:
	v_cmp_gt_i16_e32 vcc_lo, 6, v2
	s_mov_b32 s0, -1
	s_cbranch_vccnz .LBB54_704
; %bb.699:
	v_cmp_lt_i16_e32 vcc_lo, 6, v2
	s_cbranch_vccz .LBB54_701
; %bb.700:
	v_cvt_f64_f32_e32 v[3:4], s7
	s_mov_b32 s0, 0
	global_store_b64 v[0:1], v[3:4], off
.LBB54_701:
	s_and_not1_b32 vcc_lo, exec_lo, s0
	s_cbranch_vccnz .LBB54_703
; %bb.702:
	v_mov_b32_e32 v3, s7
	global_store_b32 v[0:1], v3, off
.LBB54_703:
	s_mov_b32 s0, 0
.LBB54_704:
	s_delay_alu instid0(SALU_CYCLE_1)
	s_and_not1_b32 vcc_lo, exec_lo, s0
	s_cbranch_vccnz .LBB54_706
; %bb.705:
	v_cvt_f16_f32_e32 v3, s7
	global_store_b16 v[0:1], v3, off
.LBB54_706:
	s_mov_b32 s0, 0
.LBB54_707:
	s_delay_alu instid0(SALU_CYCLE_1)
	s_and_not1_b32 vcc_lo, exec_lo, s0
	s_cbranch_vccnz .LBB54_723
; %bb.708:
	v_cmp_gt_i16_e32 vcc_lo, 2, v2
	s_mov_b32 s0, -1
	s_cbranch_vccnz .LBB54_718
; %bb.709:
	v_cmp_gt_i16_e32 vcc_lo, 3, v2
	s_cbranch_vccnz .LBB54_715
; %bb.710:
	v_cmp_lt_i16_e32 vcc_lo, 3, v2
	s_cbranch_vccz .LBB54_712
; %bb.711:
	v_trunc_f32_e32 v3, s7
	s_mov_b32 s0, 0
	s_delay_alu instid0(VALU_DEP_1) | instskip(SKIP_1) | instid1(VALU_DEP_2)
	v_mul_f32_e64 v4, 0x2f800000, |v3|
	v_ashrrev_i32_e32 v6, 31, v3
	v_floor_f32_e32 v4, v4
	s_delay_alu instid0(VALU_DEP_1) | instskip(SKIP_1) | instid1(VALU_DEP_2)
	v_fma_f32 v5, 0xcf800000, v4, |v3|
	v_cvt_u32_f32_e32 v4, v4
	v_cvt_u32_f32_e32 v3, v5
	s_delay_alu instid0(VALU_DEP_2) | instskip(NEXT) | instid1(VALU_DEP_2)
	v_xor_b32_e32 v4, v4, v6
	v_xor_b32_e32 v3, v3, v6
	s_delay_alu instid0(VALU_DEP_1) | instskip(NEXT) | instid1(VALU_DEP_3)
	v_sub_co_u32 v3, vcc_lo, v3, v6
	v_sub_co_ci_u32_e32 v4, vcc_lo, v4, v6, vcc_lo
	global_store_b64 v[0:1], v[3:4], off
.LBB54_712:
	s_and_not1_b32 vcc_lo, exec_lo, s0
	s_cbranch_vccnz .LBB54_714
; %bb.713:
	v_cvt_i32_f32_e32 v3, s7
	global_store_b32 v[0:1], v3, off
.LBB54_714:
	s_mov_b32 s0, 0
.LBB54_715:
	s_delay_alu instid0(SALU_CYCLE_1)
	s_and_not1_b32 vcc_lo, exec_lo, s0
	s_cbranch_vccnz .LBB54_717
; %bb.716:
	v_cvt_i32_f32_e32 v3, s7
	global_store_b16 v[0:1], v3, off
.LBB54_717:
	s_mov_b32 s0, 0
.LBB54_718:
	s_delay_alu instid0(SALU_CYCLE_1)
	s_and_not1_b32 vcc_lo, exec_lo, s0
	s_cbranch_vccnz .LBB54_723
; %bb.719:
	v_cmp_lt_i16_e32 vcc_lo, 0, v2
	s_mov_b32 s0, -1
	s_cbranch_vccz .LBB54_721
; %bb.720:
	v_cvt_i32_f32_e32 v2, s7
	s_mov_b32 s0, 0
	global_store_b8 v[0:1], v2, off
.LBB54_721:
	s_and_not1_b32 vcc_lo, exec_lo, s0
	s_cbranch_vccnz .LBB54_723
; %bb.722:
	v_trunc_f32_e32 v2, s7
	s_delay_alu instid0(VALU_DEP_1) | instskip(NEXT) | instid1(VALU_DEP_1)
	v_mul_f32_e64 v3, 0x2f800000, |v2|
	v_floor_f32_e32 v3, v3
	s_delay_alu instid0(VALU_DEP_1) | instskip(SKIP_1) | instid1(VALU_DEP_2)
	v_fma_f32 v3, 0xcf800000, v3, |v2|
	v_ashrrev_i32_e32 v2, 31, v2
	v_cvt_u32_f32_e32 v3, v3
	s_delay_alu instid0(VALU_DEP_1) | instskip(NEXT) | instid1(VALU_DEP_1)
	v_xor_b32_e32 v3, v3, v2
	v_sub_nc_u32_e32 v2, v3, v2
	global_store_b8 v[0:1], v2, off
	s_nop 0
	s_sendmsg sendmsg(MSG_DEALLOC_VGPRS)
	s_endpgm
.LBB54_723:
	s_nop 0
	s_sendmsg sendmsg(MSG_DEALLOC_VGPRS)
	s_endpgm
.LBB54_724:
	s_cbranch_execnz .LBB54_726
; %bb.725:
	s_or_b32 s3, s3, exec_lo
	s_cbranch_execz .LBB54_609
	s_branch .LBB54_610
.LBB54_726:
	s_trap 2
	s_sendmsg_rtn_b32 s0, sendmsg(MSG_RTN_GET_DOORBELL)
	s_mov_b32 ttmp2, m0
	s_waitcnt lgkmcnt(0)
	s_and_b32 s0, s0, 0x3ff
	s_delay_alu instid0(SALU_CYCLE_1) | instskip(NEXT) | instid1(SALU_CYCLE_1)
	s_bitset1_b32 s0, 10
	s_mov_b32 m0, s0
	s_sendmsg sendmsg(MSG_INTERRUPT)
	s_mov_b32 m0, ttmp2
.LBB54_727:                             ; =>This Inner Loop Header: Depth=1
	s_sethalt 5
	s_branch .LBB54_727
.LBB54_728:
	s_mov_b32 s10, -1
	s_mov_b32 s9, 0
                                        ; implicit-def: $sgpr11
.LBB54_729:
	v_mov_b32_e32 v4, s11
	s_and_not1_b32 vcc_lo, exec_lo, s10
                                        ; implicit-def: $sgpr10
	s_cbranch_vccnz .LBB54_731
; %bb.730:
	v_add_f32_e64 v4, 0x46000000, |s7|
	s_mov_b32 s10, 0
	s_delay_alu instid0(VALU_DEP_1) | instskip(NEXT) | instid1(VALU_DEP_1)
	v_and_b32_e32 v4, 0xff, v4
	v_cmp_ne_u32_e64 s9, 0, v4
.LBB54_731:
	v_mov_b32_e32 v5, s10
	s_delay_alu instid0(VALU_DEP_2)
	s_and_not1_b32 vcc_lo, exec_lo, s9
	s_cbranch_vccnz .LBB54_733
; %bb.732:
	s_lshr_b32 s9, s7, 24
	s_delay_alu instid0(SALU_CYCLE_1) | instskip(NEXT) | instid1(SALU_CYCLE_1)
	s_and_b32 s9, s9, 0x80
	v_or_b32_e32 v5, s9, v4
.LBB54_733:
	global_store_b8 v[0:1], v5, off
.LBB54_734:
	s_mov_b32 s9, -1
.LBB54_735:
	s_mov_b32 s10, 0
.LBB54_736:
	s_delay_alu instid0(SALU_CYCLE_1)
	s_and_b32 vcc_lo, exec_lo, s10
	s_cbranch_vccz .LBB54_782
; %bb.737:
	v_cmp_lt_i16_e32 vcc_lo, 22, v2
	s_mov_b32 s8, -1
	s_cbranch_vccz .LBB54_775
; %bb.738:
	v_cmp_gt_i16_e32 vcc_lo, 24, v2
	s_cbranch_vccnz .LBB54_762
; %bb.739:
	v_cmp_lt_i16_e32 vcc_lo, 24, v2
	s_cbranch_vccz .LBB54_749
; %bb.740:
	v_mov_b32_e32 v5, 0x80
	s_and_b32 s8, s7, 0x7fffffff
	s_delay_alu instid0(SALU_CYCLE_1)
	s_cmp_gt_u32 s8, 0x477fffff
	s_cbranch_scc1 .LBB54_748
; %bb.741:
	s_cmp_gt_u32 s8, 0x37ffffff
	s_cbranch_scc0 .LBB54_743
; %bb.742:
	s_bfe_u32 s8, s7, 0x10015
	s_mov_b32 s9, 0
	s_add_i32 s8, s7, s8
	s_delay_alu instid0(SALU_CYCLE_1) | instskip(NEXT) | instid1(SALU_CYCLE_1)
	s_add_i32 s8, s8, 0x88fffff
	s_lshr_b32 s10, s8, 21
	s_mov_b32 s8, -1
	s_branch .LBB54_744
.LBB54_743:
	s_mov_b32 s9, -1
	s_mov_b32 s8, 0
                                        ; implicit-def: $sgpr10
.LBB54_744:
	v_mov_b32_e32 v4, s10
	s_and_not1_b32 vcc_lo, exec_lo, s9
                                        ; implicit-def: $sgpr9
	s_cbranch_vccnz .LBB54_746
; %bb.745:
	v_add_f32_e64 v4, 0x42800000, |s7|
	s_mov_b32 s9, 0
	s_delay_alu instid0(VALU_DEP_1) | instskip(NEXT) | instid1(VALU_DEP_1)
	v_and_b32_e32 v4, 0xff, v4
	v_cmp_ne_u32_e64 s8, 0, v4
.LBB54_746:
	v_mov_b32_e32 v5, s9
	s_delay_alu instid0(VALU_DEP_2)
	s_and_not1_b32 vcc_lo, exec_lo, s8
	s_cbranch_vccnz .LBB54_748
; %bb.747:
	s_lshr_b32 s8, s7, 24
	s_delay_alu instid0(SALU_CYCLE_1) | instskip(NEXT) | instid1(SALU_CYCLE_1)
	s_and_b32 s8, s8, 0x80
	v_or_b32_e32 v5, s8, v4
.LBB54_748:
	s_mov_b32 s8, 0
	global_store_b8 v[0:1], v5, off
.LBB54_749:
	s_and_b32 vcc_lo, exec_lo, s8
	s_cbranch_vccz .LBB54_761
; %bb.750:
	s_and_b32 s8, s7, 0x7fffffff
	s_delay_alu instid0(SALU_CYCLE_1)
	s_cmp_lt_u32 s8, 0x43f00000
	s_cbranch_scc0 .LBB54_753
; %bb.751:
	s_cmp_gt_u32 s8, 0x3c7fffff
	s_cbranch_scc0 .LBB54_754
; %bb.752:
	s_bfe_u32 s9, s7, 0x10014
	s_delay_alu instid0(SALU_CYCLE_1) | instskip(NEXT) | instid1(SALU_CYCLE_1)
	s_add_i32 s9, s7, s9
	s_add_i32 s9, s9, 0x407ffff
	s_delay_alu instid0(SALU_CYCLE_1)
	s_and_b32 s10, s9, 0xff00000
	s_lshr_b32 s9, s9, 20
	s_cmp_lg_u32 s10, 0x7f00000
	s_cselect_b32 s10, s9, 0x7e
	s_mov_b32 s9, 0
	s_branch .LBB54_755
.LBB54_753:
	s_mov_b32 s9, -1
                                        ; implicit-def: $vgpr4
	s_branch .LBB54_758
.LBB54_754:
	s_mov_b32 s9, -1
                                        ; implicit-def: $sgpr10
.LBB54_755:
	v_mov_b32_e32 v4, s10
	s_and_not1_b32 vcc_lo, exec_lo, s9
	s_cbranch_vccnz .LBB54_757
; %bb.756:
	v_add_f32_e64 v4, 0x46800000, |s7|
.LBB54_757:
	s_mov_b32 s9, 0
.LBB54_758:
	s_delay_alu instid0(SALU_CYCLE_1)
	s_and_not1_b32 vcc_lo, exec_lo, s9
	s_cbranch_vccnz .LBB54_760
; %bb.759:
	s_cmp_gt_u32 s8, 0x7f800000
	s_movk_i32 s8, 0x7f
	s_delay_alu instid0(SALU_CYCLE_1) | instskip(NEXT) | instid1(SALU_CYCLE_1)
	s_cselect_b32 s8, s8, 0x7e
	v_mov_b32_e32 v4, s8
.LBB54_760:
	s_lshr_b32 s8, s7, 24
	s_delay_alu instid0(SALU_CYCLE_1)
	s_and_b32 s8, s8, 0x80
	s_delay_alu instid0(VALU_DEP_1) | instid1(SALU_CYCLE_1)
	v_or_b32_e32 v4, s8, v4
	global_store_b8 v[0:1], v4, off
.LBB54_761:
	s_mov_b32 s8, 0
.LBB54_762:
	s_delay_alu instid0(SALU_CYCLE_1)
	s_and_not1_b32 vcc_lo, exec_lo, s8
	s_cbranch_vccnz .LBB54_774
; %bb.763:
	s_and_b32 s8, s7, 0x7fffffff
	s_delay_alu instid0(SALU_CYCLE_1)
	s_cmp_lt_u32 s8, 0x47800000
	s_cbranch_scc0 .LBB54_766
; %bb.764:
	s_cmp_gt_u32 s8, 0x387fffff
	s_cbranch_scc0 .LBB54_767
; %bb.765:
	s_bfe_u32 s9, s7, 0x10015
	s_delay_alu instid0(SALU_CYCLE_1) | instskip(NEXT) | instid1(SALU_CYCLE_1)
	s_add_i32 s9, s7, s9
	s_add_i32 s9, s9, 0x80fffff
	s_delay_alu instid0(SALU_CYCLE_1)
	s_lshr_b32 s10, s9, 21
	s_mov_b32 s9, 0
	s_branch .LBB54_768
.LBB54_766:
	s_mov_b32 s9, -1
                                        ; implicit-def: $vgpr4
	s_branch .LBB54_771
.LBB54_767:
	s_mov_b32 s9, -1
                                        ; implicit-def: $sgpr10
.LBB54_768:
	v_mov_b32_e32 v4, s10
	s_and_not1_b32 vcc_lo, exec_lo, s9
	s_cbranch_vccnz .LBB54_770
; %bb.769:
	v_add_f32_e64 v4, 0x43000000, |s7|
.LBB54_770:
	s_mov_b32 s9, 0
.LBB54_771:
	s_delay_alu instid0(SALU_CYCLE_1)
	s_and_not1_b32 vcc_lo, exec_lo, s9
	s_cbranch_vccnz .LBB54_773
; %bb.772:
	s_cmp_gt_u32 s8, 0x7f800000
	s_movk_i32 s8, 0x7f
	s_delay_alu instid0(SALU_CYCLE_1) | instskip(NEXT) | instid1(SALU_CYCLE_1)
	s_cselect_b32 s8, s8, 0x7c
	v_mov_b32_e32 v4, s8
.LBB54_773:
	s_lshr_b32 s8, s7, 24
	s_delay_alu instid0(SALU_CYCLE_1)
	s_and_b32 s8, s8, 0x80
	s_delay_alu instid0(VALU_DEP_1) | instid1(SALU_CYCLE_1)
	v_or_b32_e32 v4, s8, v4
	global_store_b8 v[0:1], v4, off
.LBB54_774:
	s_mov_b32 s8, 0
	s_mov_b32 s9, -1
.LBB54_775:
	s_and_not1_b32 vcc_lo, exec_lo, s8
	s_mov_b32 s8, 0
	s_cbranch_vccnz .LBB54_782
; %bb.776:
	v_cmp_lt_i16_e32 vcc_lo, 14, v2
	s_mov_b32 s8, -1
	s_cbranch_vccz .LBB54_780
; %bb.777:
	v_cmp_eq_u16_e32 vcc_lo, 15, v2
	s_mov_b32 s0, -1
	s_cbranch_vccz .LBB54_779
; %bb.778:
	s_bfe_u32 s0, s7, 0x10010
	v_cmp_o_f32_e64 s8, s7, s7
	s_add_i32 s0, s7, s0
	s_mov_b32 s9, -1
	s_addk_i32 s0, 0x7fff
	s_delay_alu instid0(SALU_CYCLE_1) | instskip(SKIP_2) | instid1(SALU_CYCLE_1)
	s_lshr_b32 s0, s0, 16
	s_and_b32 s8, s8, exec_lo
	s_cselect_b32 s0, s0, 0x7fc0
	v_mov_b32_e32 v4, s0
	s_mov_b32 s0, 0
	global_store_b16 v[0:1], v4, off
.LBB54_779:
	s_mov_b32 s8, 0
.LBB54_780:
	s_delay_alu instid0(SALU_CYCLE_1)
	s_and_b32 vcc_lo, exec_lo, s8
	s_mov_b32 s8, 0
	s_cbranch_vccz .LBB54_782
; %bb.781:
	v_cmp_ne_u16_e64 s0, 11, v2
	s_mov_b32 s8, -1
.LBB54_782:
	s_delay_alu instid0(VALU_DEP_1)
	s_and_b32 vcc_lo, exec_lo, s0
	s_cbranch_vccnz .LBB54_817
; %bb.783:
	s_and_not1_b32 vcc_lo, exec_lo, s8
	s_cbranch_vccnz .LBB54_785
.LBB54_784:
	v_cmp_neq_f32_e64 s0, s7, 0
	s_mov_b32 s9, -1
	s_delay_alu instid0(VALU_DEP_1)
	v_cndmask_b32_e64 v4, 0, 1, s0
	global_store_b8 v[0:1], v4, off
.LBB54_785:
.LBB54_786:
	s_and_not1_b32 vcc_lo, exec_lo, s9
	s_cbranch_vccnz .LBB54_679
.LBB54_787:
	v_add_nc_u32_e32 v0, s6, v3
	v_cmp_gt_i16_e32 vcc_lo, 11, v2
	s_delay_alu instid0(VALU_DEP_2) | instskip(SKIP_1) | instid1(VALU_DEP_1)
	v_ashrrev_i32_e32 v1, 31, v0
	v_add_co_u32 v0, s0, s4, v0
	v_add_co_ci_u32_e64 v1, s0, s5, v1, s0
	s_cbranch_vccnz .LBB54_816
; %bb.788:
	v_cmp_lt_i16_e32 vcc_lo, 25, v2
	s_mov_b32 s5, -1
	s_mov_b32 s4, 0
	s_mov_b32 s0, 0
	s_cbranch_vccz .LBB54_828
; %bb.789:
	v_cmp_lt_i16_e32 vcc_lo, 28, v2
	s_cbranch_vccz .LBB54_805
; %bb.790:
	v_cmp_lt_i16_e32 vcc_lo, 43, v2
	;; [unrolled: 3-line block ×3, first 2 shown]
	s_cbranch_vccz .LBB54_795
; %bb.792:
	v_cmp_eq_u16_e32 vcc_lo, 46, v2
	s_mov_b32 s0, -1
	s_cbranch_vccz .LBB54_794
; %bb.793:
	s_bfe_u32 s0, s7, 0x10010
	v_cmp_o_f32_e64 s5, s7, s7
	s_add_i32 s0, s7, s0
	s_delay_alu instid0(SALU_CYCLE_1) | instskip(NEXT) | instid1(SALU_CYCLE_1)
	s_addk_i32 s0, 0x7fff
	s_lshr_b32 s0, s0, 16
	s_delay_alu instid0(VALU_DEP_1) | instskip(SKIP_1) | instid1(SALU_CYCLE_1)
	s_and_b32 s5, s5, exec_lo
	s_cselect_b32 s0, s0, 0x7fc0
	v_mov_b32_e32 v3, s0
	s_mov_b32 s0, 0
	global_store_b32 v[0:1], v3, off
.LBB54_794:
	s_mov_b32 s5, 0
.LBB54_795:
	s_delay_alu instid0(SALU_CYCLE_1)
	s_and_b32 vcc_lo, exec_lo, s5
	s_cbranch_vccz .LBB54_800
; %bb.796:
	v_cmp_eq_u16_e32 vcc_lo, 44, v2
	s_mov_b32 s0, -1
	s_cbranch_vccz .LBB54_800
; %bb.797:
	v_mov_b32_e32 v3, 0xff
	s_bfe_u32 s0, s7, 0x80017
	s_delay_alu instid0(SALU_CYCLE_1)
	s_cmpk_eq_i32 s0, 0xff
	s_cbranch_scc1 .LBB54_799
; %bb.798:
	s_lshr_b32 s5, s7, 23
	s_bitcmp1_b32 s7, 22
	s_cselect_b32 s6, -1, 0
	s_and_b32 s8, s7, 0x3fffff
	s_delay_alu instid0(SALU_CYCLE_1) | instskip(NEXT) | instid1(SALU_CYCLE_1)
	s_or_b32 s0, s0, s8
	s_cmp_lg_u32 s0, 0
	s_cselect_b32 s0, -1, 0
	s_delay_alu instid0(SALU_CYCLE_1) | instskip(NEXT) | instid1(SALU_CYCLE_1)
	s_and_b32 s0, s6, s0
	v_cndmask_b32_e64 v3, 0, 1, s0
	s_delay_alu instid0(VALU_DEP_1)
	v_add_nc_u32_e32 v3, s5, v3
.LBB54_799:
	s_mov_b32 s0, 0
	global_store_b8 v[0:1], v3, off
.LBB54_800:
	s_mov_b32 s5, 0
.LBB54_801:
	s_delay_alu instid0(SALU_CYCLE_1)
	s_and_b32 vcc_lo, exec_lo, s5
	s_cbranch_vccz .LBB54_804
; %bb.802:
	v_cmp_eq_u16_e32 vcc_lo, 29, v2
	s_mov_b32 s0, -1
	s_cbranch_vccz .LBB54_804
; %bb.803:
	v_trunc_f32_e32 v3, s7
	s_mov_b32 s0, 0
	s_delay_alu instid0(VALU_DEP_1) | instskip(NEXT) | instid1(VALU_DEP_1)
	v_mul_f32_e32 v4, 0x2f800000, v3
	v_floor_f32_e32 v4, v4
	s_delay_alu instid0(VALU_DEP_1) | instskip(SKIP_1) | instid1(VALU_DEP_2)
	v_fmamk_f32 v3, v4, 0xcf800000, v3
	v_cvt_u32_f32_e32 v4, v4
	v_cvt_u32_f32_e32 v3, v3
	global_store_b64 v[0:1], v[3:4], off
.LBB54_804:
	s_mov_b32 s5, 0
.LBB54_805:
	s_delay_alu instid0(SALU_CYCLE_1)
	s_and_b32 vcc_lo, exec_lo, s5
	s_cbranch_vccz .LBB54_827
; %bb.806:
	v_cmp_gt_i16_e32 vcc_lo, 27, v2
	s_mov_b32 s5, -1
	s_cbranch_vccnz .LBB54_812
; %bb.807:
	v_cmp_lt_i16_e32 vcc_lo, 27, v2
	v_cvt_u32_f32_e32 v3, s7
	s_cbranch_vccz .LBB54_809
; %bb.808:
	s_mov_b32 s5, 0
	global_store_b32 v[0:1], v3, off
.LBB54_809:
	s_and_not1_b32 vcc_lo, exec_lo, s5
	s_cbranch_vccnz .LBB54_811
; %bb.810:
	global_store_b16 v[0:1], v3, off
.LBB54_811:
	s_mov_b32 s5, 0
.LBB54_812:
	s_delay_alu instid0(SALU_CYCLE_1)
	s_and_not1_b32 vcc_lo, exec_lo, s5
	s_cbranch_vccnz .LBB54_827
; %bb.813:
	v_mov_b32_e32 v4, 0x80
	s_and_b32 s5, s7, 0x7fffffff
	s_delay_alu instid0(SALU_CYCLE_1)
	s_cmp_gt_u32 s5, 0x437fffff
	s_cbranch_scc1 .LBB54_826
; %bb.814:
	s_cmp_gt_u32 s5, 0x3bffffff
	s_cbranch_scc0 .LBB54_821
; %bb.815:
	s_bfe_u32 s5, s7, 0x10014
	s_mov_b32 s6, 0
	s_add_i32 s5, s7, s5
	s_delay_alu instid0(SALU_CYCLE_1) | instskip(NEXT) | instid1(SALU_CYCLE_1)
	s_add_i32 s5, s5, 0x487ffff
	s_lshr_b32 s8, s5, 20
	s_mov_b32 s5, -1
	s_branch .LBB54_822
.LBB54_816:
	s_mov_b32 s4, 0
	s_mov_b32 s0, -1
	s_branch .LBB54_680
.LBB54_817:
	s_cbranch_execnz .LBB54_819
; %bb.818:
	s_or_b32 s3, s3, exec_lo
	s_cbranch_execz .LBB54_784
	s_branch .LBB54_785
.LBB54_819:
	s_trap 2
	s_sendmsg_rtn_b32 s0, sendmsg(MSG_RTN_GET_DOORBELL)
	s_mov_b32 ttmp2, m0
	s_waitcnt lgkmcnt(0)
	s_and_b32 s0, s0, 0x3ff
	s_delay_alu instid0(SALU_CYCLE_1) | instskip(NEXT) | instid1(SALU_CYCLE_1)
	s_bitset1_b32 s0, 10
	s_mov_b32 m0, s0
	s_sendmsg sendmsg(MSG_INTERRUPT)
	s_mov_b32 m0, ttmp2
.LBB54_820:                             ; =>This Inner Loop Header: Depth=1
	s_sethalt 5
	s_branch .LBB54_820
.LBB54_821:
	s_mov_b32 s6, -1
	s_mov_b32 s5, 0
                                        ; implicit-def: $sgpr8
.LBB54_822:
	v_mov_b32_e32 v3, s8
	s_and_not1_b32 vcc_lo, exec_lo, s6
                                        ; implicit-def: $sgpr6
	s_cbranch_vccnz .LBB54_824
; %bb.823:
	v_add_f32_e64 v3, 0x46000000, |s7|
	s_mov_b32 s6, 0
	s_delay_alu instid0(VALU_DEP_1) | instskip(NEXT) | instid1(VALU_DEP_1)
	v_and_b32_e32 v3, 0xff, v3
	v_cmp_ne_u32_e64 s5, 0, v3
.LBB54_824:
	v_mov_b32_e32 v4, s6
	s_delay_alu instid0(VALU_DEP_2)
	s_and_not1_b32 vcc_lo, exec_lo, s5
	s_cbranch_vccnz .LBB54_826
; %bb.825:
	s_lshr_b32 s5, s7, 24
	s_delay_alu instid0(SALU_CYCLE_1) | instskip(NEXT) | instid1(SALU_CYCLE_1)
	s_and_b32 s5, s5, 0x80
	v_or_b32_e32 v4, s5, v3
.LBB54_826:
	global_store_b8 v[0:1], v4, off
.LBB54_827:
	s_mov_b32 s5, 0
.LBB54_828:
	s_delay_alu instid0(SALU_CYCLE_1)
	s_and_b32 vcc_lo, exec_lo, s5
	s_cbranch_vccz .LBB54_926
; %bb.829:
	v_cmp_lt_i16_e32 vcc_lo, 22, v2
	s_mov_b32 s4, -1
	s_cbranch_vccz .LBB54_919
; %bb.830:
	v_cmp_gt_i16_e32 vcc_lo, 24, v2
	s_cbranch_vccnz .LBB54_906
; %bb.831:
	v_cmp_lt_i16_e32 vcc_lo, 24, v2
	s_cbranch_vccz .LBB54_893
; %bb.832:
	v_mov_b32_e32 v4, 0x80
	s_and_b32 s4, s7, 0x7fffffff
	s_delay_alu instid0(SALU_CYCLE_1)
	s_cmp_gt_u32 s4, 0x477fffff
	s_cbranch_scc1 .LBB54_892
; %bb.833:
	s_cmp_gt_u32 s4, 0x37ffffff
	s_cbranch_scc0 .LBB54_887
; %bb.834:
	s_bfe_u32 s4, s7, 0x10015
	s_mov_b32 s5, 0
	s_add_i32 s4, s7, s4
	s_delay_alu instid0(SALU_CYCLE_1) | instskip(NEXT) | instid1(SALU_CYCLE_1)
	s_add_i32 s4, s4, 0x88fffff
	s_lshr_b32 s6, s4, 21
	s_mov_b32 s4, -1
	s_branch .LBB54_888
.LBB54_835:
	s_mov_b32 s39, 0
.LBB54_836:
	s_delay_alu instid0(SALU_CYCLE_1)
	s_and_b32 vcc_lo, exec_lo, s39
	s_cbranch_vccz .LBB54_839
; %bb.837:
	v_cmp_eq_u16_e32 vcc_lo, 44, v17
	s_mov_b32 s0, -1
	s_cbranch_vccz .LBB54_839
; %bb.838:
	v_cndmask_b32_e64 v2, v16, 0xff, s30
	s_mov_b32 s0, 0
	s_mov_b32 s39, 0
	global_store_b8 v[8:9], v2, off
	s_branch .LBB54_840
.LBB54_839:
	s_mov_b32 s39, 0
.LBB54_840:
	s_delay_alu instid0(SALU_CYCLE_1)
	s_and_b32 vcc_lo, exec_lo, s39
	s_cbranch_vccz .LBB54_843
; %bb.841:
	v_cmp_eq_u16_e32 vcc_lo, 29, v17
	s_mov_b32 s0, -1
	s_cbranch_vccz .LBB54_843
; %bb.842:
	s_mov_b32 s0, 0
	global_store_b64 v[8:9], v[6:7], off
.LBB54_843:
	s_mov_b32 s39, 0
.LBB54_844:
	s_delay_alu instid0(SALU_CYCLE_1)
	s_and_b32 vcc_lo, exec_lo, s39
	s_cbranch_vccz .LBB54_856
; %bb.845:
	v_cmp_gt_i16_e32 vcc_lo, 27, v17
	s_mov_b32 s30, -1
	s_cbranch_vccnz .LBB54_851
; %bb.846:
	v_cmp_lt_i16_e32 vcc_lo, 27, v17
	s_cbranch_vccz .LBB54_848
; %bb.847:
	s_mov_b32 s30, 0
	global_store_b32 v[8:9], v14, off
.LBB54_848:
	s_and_not1_b32 vcc_lo, exec_lo, s30
	s_cbranch_vccnz .LBB54_850
; %bb.849:
	global_store_b16 v[8:9], v14, off
.LBB54_850:
	s_mov_b32 s30, 0
.LBB54_851:
	s_delay_alu instid0(SALU_CYCLE_1)
	s_and_not1_b32 vcc_lo, exec_lo, s30
	s_cbranch_vccnz .LBB54_856
; %bb.852:
	s_and_not1_b32 vcc_lo, exec_lo, s28
	s_movk_i32 s28, 0x80
	s_cbranch_vccnz .LBB54_855
; %bb.853:
	s_or_b32 s28, s26, s29
	s_delay_alu instid0(SALU_CYCLE_1)
	s_and_not1_b32 vcc_lo, exec_lo, s28
	s_mov_b32 s28, 0
	s_cbranch_vccnz .LBB54_855
; %bb.854:
	s_and_b32 s26, s26, exec_lo
	s_cselect_b32 s25, s27, s25
	s_delay_alu instid0(SALU_CYCLE_1)
	s_or_b32 s28, s25, s1
.LBB54_855:
	s_delay_alu instid0(SALU_CYCLE_1)
	v_mov_b32_e32 v2, s28
	global_store_b8 v[8:9], v2, off
.LBB54_856:
	s_mov_b32 s39, 0
.LBB54_857:
	s_delay_alu instid0(SALU_CYCLE_1)
	s_and_b32 vcc_lo, exec_lo, s39
	s_mov_b32 s25, 0
	s_cbranch_vccz .LBB54_878
; %bb.858:
	v_cmp_lt_i16_e32 vcc_lo, 22, v17
	s_mov_b32 s26, -1
	s_cbranch_vccz .LBB54_871
; %bb.859:
	v_cmp_gt_i16_e32 vcc_lo, 24, v17
	s_cbranch_vccnz .LBB54_868
; %bb.860:
	v_cmp_lt_i16_e32 vcc_lo, 24, v17
	s_cbranch_vccz .LBB54_865
; %bb.861:
	s_and_not1_b32 vcc_lo, exec_lo, s20
	s_movk_i32 s20, 0x80
	s_cbranch_vccnz .LBB54_864
; %bb.862:
	s_or_b32 s20, s13, s23
	s_delay_alu instid0(SALU_CYCLE_1)
	s_and_not1_b32 vcc_lo, exec_lo, s20
	s_mov_b32 s20, 0
	s_cbranch_vccnz .LBB54_864
; %bb.863:
	s_and_b32 s13, s13, exec_lo
	s_cselect_b32 s13, s18, s14
	s_delay_alu instid0(SALU_CYCLE_1)
	s_or_b32 s20, s13, s1
.LBB54_864:
	s_delay_alu instid0(SALU_CYCLE_1)
	v_mov_b32_e32 v2, s20
	s_mov_b32 s26, 0
	global_store_b8 v[8:9], v2, off
.LBB54_865:
	s_and_b32 vcc_lo, exec_lo, s26
	s_cbranch_vccz .LBB54_867
; %bb.866:
	s_and_b32 s12, s12, exec_lo
	s_cselect_b32 s12, s17, s15
	s_and_b32 s11, s11, exec_lo
	s_cselect_b32 s11, s24, s12
	s_delay_alu instid0(SALU_CYCLE_1) | instskip(NEXT) | instid1(SALU_CYCLE_1)
	s_or_b32 s11, s11, s1
	v_mov_b32_e32 v2, s11
	global_store_b8 v[8:9], v2, off
.LBB54_867:
	s_mov_b32 s26, 0
.LBB54_868:
	s_delay_alu instid0(SALU_CYCLE_1)
	s_and_not1_b32 vcc_lo, exec_lo, s26
	s_cbranch_vccnz .LBB54_870
; %bb.869:
	s_and_b32 s10, s10, exec_lo
	s_cselect_b32 s10, s22, s19
	s_and_b32 s9, s9, exec_lo
	s_cselect_b32 s9, s21, s10
	s_delay_alu instid0(SALU_CYCLE_1) | instskip(NEXT) | instid1(SALU_CYCLE_1)
	s_or_b32 s1, s9, s1
	v_mov_b32_e32 v2, s1
	global_store_b8 v[8:9], v2, off
.LBB54_870:
	s_mov_b32 s26, 0
.LBB54_871:
	s_delay_alu instid0(SALU_CYCLE_1)
	s_and_not1_b32 vcc_lo, exec_lo, s26
	s_mov_b32 s1, 0
	s_cbranch_vccnz .LBB54_879
; %bb.872:
	v_cmp_lt_i16_e32 vcc_lo, 14, v17
	s_mov_b32 s1, -1
	s_cbranch_vccz .LBB54_876
; %bb.873:
	v_cmp_eq_u16_e32 vcc_lo, 15, v17
	s_mov_b32 s0, -1
	s_cbranch_vccz .LBB54_875
; %bb.874:
	v_mov_b32_e32 v2, s16
	s_mov_b32 s0, 0
	global_store_b16 v[8:9], v2, off
.LBB54_875:
	s_mov_b32 s1, 0
.LBB54_876:
	s_delay_alu instid0(SALU_CYCLE_1)
	s_and_b32 vcc_lo, exec_lo, s1
	s_mov_b32 s1, 0
	s_cbranch_vccz .LBB54_879
; %bb.877:
	v_cmp_ne_u16_e32 vcc_lo, 11, v17
	s_and_not1_b32 s0, s0, exec_lo
	s_mov_b32 s1, -1
	s_and_b32 s9, vcc_lo, exec_lo
	s_delay_alu instid0(SALU_CYCLE_1)
	s_or_b32 s0, s0, s9
	s_branch .LBB54_879
.LBB54_878:
	s_mov_b32 s1, 0
.LBB54_879:
	s_and_not1_b32 s9, s38, exec_lo
	s_and_b32 s10, s0, exec_lo
	s_and_b32 s39, s25, exec_lo
	;; [unrolled: 1-line block ×3, first 2 shown]
	s_or_b32 s40, s9, s10
.LBB54_880:
	s_or_b32 exec_lo, exec_lo, s31
	s_delay_alu instid0(SALU_CYCLE_1)
	s_and_not1_b32 s1, s38, exec_lo
	s_and_b32 s9, s40, exec_lo
	s_and_b32 s39, s39, exec_lo
	;; [unrolled: 1-line block ×3, first 2 shown]
	s_or_b32 s38, s1, s9
.LBB54_881:
	s_or_b32 exec_lo, exec_lo, s37
	s_delay_alu instid0(SALU_CYCLE_1)
	s_and_not1_b32 s1, s35, exec_lo
	s_and_b32 s9, s38, exec_lo
	s_and_b32 s37, s39, exec_lo
	;; [unrolled: 1-line block ×3, first 2 shown]
	s_or_b32 s35, s1, s9
.LBB54_882:
	s_or_b32 exec_lo, exec_lo, s36
	s_delay_alu instid0(SALU_CYCLE_1)
	s_and_not1_b32 s1, s33, exec_lo
	s_and_b32 s9, s35, exec_lo
	s_and_b32 s36, s37, exec_lo
	;; [unrolled: 1-line block ×3, first 2 shown]
	s_or_b32 s33, s1, s9
	s_or_b32 exec_lo, exec_lo, s34
	s_mov_b32 s0, 0
	s_and_saveexec_b32 s1, s33
	s_cbranch_execz .LBB54_110
.LBB54_883:
	s_cbranch_execnz .LBB54_885
; %bb.884:
	s_mov_b32 s0, exec_lo
	s_and_not1_b32 s35, s35, exec_lo
	s_or_b32 exec_lo, exec_lo, s1
	s_and_saveexec_b32 s1, s35
	s_delay_alu instid0(SALU_CYCLE_1)
	s_xor_b32 s1, exec_lo, s1
	s_cbranch_execnz .LBB54_111
	s_branch .LBB54_112
.LBB54_885:
	s_trap 2
	s_sendmsg_rtn_b32 s0, sendmsg(MSG_RTN_GET_DOORBELL)
	s_mov_b32 ttmp2, m0
	s_waitcnt lgkmcnt(0)
	s_and_b32 s0, s0, 0x3ff
	s_delay_alu instid0(SALU_CYCLE_1) | instskip(NEXT) | instid1(SALU_CYCLE_1)
	s_bitset1_b32 s0, 10
	s_mov_b32 m0, s0
	s_sendmsg sendmsg(MSG_INTERRUPT)
	s_mov_b32 m0, ttmp2
.LBB54_886:                             ; =>This Inner Loop Header: Depth=1
	s_sethalt 5
	s_branch .LBB54_886
.LBB54_887:
	s_mov_b32 s5, -1
	s_mov_b32 s4, 0
                                        ; implicit-def: $sgpr6
.LBB54_888:
	v_mov_b32_e32 v3, s6
	s_and_not1_b32 vcc_lo, exec_lo, s5
                                        ; implicit-def: $sgpr5
	s_cbranch_vccnz .LBB54_890
; %bb.889:
	v_add_f32_e64 v3, 0x42800000, |s7|
	s_mov_b32 s5, 0
	s_delay_alu instid0(VALU_DEP_1) | instskip(NEXT) | instid1(VALU_DEP_1)
	v_and_b32_e32 v3, 0xff, v3
	v_cmp_ne_u32_e64 s4, 0, v3
.LBB54_890:
	v_mov_b32_e32 v4, s5
	s_delay_alu instid0(VALU_DEP_2)
	s_and_not1_b32 vcc_lo, exec_lo, s4
	s_cbranch_vccnz .LBB54_892
; %bb.891:
	s_lshr_b32 s4, s7, 24
	s_delay_alu instid0(SALU_CYCLE_1) | instskip(NEXT) | instid1(SALU_CYCLE_1)
	s_and_b32 s4, s4, 0x80
	v_or_b32_e32 v4, s4, v3
.LBB54_892:
	s_mov_b32 s4, 0
	global_store_b8 v[0:1], v4, off
.LBB54_893:
	s_and_b32 vcc_lo, exec_lo, s4
	s_cbranch_vccz .LBB54_905
; %bb.894:
	s_and_b32 s4, s7, 0x7fffffff
	s_delay_alu instid0(SALU_CYCLE_1)
	s_cmp_lt_u32 s4, 0x43f00000
	s_cbranch_scc0 .LBB54_897
; %bb.895:
	s_cmp_gt_u32 s4, 0x3c7fffff
	s_cbranch_scc0 .LBB54_898
; %bb.896:
	s_bfe_u32 s5, s7, 0x10014
	s_delay_alu instid0(SALU_CYCLE_1) | instskip(NEXT) | instid1(SALU_CYCLE_1)
	s_add_i32 s5, s7, s5
	s_add_i32 s5, s5, 0x407ffff
	s_delay_alu instid0(SALU_CYCLE_1)
	s_and_b32 s6, s5, 0xff00000
	s_lshr_b32 s5, s5, 20
	s_cmp_lg_u32 s6, 0x7f00000
	s_cselect_b32 s6, s5, 0x7e
	s_mov_b32 s5, 0
	s_branch .LBB54_899
.LBB54_897:
	s_mov_b32 s5, -1
                                        ; implicit-def: $vgpr3
	s_branch .LBB54_902
.LBB54_898:
	s_mov_b32 s5, -1
                                        ; implicit-def: $sgpr6
.LBB54_899:
	v_mov_b32_e32 v3, s6
	s_and_not1_b32 vcc_lo, exec_lo, s5
	s_cbranch_vccnz .LBB54_901
; %bb.900:
	v_add_f32_e64 v3, 0x46800000, |s7|
.LBB54_901:
	s_mov_b32 s5, 0
.LBB54_902:
	s_delay_alu instid0(SALU_CYCLE_1)
	s_and_not1_b32 vcc_lo, exec_lo, s5
	s_cbranch_vccnz .LBB54_904
; %bb.903:
	s_cmp_gt_u32 s4, 0x7f800000
	s_movk_i32 s4, 0x7f
	s_delay_alu instid0(SALU_CYCLE_1) | instskip(NEXT) | instid1(SALU_CYCLE_1)
	s_cselect_b32 s4, s4, 0x7e
	v_mov_b32_e32 v3, s4
.LBB54_904:
	s_lshr_b32 s4, s7, 24
	s_delay_alu instid0(SALU_CYCLE_1)
	s_and_b32 s4, s4, 0x80
	s_delay_alu instid0(VALU_DEP_1) | instid1(SALU_CYCLE_1)
	v_or_b32_e32 v3, s4, v3
	global_store_b8 v[0:1], v3, off
.LBB54_905:
	s_mov_b32 s4, 0
.LBB54_906:
	s_delay_alu instid0(SALU_CYCLE_1)
	s_and_not1_b32 vcc_lo, exec_lo, s4
	s_cbranch_vccnz .LBB54_918
; %bb.907:
	s_and_b32 s4, s7, 0x7fffffff
	s_delay_alu instid0(SALU_CYCLE_1)
	s_cmp_lt_u32 s4, 0x47800000
	s_cbranch_scc0 .LBB54_910
; %bb.908:
	s_cmp_gt_u32 s4, 0x387fffff
	s_cbranch_scc0 .LBB54_911
; %bb.909:
	s_bfe_u32 s5, s7, 0x10015
	s_delay_alu instid0(SALU_CYCLE_1) | instskip(NEXT) | instid1(SALU_CYCLE_1)
	s_add_i32 s5, s7, s5
	s_add_i32 s5, s5, 0x80fffff
	s_delay_alu instid0(SALU_CYCLE_1)
	s_lshr_b32 s6, s5, 21
	s_mov_b32 s5, 0
	s_branch .LBB54_912
.LBB54_910:
	s_mov_b32 s5, -1
                                        ; implicit-def: $vgpr3
	s_branch .LBB54_915
.LBB54_911:
	s_mov_b32 s5, -1
                                        ; implicit-def: $sgpr6
.LBB54_912:
	v_mov_b32_e32 v3, s6
	s_and_not1_b32 vcc_lo, exec_lo, s5
	s_cbranch_vccnz .LBB54_914
; %bb.913:
	v_add_f32_e64 v3, 0x43000000, |s7|
.LBB54_914:
	s_mov_b32 s5, 0
.LBB54_915:
	s_delay_alu instid0(SALU_CYCLE_1)
	s_and_not1_b32 vcc_lo, exec_lo, s5
	s_cbranch_vccnz .LBB54_917
; %bb.916:
	s_cmp_gt_u32 s4, 0x7f800000
	s_movk_i32 s4, 0x7f
	s_delay_alu instid0(SALU_CYCLE_1) | instskip(NEXT) | instid1(SALU_CYCLE_1)
	s_cselect_b32 s4, s4, 0x7c
	v_mov_b32_e32 v3, s4
.LBB54_917:
	s_lshr_b32 s4, s7, 24
	s_delay_alu instid0(SALU_CYCLE_1)
	s_and_b32 s4, s4, 0x80
	s_delay_alu instid0(VALU_DEP_1) | instid1(SALU_CYCLE_1)
	v_or_b32_e32 v3, s4, v3
	global_store_b8 v[0:1], v3, off
.LBB54_918:
	s_mov_b32 s4, 0
.LBB54_919:
	s_delay_alu instid0(SALU_CYCLE_1)
	s_and_not1_b32 vcc_lo, exec_lo, s4
	s_mov_b32 s4, 0
	s_cbranch_vccnz .LBB54_926
; %bb.920:
	v_cmp_lt_i16_e32 vcc_lo, 14, v2
	s_mov_b32 s4, -1
	s_cbranch_vccz .LBB54_924
; %bb.921:
	v_cmp_eq_u16_e32 vcc_lo, 15, v2
	s_mov_b32 s0, -1
	s_cbranch_vccz .LBB54_923
; %bb.922:
	s_bfe_u32 s0, s7, 0x10010
	v_cmp_o_f32_e64 s4, s7, s7
	s_add_i32 s0, s7, s0
	s_delay_alu instid0(SALU_CYCLE_1) | instskip(NEXT) | instid1(SALU_CYCLE_1)
	s_addk_i32 s0, 0x7fff
	s_lshr_b32 s0, s0, 16
	s_delay_alu instid0(VALU_DEP_1) | instskip(SKIP_1) | instid1(SALU_CYCLE_1)
	s_and_b32 s4, s4, exec_lo
	s_cselect_b32 s0, s0, 0x7fc0
	v_mov_b32_e32 v3, s0
	s_mov_b32 s0, 0
	global_store_b16 v[0:1], v3, off
.LBB54_923:
	s_mov_b32 s4, 0
.LBB54_924:
	s_delay_alu instid0(SALU_CYCLE_1)
	s_and_b32 vcc_lo, exec_lo, s4
	s_mov_b32 s4, 0
	s_cbranch_vccz .LBB54_926
; %bb.925:
	v_cmp_ne_u16_e64 s0, 11, v2
	s_mov_b32 s4, -1
.LBB54_926:
	s_delay_alu instid0(VALU_DEP_1)
	s_and_b32 vcc_lo, exec_lo, s0
	s_cbranch_vccnz .LBB54_928
.LBB54_927:
	s_mov_b32 s0, 0
	s_branch .LBB54_680
.LBB54_928:
	s_cbranch_execnz .LBB54_930
; %bb.929:
	s_mov_b32 s4, 0
	s_or_b32 s3, s3, exec_lo
	s_branch .LBB54_927
.LBB54_930:
	s_trap 2
	s_sendmsg_rtn_b32 s0, sendmsg(MSG_RTN_GET_DOORBELL)
	s_mov_b32 ttmp2, m0
	s_waitcnt lgkmcnt(0)
	s_and_b32 s0, s0, 0x3ff
	s_delay_alu instid0(SALU_CYCLE_1) | instskip(NEXT) | instid1(SALU_CYCLE_1)
	s_bitset1_b32 s0, 10
	s_mov_b32 m0, s0
	s_sendmsg sendmsg(MSG_INTERRUPT)
	s_mov_b32 m0, ttmp2
.LBB54_931:                             ; =>This Inner Loop Header: Depth=1
	s_sethalt 5
	s_branch .LBB54_931
	.section	.rodata,"a",@progbits
	.p2align	6, 0x0
	.amdhsa_kernel _ZN2at6native32elementwise_kernel_manual_unrollILi128ELi4EZNS0_15gpu_kernel_implINS0_11FillFunctorIfEEEEvRNS_18TensorIteratorBaseERKT_EUlibE_EEviT1_
		.amdhsa_group_segment_fixed_size 0
		.amdhsa_private_segment_fixed_size 0
		.amdhsa_kernarg_size 32
		.amdhsa_user_sgpr_count 15
		.amdhsa_user_sgpr_dispatch_ptr 0
		.amdhsa_user_sgpr_queue_ptr 0
		.amdhsa_user_sgpr_kernarg_segment_ptr 1
		.amdhsa_user_sgpr_dispatch_id 0
		.amdhsa_user_sgpr_private_segment_size 0
		.amdhsa_wavefront_size32 1
		.amdhsa_uses_dynamic_stack 0
		.amdhsa_enable_private_segment 0
		.amdhsa_system_sgpr_workgroup_id_x 1
		.amdhsa_system_sgpr_workgroup_id_y 0
		.amdhsa_system_sgpr_workgroup_id_z 0
		.amdhsa_system_sgpr_workgroup_info 0
		.amdhsa_system_vgpr_workitem_id 0
		.amdhsa_next_free_vgpr 18
		.amdhsa_next_free_sgpr 41
		.amdhsa_reserve_vcc 1
		.amdhsa_float_round_mode_32 0
		.amdhsa_float_round_mode_16_64 0
		.amdhsa_float_denorm_mode_32 3
		.amdhsa_float_denorm_mode_16_64 3
		.amdhsa_dx10_clamp 1
		.amdhsa_ieee_mode 1
		.amdhsa_fp16_overflow 0
		.amdhsa_workgroup_processor_mode 1
		.amdhsa_memory_ordered 1
		.amdhsa_forward_progress 0
		.amdhsa_shared_vgpr_count 0
		.amdhsa_exception_fp_ieee_invalid_op 0
		.amdhsa_exception_fp_denorm_src 0
		.amdhsa_exception_fp_ieee_div_zero 0
		.amdhsa_exception_fp_ieee_overflow 0
		.amdhsa_exception_fp_ieee_underflow 0
		.amdhsa_exception_fp_ieee_inexact 0
		.amdhsa_exception_int_div_zero 0
	.end_amdhsa_kernel
	.section	.text._ZN2at6native32elementwise_kernel_manual_unrollILi128ELi4EZNS0_15gpu_kernel_implINS0_11FillFunctorIfEEEEvRNS_18TensorIteratorBaseERKT_EUlibE_EEviT1_,"axG",@progbits,_ZN2at6native32elementwise_kernel_manual_unrollILi128ELi4EZNS0_15gpu_kernel_implINS0_11FillFunctorIfEEEEvRNS_18TensorIteratorBaseERKT_EUlibE_EEviT1_,comdat
.Lfunc_end54:
	.size	_ZN2at6native32elementwise_kernel_manual_unrollILi128ELi4EZNS0_15gpu_kernel_implINS0_11FillFunctorIfEEEEvRNS_18TensorIteratorBaseERKT_EUlibE_EEviT1_, .Lfunc_end54-_ZN2at6native32elementwise_kernel_manual_unrollILi128ELi4EZNS0_15gpu_kernel_implINS0_11FillFunctorIfEEEEvRNS_18TensorIteratorBaseERKT_EUlibE_EEviT1_
                                        ; -- End function
	.section	.AMDGPU.csdata,"",@progbits
; Kernel info:
; codeLenInByte = 14272
; NumSgprs: 43
; NumVgprs: 18
; ScratchSize: 0
; MemoryBound: 0
; FloatMode: 240
; IeeeMode: 1
; LDSByteSize: 0 bytes/workgroup (compile time only)
; SGPRBlocks: 5
; VGPRBlocks: 2
; NumSGPRsForWavesPerEU: 43
; NumVGPRsForWavesPerEU: 18
; Occupancy: 16
; WaveLimiterHint : 0
; COMPUTE_PGM_RSRC2:SCRATCH_EN: 0
; COMPUTE_PGM_RSRC2:USER_SGPR: 15
; COMPUTE_PGM_RSRC2:TRAP_HANDLER: 0
; COMPUTE_PGM_RSRC2:TGID_X_EN: 1
; COMPUTE_PGM_RSRC2:TGID_Y_EN: 0
; COMPUTE_PGM_RSRC2:TGID_Z_EN: 0
; COMPUTE_PGM_RSRC2:TIDIG_COMP_CNT: 0
	.section	.text._ZN2at6native32elementwise_kernel_manual_unrollILi128ELi4EZNS0_15gpu_kernel_implINS0_11FillFunctorIfEEEEvRNS_18TensorIteratorBaseERKT_EUlibE0_EEviT1_,"axG",@progbits,_ZN2at6native32elementwise_kernel_manual_unrollILi128ELi4EZNS0_15gpu_kernel_implINS0_11FillFunctorIfEEEEvRNS_18TensorIteratorBaseERKT_EUlibE0_EEviT1_,comdat
	.protected	_ZN2at6native32elementwise_kernel_manual_unrollILi128ELi4EZNS0_15gpu_kernel_implINS0_11FillFunctorIfEEEEvRNS_18TensorIteratorBaseERKT_EUlibE0_EEviT1_ ; -- Begin function _ZN2at6native32elementwise_kernel_manual_unrollILi128ELi4EZNS0_15gpu_kernel_implINS0_11FillFunctorIfEEEEvRNS_18TensorIteratorBaseERKT_EUlibE0_EEviT1_
	.globl	_ZN2at6native32elementwise_kernel_manual_unrollILi128ELi4EZNS0_15gpu_kernel_implINS0_11FillFunctorIfEEEEvRNS_18TensorIteratorBaseERKT_EUlibE0_EEviT1_
	.p2align	8
	.type	_ZN2at6native32elementwise_kernel_manual_unrollILi128ELi4EZNS0_15gpu_kernel_implINS0_11FillFunctorIfEEEEvRNS_18TensorIteratorBaseERKT_EUlibE0_EEviT1_,@function
_ZN2at6native32elementwise_kernel_manual_unrollILi128ELi4EZNS0_15gpu_kernel_implINS0_11FillFunctorIfEEEEvRNS_18TensorIteratorBaseERKT_EUlibE0_EEviT1_: ; @_ZN2at6native32elementwise_kernel_manual_unrollILi128ELi4EZNS0_15gpu_kernel_implINS0_11FillFunctorIfEEEEvRNS_18TensorIteratorBaseERKT_EUlibE0_EEviT1_
; %bb.0:
	s_clause 0x1
	s_load_b32 s20, s[0:1], 0x8
	s_load_b32 s50, s[0:1], 0x0
	v_lshl_or_b32 v11, s15, 9, v0
	s_or_b32 s0, s0, 8
	s_mov_b32 s16, -1
	s_mov_b32 s22, 0
	s_mov_b32 s6, 0
	v_or_b32_e32 v4, 0x180, v11
	s_mov_b32 s2, exec_lo
	s_waitcnt lgkmcnt(0)
	s_add_i32 s21, s20, -1
	s_delay_alu instid0(SALU_CYCLE_1)
	s_cmp_gt_u32 s21, 1
	s_cselect_b32 s23, -1, 0
	v_cmpx_le_i32_e64 s50, v4
	s_xor_b32 s24, exec_lo, s2
	s_cbranch_execz .LBB55_159
; %bb.1:
	s_clause 0x1
	s_load_b128 s[4:7], s[0:1], 0x108
	s_load_b64 s[2:3], s[0:1], 0xc4
	s_cmp_lg_u32 s20, 0
	s_movk_i32 s27, 0x7f
	s_cselect_b32 s52, -1, 0
	s_add_u32 s14, s0, 0xc4
	s_addc_u32 s15, s1, 0
	s_min_u32 s51, s21, 15
	s_cmp_gt_u32 s20, 1
	s_movk_i32 s31, 0x7c
	s_cselect_b32 s49, -1, 0
	s_mov_b32 s55, 0
	s_mov_b32 s53, 0
	s_mov_b32 s54, exec_lo
	s_waitcnt lgkmcnt(0)
	s_bfe_u32 s8, s6, 0x80017
	s_lshr_b32 s17, s6, 23
	s_cmpk_eq_i32 s8, 0xff
	v_add_f32_e64 v0, 0x46000000, |s6|
	s_cselect_b32 s48, -1, 0
	s_bitcmp1_b32 s6, 22
	v_trunc_f32_e32 v2, s6
	s_cselect_b32 s9, -1, 0
	s_and_b32 s10, s6, 0x3fffff
	v_readfirstlane_b32 s38, v0
	s_or_b32 s8, s8, s10
	v_add_f32_e64 v0, 0x42800000, |s6|
	s_cmp_lg_u32 s8, 0
	v_mul_f32_e32 v4, 0x2f800000, v2
	s_cselect_b32 s8, -1, 0
	s_and_b32 s18, s6, 0x7fffffff
	s_and_b32 s19, s9, s8
	s_cmp_lt_u32 s18, 0x43800000
	v_readfirstlane_b32 s30, v0
	s_cselect_b32 s44, -1, 0
	s_cmp_gt_u32 s18, 0x3bffffff
	v_cvt_f64_f32_e32 v[0:1], s6
	s_cselect_b32 s39, -1, 0
	s_bfe_u32 s25, s6, 0x10014
	s_and_b32 s26, s38, 0xff
	s_add_i32 s28, s6, s25
	v_mul_f32_e64 v5, 0x2f800000, |v2|
	s_add_i32 s25, s28, 0x487ffff
	v_floor_f32_e32 v4, v4
	s_lshr_b32 s46, s25, 20
	s_cmp_lg_u32 s26, 0
	v_floor_f32_e32 v5, v5
	s_cselect_b32 s47, -1, 0
	s_lshr_b32 s25, s6, 24
	v_cndmask_b32_e64 v6, 0, 1, s19
	s_and_b32 s25, s25, 0x80
	s_cmp_gt_u32 s18, 0x477fffff
	v_cvt_u32_f32_e32 v7, v4
	s_cselect_b32 s26, -1, 0
	s_cmp_lt_u32 s18, 0x47800000
	v_fmamk_f32 v4, v4, 0xcf800000, v2
	s_cselect_b32 s40, -1, 0
	s_cmp_gt_u32 s18, 0x37ffffff
	v_add_f32_e64 v3, 0x46800000, |s6|
	s_cselect_b32 s34, -1, 0
	s_bfe_u32 s29, s6, 0x10015
	s_and_b32 s35, s30, 0xff
	s_add_i32 s29, s6, s29
	v_fma_f32 v8, 0xcf800000, v5, |v2|
	s_add_i32 s33, s29, 0x88fffff
	s_clause 0x1
	s_load_b128 s[8:11], s[0:1], 0x4
	s_load_b64 s[12:13], s[0:1], 0x14
	s_lshr_b32 s41, s33, 21
	s_cmp_lg_u32 s35, 0
	v_add_nc_u32_e32 v16, s17, v6
	s_cselect_b32 s45, -1, 0
	s_cmp_gt_u32 s18, 0x43efffff
	v_cvt_u32_f32_e32 v6, v4
	s_cselect_b32 s33, -1, 0
	s_cmp_lt_u32 s18, 0x3c800000
	v_add_f32_e64 v4, 0x43000000, |s6|
	s_cselect_b32 s35, -1, 0
	s_add_i32 s28, s28, 0x407ffff
	v_readfirstlane_b32 s43, v3
	s_and_b32 s19, s28, 0xff00000
	s_lshr_b32 s28, s28, 20
	s_cmp_lg_u32 s19, 0x7f00000
	v_cvt_u32_f32_e32 v3, v8
	s_cselect_b32 s37, s28, 0x7e
	s_cmp_lt_u32 s18, 0x38800000
	v_ashrrev_i32_e32 v2, 31, v2
	s_cselect_b32 s28, -1, 0
	s_add_i32 s29, s29, 0x80fffff
	v_readfirstlane_b32 s36, v4
	v_cvt_u32_f32_e32 v4, v5
	s_lshr_b32 s29, s29, 21
	s_cmp_gt_u32 s18, 0x7f800000
	v_xor_b32_e32 v3, v3, v2
	s_cselect_b32 s42, s27, 0x7e
	s_cselect_b32 s31, 0x7f, s31
	s_bfe_u32 s17, s6, 0x10010
	v_cvt_f16_f32_e32 v12, s6
	v_cmp_neq_f32_e64 s19, s6, 0
	v_xor_b32_e32 v5, v4, v2
	s_add_i32 s17, s6, s17
	v_cmp_o_f32_e64 s18, s6, s6
	v_sub_co_u32 v4, vcc_lo, v3, v2
	s_addk_i32 s17, 0x7fff
	v_cvt_u32_f32_e32 v15, s6
	v_cndmask_b32_e64 v14, 0, 1, s19
	v_and_b32_e32 v13, 0xffff, v12
	v_sub_co_ci_u32_e32 v5, vcc_lo, v5, v2, vcc_lo
	v_cvt_i32_f32_e32 v10, s6
	s_lshr_b32 s17, s17, 16
	s_and_b32 s18, s18, exec_lo
	s_cselect_b32 s27, s17, 0x7fc0
	v_cmpx_gt_i32_e64 s50, v11
	s_cbranch_execz .LBB55_110
; %bb.2:
	s_and_not1_b32 vcc_lo, exec_lo, s23
	s_cbranch_vccnz .LBB55_7
; %bb.3:
	v_mov_b32_e32 v2, 0
	s_and_not1_b32 vcc_lo, exec_lo, s52
	s_cbranch_vccnz .LBB55_12
; %bb.4:
	s_add_i32 s56, s51, 1
	s_cmp_eq_u32 s21, 2
	s_cbranch_scc1 .LBB55_8
; %bb.5:
	v_dual_mov_b32 v2, 0 :: v_dual_mov_b32 v3, v11
	s_and_b32 s53, s56, 28
	s_mov_b32 s57, 0
	s_mov_b64 s[16:17], s[0:1]
	s_mov_b64 s[18:19], s[14:15]
.LBB55_6:                               ; =>This Inner Loop Header: Depth=1
	s_clause 0x1
	s_load_b256 s[60:67], s[16:17], 0x4
	s_load_b128 s[68:71], s[16:17], 0x24
	s_load_b128 s[72:75], s[18:19], 0x0
	s_add_u32 s16, s16, 48
	s_addc_u32 s17, s17, 0
	s_add_i32 s57, s57, 4
	s_add_u32 s18, s18, 16
	s_addc_u32 s19, s19, 0
	s_cmp_lg_u32 s53, s57
	s_waitcnt lgkmcnt(0)
	v_mul_hi_u32 v8, s61, v3
	s_delay_alu instid0(VALU_DEP_1) | instskip(NEXT) | instid1(VALU_DEP_1)
	v_add_nc_u32_e32 v8, v3, v8
	v_lshrrev_b32_e32 v8, s62, v8
	s_delay_alu instid0(VALU_DEP_1) | instskip(SKIP_1) | instid1(VALU_DEP_2)
	v_mul_hi_u32 v9, s64, v8
	v_mul_lo_u32 v19, v8, s60
	v_add_nc_u32_e32 v9, v8, v9
	s_delay_alu instid0(VALU_DEP_2) | instskip(NEXT) | instid1(VALU_DEP_2)
	v_sub_nc_u32_e32 v19, v3, v19
	v_lshrrev_b32_e32 v9, s65, v9
	s_delay_alu instid0(VALU_DEP_2) | instskip(NEXT) | instid1(VALU_DEP_2)
	v_mul_lo_u32 v19, v19, s72
	v_mul_hi_u32 v17, s67, v9
	v_mul_lo_u32 v20, v9, s63
	s_delay_alu instid0(VALU_DEP_2) | instskip(NEXT) | instid1(VALU_DEP_2)
	v_add_nc_u32_e32 v17, v9, v17
	v_sub_nc_u32_e32 v8, v8, v20
	s_delay_alu instid0(VALU_DEP_2) | instskip(NEXT) | instid1(VALU_DEP_2)
	v_lshrrev_b32_e32 v17, s68, v17
	v_mul_lo_u32 v8, v8, s73
	s_delay_alu instid0(VALU_DEP_2) | instskip(NEXT) | instid1(VALU_DEP_2)
	v_mul_hi_u32 v18, s70, v17
	v_add3_u32 v2, v19, v2, v8
	s_delay_alu instid0(VALU_DEP_2) | instskip(NEXT) | instid1(VALU_DEP_1)
	v_add_nc_u32_e32 v18, v17, v18
	v_lshrrev_b32_e32 v3, s71, v18
	v_mul_lo_u32 v18, v17, s66
	s_delay_alu instid0(VALU_DEP_2) | instskip(NEXT) | instid1(VALU_DEP_2)
	v_mul_lo_u32 v21, v3, s69
	v_sub_nc_u32_e32 v9, v9, v18
	s_delay_alu instid0(VALU_DEP_2) | instskip(NEXT) | instid1(VALU_DEP_2)
	v_sub_nc_u32_e32 v17, v17, v21
	v_mul_lo_u32 v9, v9, s74
	s_delay_alu instid0(VALU_DEP_2) | instskip(NEXT) | instid1(VALU_DEP_1)
	v_mul_lo_u32 v17, v17, s75
	v_add3_u32 v2, v9, v2, v17
	s_cbranch_scc1 .LBB55_6
	s_branch .LBB55_9
.LBB55_7:
                                        ; implicit-def: $vgpr2
	s_and_not1_b32 vcc_lo, exec_lo, s16
	s_cbranch_vccz .LBB55_13
	s_branch .LBB55_15
.LBB55_8:
	v_mov_b32_e32 v3, v11
.LBB55_9:
	s_and_b32 s56, s56, 3
	s_delay_alu instid0(SALU_CYCLE_1)
	s_cmp_eq_u32 s56, 0
	s_cbranch_scc1 .LBB55_12
; %bb.10:
	s_lshl_b32 s16, s53, 2
	s_mul_i32 s18, s53, 12
	s_add_u32 s16, s16, s0
	s_addc_u32 s17, s1, 0
	s_add_u32 s16, s16, 0xc4
	s_addc_u32 s17, s17, 0
	;; [unrolled: 2-line block ×3, first 2 shown]
	.p2align	6
.LBB55_11:                              ; =>This Inner Loop Header: Depth=1
	s_clause 0x1
	s_load_b64 s[58:59], s[18:19], 0x4
	s_load_b32 s53, s[18:19], 0xc
	s_load_b32 s57, s[16:17], 0x0
	s_add_u32 s18, s18, 12
	s_addc_u32 s19, s19, 0
	s_add_u32 s16, s16, 4
	s_addc_u32 s17, s17, 0
	s_add_i32 s56, s56, -1
	s_delay_alu instid0(SALU_CYCLE_1) | instskip(SKIP_2) | instid1(VALU_DEP_1)
	s_cmp_lg_u32 s56, 0
	s_waitcnt lgkmcnt(0)
	v_mul_hi_u32 v8, s59, v3
	v_add_nc_u32_e32 v8, v3, v8
	s_delay_alu instid0(VALU_DEP_1) | instskip(NEXT) | instid1(VALU_DEP_1)
	v_lshrrev_b32_e32 v17, s53, v8
	v_mul_lo_u32 v8, v17, s58
	s_delay_alu instid0(VALU_DEP_1) | instskip(NEXT) | instid1(VALU_DEP_1)
	v_sub_nc_u32_e32 v3, v3, v8
	v_mad_u64_u32 v[8:9], null, v3, s57, v[2:3]
	s_delay_alu instid0(VALU_DEP_1)
	v_dual_mov_b32 v3, v17 :: v_dual_mov_b32 v2, v8
	s_cbranch_scc1 .LBB55_11
.LBB55_12:
	s_cbranch_execnz .LBB55_15
.LBB55_13:
	s_waitcnt lgkmcnt(0)
	v_mul_hi_u32 v2, s9, v11
	s_and_not1_b32 vcc_lo, exec_lo, s49
	s_delay_alu instid0(VALU_DEP_1) | instskip(NEXT) | instid1(VALU_DEP_1)
	v_add_nc_u32_e32 v2, v11, v2
	v_lshrrev_b32_e32 v3, s10, v2
	s_delay_alu instid0(VALU_DEP_1) | instskip(NEXT) | instid1(VALU_DEP_1)
	v_mul_lo_u32 v2, v3, s8
	v_sub_nc_u32_e32 v2, v11, v2
	s_delay_alu instid0(VALU_DEP_1)
	v_mul_lo_u32 v2, v2, s2
	s_cbranch_vccnz .LBB55_15
; %bb.14:
	v_mul_hi_u32 v8, s12, v3
	s_delay_alu instid0(VALU_DEP_1) | instskip(NEXT) | instid1(VALU_DEP_1)
	v_add_nc_u32_e32 v8, v3, v8
	v_lshrrev_b32_e32 v8, s13, v8
	s_delay_alu instid0(VALU_DEP_1) | instskip(NEXT) | instid1(VALU_DEP_1)
	v_mul_lo_u32 v8, v8, s11
	v_sub_nc_u32_e32 v3, v3, v8
	s_delay_alu instid0(VALU_DEP_1) | instskip(NEXT) | instid1(VALU_DEP_1)
	v_mad_u64_u32 v[8:9], null, v3, s3, v[2:3]
	v_mov_b32_e32 v2, v8
.LBB55_15:
	v_and_b32_e64 v17, 0xff, s7
	s_delay_alu instid0(VALU_DEP_2) | instskip(NEXT) | instid1(VALU_DEP_1)
	v_add_co_u32 v8, s17, s4, v2
	v_add_co_ci_u32_e64 v9, null, s5, 0, s17
	s_delay_alu instid0(VALU_DEP_3)
	v_cmp_gt_i16_e32 vcc_lo, 11, v17
	s_mov_b32 s16, 0
	s_mov_b32 s18, -1
	s_mov_b32 s17, 0
	s_cbranch_vccnz .LBB55_69
; %bb.16:
	v_cmp_lt_i16_e32 vcc_lo, 25, v17
	s_cbranch_vccz .LBB55_44
; %bb.17:
	v_cmp_lt_i16_e32 vcc_lo, 28, v17
	s_cbranch_vccz .LBB55_30
	;; [unrolled: 3-line block ×4, first 2 shown]
; %bb.20:
	v_cmp_eq_u16_e32 vcc_lo, 46, v17
	s_mov_b32 s18, 0
	s_mov_b32 s16, -1
	s_cbranch_vccz .LBB55_22
; %bb.21:
	v_mov_b32_e32 v2, s27
	s_mov_b32 s17, -1
	s_mov_b32 s16, 0
	global_store_b32 v[8:9], v2, off
.LBB55_22:
	s_and_b32 vcc_lo, exec_lo, s18
	s_cbranch_vccz .LBB55_25
; %bb.23:
	v_cmp_eq_u16_e32 vcc_lo, 44, v17
	s_mov_b32 s16, -1
	s_cbranch_vccz .LBB55_25
; %bb.24:
	v_cndmask_b32_e64 v2, v16, 0xff, s48
	s_mov_b32 s17, -1
	s_mov_b32 s16, 0
	global_store_b8 v[8:9], v2, off
.LBB55_25:
	s_mov_b32 s18, 0
.LBB55_26:
	s_delay_alu instid0(SALU_CYCLE_1)
	s_and_b32 vcc_lo, exec_lo, s18
	s_cbranch_vccz .LBB55_29
; %bb.27:
	v_cmp_eq_u16_e32 vcc_lo, 29, v17
	s_mov_b32 s16, -1
	s_cbranch_vccz .LBB55_29
; %bb.28:
	s_mov_b32 s17, -1
	s_mov_b32 s16, 0
	global_store_b64 v[8:9], v[6:7], off
.LBB55_29:
	s_mov_b32 s18, 0
.LBB55_30:
	s_delay_alu instid0(SALU_CYCLE_1)
	s_and_b32 vcc_lo, exec_lo, s18
	s_cbranch_vccz .LBB55_43
; %bb.31:
	v_cmp_gt_i16_e32 vcc_lo, 27, v17
	s_mov_b32 s17, -1
	s_cbranch_vccnz .LBB55_37
; %bb.32:
	v_cmp_lt_i16_e32 vcc_lo, 27, v17
	s_cbranch_vccz .LBB55_34
; %bb.33:
	s_mov_b32 s17, 0
	global_store_b32 v[8:9], v15, off
.LBB55_34:
	s_and_not1_b32 vcc_lo, exec_lo, s17
	s_cbranch_vccnz .LBB55_36
; %bb.35:
	global_store_b16 v[8:9], v15, off
.LBB55_36:
	s_mov_b32 s17, 0
.LBB55_37:
	s_delay_alu instid0(SALU_CYCLE_1)
	s_and_not1_b32 vcc_lo, exec_lo, s17
	s_cbranch_vccnz .LBB55_42
; %bb.38:
	s_and_not1_b32 vcc_lo, exec_lo, s44
	s_movk_i32 s17, 0x80
	s_cbranch_vccnz .LBB55_41
; %bb.39:
	s_or_b32 s17, s39, s47
	s_delay_alu instid0(SALU_CYCLE_1)
	s_and_not1_b32 vcc_lo, exec_lo, s17
	s_mov_b32 s17, 0
	s_cbranch_vccnz .LBB55_41
; %bb.40:
	s_and_b32 s17, s39, exec_lo
	s_cselect_b32 s17, s46, s38
	s_delay_alu instid0(SALU_CYCLE_1)
	s_or_b32 s17, s17, s25
.LBB55_41:
	s_delay_alu instid0(SALU_CYCLE_1)
	v_mov_b32_e32 v2, s17
	global_store_b8 v[8:9], v2, off
.LBB55_42:
	s_mov_b32 s17, -1
.LBB55_43:
	s_mov_b32 s18, 0
.LBB55_44:
	s_delay_alu instid0(SALU_CYCLE_1)
	s_and_b32 vcc_lo, exec_lo, s18
	s_cbranch_vccz .LBB55_66
; %bb.45:
	v_cmp_lt_i16_e32 vcc_lo, 22, v17
	s_mov_b32 s18, -1
	s_cbranch_vccz .LBB55_58
; %bb.46:
	v_cmp_gt_i16_e32 vcc_lo, 24, v17
	s_mov_b32 s17, -1
	s_cbranch_vccnz .LBB55_55
; %bb.47:
	v_cmp_lt_i16_e32 vcc_lo, 24, v17
	s_cbranch_vccz .LBB55_52
; %bb.48:
	s_and_not1_b32 vcc_lo, exec_lo, s40
	s_movk_i32 s17, 0x80
	s_cbranch_vccnz .LBB55_51
; %bb.49:
	s_or_b32 s17, s34, s45
	s_delay_alu instid0(SALU_CYCLE_1)
	s_and_not1_b32 vcc_lo, exec_lo, s17
	s_mov_b32 s17, 0
	s_cbranch_vccnz .LBB55_51
; %bb.50:
	s_and_b32 s17, s34, exec_lo
	s_cselect_b32 s17, s41, s30
	s_delay_alu instid0(SALU_CYCLE_1)
	s_or_b32 s17, s17, s25
.LBB55_51:
	s_delay_alu instid0(SALU_CYCLE_1)
	v_mov_b32_e32 v2, s17
	s_mov_b32 s17, 0
	global_store_b8 v[8:9], v2, off
.LBB55_52:
	s_and_b32 vcc_lo, exec_lo, s17
	s_cbranch_vccz .LBB55_54
; %bb.53:
	s_and_b32 s17, s35, exec_lo
	s_cselect_b32 s17, s43, s37
	s_and_b32 s18, s33, exec_lo
	s_cselect_b32 s17, s42, s17
	s_delay_alu instid0(SALU_CYCLE_1) | instskip(NEXT) | instid1(SALU_CYCLE_1)
	s_or_b32 s17, s17, s25
	v_mov_b32_e32 v2, s17
	global_store_b8 v[8:9], v2, off
.LBB55_54:
	s_mov_b32 s17, 0
.LBB55_55:
	s_delay_alu instid0(SALU_CYCLE_1)
	s_and_not1_b32 vcc_lo, exec_lo, s17
	s_cbranch_vccnz .LBB55_57
; %bb.56:
	s_and_b32 s17, s28, exec_lo
	s_cselect_b32 s17, s36, s29
	s_and_b32 s18, s26, exec_lo
	s_cselect_b32 s17, s31, s17
	s_delay_alu instid0(SALU_CYCLE_1) | instskip(NEXT) | instid1(SALU_CYCLE_1)
	s_or_b32 s17, s17, s25
	v_mov_b32_e32 v2, s17
	global_store_b8 v[8:9], v2, off
.LBB55_57:
	s_mov_b32 s18, 0
	s_mov_b32 s17, -1
.LBB55_58:
	s_and_not1_b32 vcc_lo, exec_lo, s18
	s_cbranch_vccnz .LBB55_66
; %bb.59:
	v_cmp_lt_i16_e32 vcc_lo, 14, v17
	s_mov_b32 s18, -1
	s_cbranch_vccz .LBB55_63
; %bb.60:
	v_cmp_eq_u16_e32 vcc_lo, 15, v17
	s_mov_b32 s16, -1
	s_cbranch_vccz .LBB55_62
; %bb.61:
	v_mov_b32_e32 v2, s27
	s_mov_b32 s17, -1
	s_mov_b32 s16, 0
	global_store_b16 v[8:9], v2, off
.LBB55_62:
	s_mov_b32 s18, 0
.LBB55_63:
	s_delay_alu instid0(SALU_CYCLE_1)
	s_and_b32 vcc_lo, exec_lo, s18
	s_cbranch_vccz .LBB55_66
; %bb.64:
	v_cmp_eq_u16_e32 vcc_lo, 11, v17
	s_mov_b32 s16, -1
	s_cbranch_vccz .LBB55_66
; %bb.65:
	s_mov_b32 s17, -1
	s_mov_b32 s16, 0
	global_store_b8 v[8:9], v14, off
.LBB55_66:
.LBB55_67:
	s_and_not1_b32 vcc_lo, exec_lo, s17
	s_cbranch_vccnz .LBB55_108
.LBB55_68:
	v_add_nc_u32_e32 v11, 0x80, v11
	s_mov_b32 s17, -1
	s_branch .LBB55_109
.LBB55_69:
	s_and_b32 vcc_lo, exec_lo, s18
	s_cbranch_vccz .LBB55_67
; %bb.70:
	v_cmp_gt_i16_e32 vcc_lo, 5, v17
	s_mov_b32 s17, -1
	s_cbranch_vccnz .LBB55_91
; %bb.71:
	v_cmp_gt_i16_e32 vcc_lo, 8, v17
	s_cbranch_vccnz .LBB55_81
; %bb.72:
	v_cmp_gt_i16_e32 vcc_lo, 9, v17
	s_cbranch_vccnz .LBB55_78
; %bb.73:
	v_cmp_lt_i16_e32 vcc_lo, 9, v17
	s_cbranch_vccz .LBB55_75
; %bb.74:
	v_mov_b32_e32 v2, 0
	s_mov_b32 s17, 0
	s_delay_alu instid0(VALU_DEP_1)
	v_mov_b32_e32 v3, v2
	global_store_b128 v[8:9], v[0:3], off
.LBB55_75:
	s_and_not1_b32 vcc_lo, exec_lo, s17
	s_cbranch_vccnz .LBB55_77
; %bb.76:
	v_dual_mov_b32 v2, s6 :: v_dual_mov_b32 v3, 0
	global_store_b64 v[8:9], v[2:3], off
.LBB55_77:
	s_mov_b32 s17, 0
.LBB55_78:
	s_delay_alu instid0(SALU_CYCLE_1)
	s_and_not1_b32 vcc_lo, exec_lo, s17
	s_cbranch_vccnz .LBB55_80
; %bb.79:
	global_store_b32 v[8:9], v13, off
.LBB55_80:
	s_mov_b32 s17, 0
.LBB55_81:
	s_delay_alu instid0(SALU_CYCLE_1)
	s_and_not1_b32 vcc_lo, exec_lo, s17
	s_cbranch_vccnz .LBB55_90
; %bb.82:
	v_cmp_gt_i16_e32 vcc_lo, 6, v17
	s_mov_b32 s17, -1
	s_cbranch_vccnz .LBB55_88
; %bb.83:
	v_cmp_lt_i16_e32 vcc_lo, 6, v17
	s_cbranch_vccz .LBB55_85
; %bb.84:
	s_mov_b32 s17, 0
	global_store_b64 v[8:9], v[0:1], off
.LBB55_85:
	s_and_not1_b32 vcc_lo, exec_lo, s17
	s_cbranch_vccnz .LBB55_87
; %bb.86:
	v_mov_b32_e32 v2, s6
	global_store_b32 v[8:9], v2, off
.LBB55_87:
	s_mov_b32 s17, 0
.LBB55_88:
	s_delay_alu instid0(SALU_CYCLE_1)
	s_and_not1_b32 vcc_lo, exec_lo, s17
	s_cbranch_vccnz .LBB55_90
; %bb.89:
	global_store_b16 v[8:9], v12, off
.LBB55_90:
	s_mov_b32 s17, 0
.LBB55_91:
	s_delay_alu instid0(SALU_CYCLE_1)
	s_and_not1_b32 vcc_lo, exec_lo, s17
	s_cbranch_vccnz .LBB55_107
; %bb.92:
	v_cmp_gt_i16_e32 vcc_lo, 2, v17
	s_mov_b32 s17, -1
	s_cbranch_vccnz .LBB55_102
; %bb.93:
	v_cmp_gt_i16_e32 vcc_lo, 3, v17
	s_cbranch_vccnz .LBB55_99
; %bb.94:
	v_cmp_lt_i16_e32 vcc_lo, 3, v17
	s_cbranch_vccz .LBB55_96
; %bb.95:
	s_mov_b32 s17, 0
	global_store_b64 v[8:9], v[4:5], off
.LBB55_96:
	s_and_not1_b32 vcc_lo, exec_lo, s17
	s_cbranch_vccnz .LBB55_98
; %bb.97:
	global_store_b32 v[8:9], v10, off
.LBB55_98:
	s_mov_b32 s17, 0
.LBB55_99:
	s_delay_alu instid0(SALU_CYCLE_1)
	s_and_not1_b32 vcc_lo, exec_lo, s17
	s_cbranch_vccnz .LBB55_101
; %bb.100:
	global_store_b16 v[8:9], v10, off
.LBB55_101:
	s_mov_b32 s17, 0
.LBB55_102:
	s_delay_alu instid0(SALU_CYCLE_1)
	s_and_not1_b32 vcc_lo, exec_lo, s17
	s_cbranch_vccnz .LBB55_107
; %bb.103:
	v_cmp_lt_i16_e32 vcc_lo, 0, v17
	s_mov_b32 s17, -1
	s_cbranch_vccz .LBB55_105
; %bb.104:
	s_mov_b32 s17, 0
	global_store_b8 v[8:9], v10, off
.LBB55_105:
	s_and_not1_b32 vcc_lo, exec_lo, s17
	s_cbranch_vccnz .LBB55_107
; %bb.106:
	global_store_b8 v[8:9], v4, off
.LBB55_107:
	s_branch .LBB55_68
.LBB55_108:
	s_mov_b32 s17, 0
                                        ; implicit-def: $vgpr11
.LBB55_109:
	s_and_b32 s53, s16, exec_lo
	s_or_not1_b32 s16, s17, exec_lo
.LBB55_110:
	s_or_b32 exec_lo, exec_lo, s54
	s_mov_b32 s17, 0
                                        ; implicit-def: $vgpr17
                                        ; implicit-def: $vgpr8_vgpr9
	s_and_saveexec_b32 s54, s16
	s_cbranch_execz .LBB55_117
; %bb.111:
	s_mov_b32 s18, -1
	s_mov_b32 s55, s53
	s_mov_b32 s56, exec_lo
	v_cmpx_gt_i32_e64 s50, v11
	s_cbranch_execz .LBB55_364
; %bb.112:
	s_and_not1_b32 vcc_lo, exec_lo, s23
	s_cbranch_vccnz .LBB55_219
; %bb.113:
	v_mov_b32_e32 v2, 0
	s_and_not1_b32 vcc_lo, exec_lo, s52
	s_cbranch_vccnz .LBB55_226
; %bb.114:
	s_add_i32 s57, s51, 1
	s_cmp_eq_u32 s21, 2
	s_mov_b32 s55, 0
	s_cbranch_scc1 .LBB55_222
; %bb.115:
	v_dual_mov_b32 v2, 0 :: v_dual_mov_b32 v3, v11
	s_and_b32 s55, s57, 28
	s_mov_b32 s58, 0
	s_mov_b64 s[16:17], s[0:1]
	s_mov_b64 s[18:19], s[14:15]
.LBB55_116:                             ; =>This Inner Loop Header: Depth=1
	s_clause 0x1
	s_load_b256 s[60:67], s[16:17], 0x4
	s_load_b128 s[68:71], s[16:17], 0x24
	s_load_b128 s[72:75], s[18:19], 0x0
	s_add_u32 s16, s16, 48
	s_addc_u32 s17, s17, 0
	s_add_i32 s58, s58, 4
	s_add_u32 s18, s18, 16
	s_addc_u32 s19, s19, 0
	s_cmp_eq_u32 s55, s58
	s_waitcnt lgkmcnt(0)
	v_mul_hi_u32 v8, s61, v3
	s_delay_alu instid0(VALU_DEP_1) | instskip(NEXT) | instid1(VALU_DEP_1)
	v_add_nc_u32_e32 v8, v3, v8
	v_lshrrev_b32_e32 v8, s62, v8
	s_delay_alu instid0(VALU_DEP_1) | instskip(SKIP_1) | instid1(VALU_DEP_2)
	v_mul_hi_u32 v9, s64, v8
	v_mul_lo_u32 v19, v8, s60
	v_add_nc_u32_e32 v9, v8, v9
	s_delay_alu instid0(VALU_DEP_2) | instskip(NEXT) | instid1(VALU_DEP_2)
	v_sub_nc_u32_e32 v19, v3, v19
	v_lshrrev_b32_e32 v9, s65, v9
	s_delay_alu instid0(VALU_DEP_2) | instskip(NEXT) | instid1(VALU_DEP_2)
	v_mul_lo_u32 v19, v19, s72
	v_mul_hi_u32 v17, s67, v9
	v_mul_lo_u32 v20, v9, s63
	s_delay_alu instid0(VALU_DEP_2) | instskip(NEXT) | instid1(VALU_DEP_2)
	v_add_nc_u32_e32 v17, v9, v17
	v_sub_nc_u32_e32 v8, v8, v20
	s_delay_alu instid0(VALU_DEP_2) | instskip(NEXT) | instid1(VALU_DEP_2)
	v_lshrrev_b32_e32 v17, s68, v17
	v_mul_lo_u32 v8, v8, s73
	s_delay_alu instid0(VALU_DEP_2) | instskip(NEXT) | instid1(VALU_DEP_2)
	v_mul_hi_u32 v18, s70, v17
	v_add3_u32 v2, v19, v2, v8
	s_delay_alu instid0(VALU_DEP_2) | instskip(NEXT) | instid1(VALU_DEP_1)
	v_add_nc_u32_e32 v18, v17, v18
	v_lshrrev_b32_e32 v3, s71, v18
	v_mul_lo_u32 v18, v17, s66
	s_delay_alu instid0(VALU_DEP_2) | instskip(NEXT) | instid1(VALU_DEP_2)
	v_mul_lo_u32 v21, v3, s69
	v_sub_nc_u32_e32 v9, v9, v18
	s_delay_alu instid0(VALU_DEP_2) | instskip(NEXT) | instid1(VALU_DEP_2)
	v_sub_nc_u32_e32 v17, v17, v21
	v_mul_lo_u32 v9, v9, s74
	s_delay_alu instid0(VALU_DEP_2) | instskip(NEXT) | instid1(VALU_DEP_1)
	v_mul_lo_u32 v17, v17, s75
	v_add3_u32 v2, v9, v2, v17
	s_cbranch_scc0 .LBB55_116
	s_branch .LBB55_223
.LBB55_117:
	s_or_b32 exec_lo, exec_lo, s54
	s_mov_b32 s2, 0
	s_and_saveexec_b32 s3, s53
	s_cbranch_execnz .LBB55_682
.LBB55_118:
	s_or_b32 exec_lo, exec_lo, s3
	s_and_saveexec_b32 s3, s55
	s_delay_alu instid0(SALU_CYCLE_1)
	s_xor_b32 s3, exec_lo, s3
	s_cbranch_execz .LBB55_120
.LBB55_119:
	global_store_b8 v[8:9], v14, off
.LBB55_120:
	s_or_b32 exec_lo, exec_lo, s3
	s_and_saveexec_b32 s3, s17
	s_delay_alu instid0(SALU_CYCLE_1)
	s_xor_b32 s3, exec_lo, s3
	s_cbranch_execz .LBB55_158
; %bb.121:
	v_cmp_gt_i16_e32 vcc_lo, 5, v17
	s_mov_b32 s4, -1
	s_cbranch_vccnz .LBB55_142
; %bb.122:
	v_cmp_gt_i16_e32 vcc_lo, 8, v17
	s_cbranch_vccnz .LBB55_132
; %bb.123:
	v_cmp_gt_i16_e32 vcc_lo, 9, v17
	s_cbranch_vccnz .LBB55_129
; %bb.124:
	v_cmp_lt_i16_e32 vcc_lo, 9, v17
	s_cbranch_vccz .LBB55_126
; %bb.125:
	v_mov_b32_e32 v2, 0
	s_mov_b32 s4, 0
	s_delay_alu instid0(VALU_DEP_1)
	v_mov_b32_e32 v3, v2
	global_store_b128 v[8:9], v[0:3], off
.LBB55_126:
	s_and_not1_b32 vcc_lo, exec_lo, s4
	s_cbranch_vccnz .LBB55_128
; %bb.127:
	v_dual_mov_b32 v2, s6 :: v_dual_mov_b32 v3, 0
	global_store_b64 v[8:9], v[2:3], off
.LBB55_128:
	s_mov_b32 s4, 0
.LBB55_129:
	s_delay_alu instid0(SALU_CYCLE_1)
	s_and_not1_b32 vcc_lo, exec_lo, s4
	s_cbranch_vccnz .LBB55_131
; %bb.130:
	global_store_b32 v[8:9], v13, off
.LBB55_131:
	s_mov_b32 s4, 0
.LBB55_132:
	s_delay_alu instid0(SALU_CYCLE_1)
	s_and_not1_b32 vcc_lo, exec_lo, s4
	s_cbranch_vccnz .LBB55_141
; %bb.133:
	v_cmp_gt_i16_e32 vcc_lo, 6, v17
	s_mov_b32 s4, -1
	s_cbranch_vccnz .LBB55_139
; %bb.134:
	v_cmp_lt_i16_e32 vcc_lo, 6, v17
	s_cbranch_vccz .LBB55_136
; %bb.135:
	s_mov_b32 s4, 0
	global_store_b64 v[8:9], v[0:1], off
.LBB55_136:
	s_and_not1_b32 vcc_lo, exec_lo, s4
	s_cbranch_vccnz .LBB55_138
; %bb.137:
	v_mov_b32_e32 v0, s6
	global_store_b32 v[8:9], v0, off
.LBB55_138:
	s_mov_b32 s4, 0
.LBB55_139:
	s_delay_alu instid0(SALU_CYCLE_1)
	s_and_not1_b32 vcc_lo, exec_lo, s4
	s_cbranch_vccnz .LBB55_141
; %bb.140:
	global_store_b16 v[8:9], v12, off
.LBB55_141:
	s_mov_b32 s4, 0
.LBB55_142:
	s_delay_alu instid0(SALU_CYCLE_1)
	s_and_not1_b32 vcc_lo, exec_lo, s4
	s_cbranch_vccnz .LBB55_158
; %bb.143:
	v_cmp_gt_i16_e32 vcc_lo, 2, v17
	s_mov_b32 s4, -1
	s_cbranch_vccnz .LBB55_153
; %bb.144:
	v_cmp_gt_i16_e32 vcc_lo, 3, v17
	s_cbranch_vccnz .LBB55_150
; %bb.145:
	v_cmp_lt_i16_e32 vcc_lo, 3, v17
	s_cbranch_vccz .LBB55_147
; %bb.146:
	s_mov_b32 s4, 0
	global_store_b64 v[8:9], v[4:5], off
.LBB55_147:
	s_and_not1_b32 vcc_lo, exec_lo, s4
	s_cbranch_vccnz .LBB55_149
; %bb.148:
	global_store_b32 v[8:9], v10, off
.LBB55_149:
	s_mov_b32 s4, 0
.LBB55_150:
	s_delay_alu instid0(SALU_CYCLE_1)
	s_and_not1_b32 vcc_lo, exec_lo, s4
	s_cbranch_vccnz .LBB55_152
; %bb.151:
	global_store_b16 v[8:9], v10, off
.LBB55_152:
	s_mov_b32 s4, 0
.LBB55_153:
	s_delay_alu instid0(SALU_CYCLE_1)
	s_and_not1_b32 vcc_lo, exec_lo, s4
	s_cbranch_vccnz .LBB55_158
; %bb.154:
	v_cmp_lt_i16_e32 vcc_lo, 0, v17
	s_mov_b32 s4, -1
	s_cbranch_vccz .LBB55_156
; %bb.155:
	s_mov_b32 s4, 0
	global_store_b8 v[8:9], v10, off
.LBB55_156:
	s_and_not1_b32 vcc_lo, exec_lo, s4
	s_cbranch_vccnz .LBB55_158
; %bb.157:
	global_store_b8 v[8:9], v4, off
.LBB55_158:
	s_or_b32 exec_lo, exec_lo, s3
	s_delay_alu instid0(SALU_CYCLE_1)
	s_and_b32 s6, s2, exec_lo
                                        ; implicit-def: $vgpr4
                                        ; implicit-def: $vgpr11
.LBB55_159:
	s_or_saveexec_b32 s7, s24
	s_waitcnt lgkmcnt(0)
	s_mov_b32 s8, 0
                                        ; implicit-def: $sgpr3
                                        ; implicit-def: $vgpr0_vgpr1
                                        ; implicit-def: $sgpr2
	s_xor_b32 exec_lo, exec_lo, s7
	s_cbranch_execz .LBB55_912
; %bb.160:
	v_cndmask_b32_e64 v0, 0, 1, s23
	s_and_not1_b32 vcc_lo, exec_lo, s23
	s_cbranch_vccnz .LBB55_166
; %bb.161:
	v_mov_b32_e32 v3, 0
	s_cmp_eq_u32 s20, 0
	s_cbranch_scc1 .LBB55_170
; %bb.162:
	s_min_u32 s9, s21, 15
	v_mov_b32_e32 v3, 0
	s_add_i32 s9, s9, 1
	s_cmp_eq_u32 s21, 2
	s_mov_b32 s10, 0
	s_cbranch_scc1 .LBB55_167
; %bb.163:
	v_mov_b32_e32 v3, 0
	v_mov_b32_e32 v1, v11
	s_add_u32 s2, s0, 0xc4
	s_addc_u32 s3, s1, 0
	s_and_b32 s10, s9, 28
	s_mov_b32 s11, 0
	s_mov_b64 s[4:5], s[0:1]
.LBB55_164:                             ; =>This Inner Loop Header: Depth=1
	s_clause 0x1
	s_load_b256 s[12:19], s[4:5], 0x4
	s_load_b128 s[24:27], s[4:5], 0x24
	s_load_b128 s[28:31], s[2:3], 0x0
	s_add_u32 s4, s4, 48
	s_addc_u32 s5, s5, 0
	s_add_i32 s11, s11, 4
	s_add_u32 s2, s2, 16
	s_addc_u32 s3, s3, 0
	s_cmp_lg_u32 s10, s11
	s_waitcnt lgkmcnt(0)
	v_mul_hi_u32 v2, s13, v1
	s_delay_alu instid0(VALU_DEP_1) | instskip(NEXT) | instid1(VALU_DEP_1)
	v_add_nc_u32_e32 v2, v1, v2
	v_lshrrev_b32_e32 v2, s14, v2
	s_delay_alu instid0(VALU_DEP_1) | instskip(SKIP_1) | instid1(VALU_DEP_2)
	v_mul_hi_u32 v5, s16, v2
	v_mul_lo_u32 v8, v2, s12
	v_add_nc_u32_e32 v5, v2, v5
	s_delay_alu instid0(VALU_DEP_2) | instskip(NEXT) | instid1(VALU_DEP_2)
	v_sub_nc_u32_e32 v8, v1, v8
	v_lshrrev_b32_e32 v5, s17, v5
	s_delay_alu instid0(VALU_DEP_2) | instskip(NEXT) | instid1(VALU_DEP_2)
	v_mul_lo_u32 v8, v8, s28
	v_mul_hi_u32 v6, s19, v5
	v_mul_lo_u32 v9, v5, s15
	s_delay_alu instid0(VALU_DEP_2) | instskip(NEXT) | instid1(VALU_DEP_2)
	v_add_nc_u32_e32 v6, v5, v6
	v_sub_nc_u32_e32 v2, v2, v9
	s_delay_alu instid0(VALU_DEP_2) | instskip(NEXT) | instid1(VALU_DEP_2)
	v_lshrrev_b32_e32 v6, s24, v6
	v_mul_lo_u32 v2, v2, s29
	s_delay_alu instid0(VALU_DEP_2) | instskip(NEXT) | instid1(VALU_DEP_2)
	v_mul_hi_u32 v7, s26, v6
	v_add3_u32 v2, v8, v3, v2
	s_delay_alu instid0(VALU_DEP_2) | instskip(NEXT) | instid1(VALU_DEP_1)
	v_add_nc_u32_e32 v7, v6, v7
	v_lshrrev_b32_e32 v1, s27, v7
	v_mul_lo_u32 v7, v6, s18
	s_delay_alu instid0(VALU_DEP_2) | instskip(NEXT) | instid1(VALU_DEP_2)
	v_mul_lo_u32 v10, v1, s25
	v_sub_nc_u32_e32 v5, v5, v7
	s_delay_alu instid0(VALU_DEP_2) | instskip(NEXT) | instid1(VALU_DEP_2)
	v_sub_nc_u32_e32 v6, v6, v10
	v_mul_lo_u32 v5, v5, s30
	s_delay_alu instid0(VALU_DEP_2) | instskip(NEXT) | instid1(VALU_DEP_1)
	v_mul_lo_u32 v6, v6, s31
	v_add3_u32 v3, v5, v2, v6
	s_cbranch_scc1 .LBB55_164
; %bb.165:
	s_and_b32 s9, s9, 3
	s_delay_alu instid0(SALU_CYCLE_1)
	s_cmp_eq_u32 s9, 0
	s_cbranch_scc0 .LBB55_168
	s_branch .LBB55_170
.LBB55_166:
	s_mov_b32 s8, -1
                                        ; implicit-def: $vgpr3
	s_branch .LBB55_170
.LBB55_167:
	v_mov_b32_e32 v1, v11
	s_and_b32 s9, s9, 3
	s_delay_alu instid0(SALU_CYCLE_1)
	s_cmp_eq_u32 s9, 0
	s_cbranch_scc1 .LBB55_170
.LBB55_168:
	s_lshl_b32 s2, s10, 2
	s_mul_i32 s4, s10, 12
	s_add_u32 s2, s2, s0
	s_addc_u32 s3, 0, s1
	s_add_u32 s2, s2, 0xc4
	s_addc_u32 s3, s3, 0
	;; [unrolled: 2-line block ×3, first 2 shown]
	.p2align	6
.LBB55_169:                             ; =>This Inner Loop Header: Depth=1
	s_clause 0x1
	s_load_b64 s[10:11], s[4:5], 0x4
	s_load_b32 s12, s[4:5], 0xc
	s_add_u32 s4, s4, 12
	s_addc_u32 s5, s5, 0
	s_waitcnt lgkmcnt(0)
	v_mul_hi_u32 v2, s11, v1
	s_load_b32 s11, s[2:3], 0x0
	s_add_u32 s2, s2, 4
	s_addc_u32 s3, s3, 0
	s_add_i32 s9, s9, -1
	s_delay_alu instid0(SALU_CYCLE_1) | instskip(NEXT) | instid1(VALU_DEP_1)
	s_cmp_lg_u32 s9, 0
	v_add_nc_u32_e32 v2, v1, v2
	s_delay_alu instid0(VALU_DEP_1) | instskip(NEXT) | instid1(VALU_DEP_1)
	v_lshrrev_b32_e32 v2, s12, v2
	v_mul_lo_u32 v5, v2, s10
	s_delay_alu instid0(VALU_DEP_1) | instskip(SKIP_1) | instid1(VALU_DEP_1)
	v_sub_nc_u32_e32 v1, v1, v5
	s_waitcnt lgkmcnt(0)
	v_mad_u64_u32 v[5:6], null, v1, s11, v[3:4]
	v_mov_b32_e32 v1, v2
	s_delay_alu instid0(VALU_DEP_2)
	v_mov_b32_e32 v3, v5
	s_cbranch_scc1 .LBB55_169
.LBB55_170:
	s_and_not1_b32 vcc_lo, exec_lo, s8
	s_cbranch_vccnz .LBB55_173
; %bb.171:
	s_clause 0x1
	s_load_b128 s[8:11], s[0:1], 0x4
	s_load_b32 s2, s[0:1], 0xc4
	s_cmp_lt_u32 s20, 2
	s_waitcnt lgkmcnt(0)
	v_mul_hi_u32 v1, s9, v11
	s_delay_alu instid0(VALU_DEP_1) | instskip(NEXT) | instid1(VALU_DEP_1)
	v_add_nc_u32_e32 v1, v11, v1
	v_lshrrev_b32_e32 v1, s10, v1
	s_delay_alu instid0(VALU_DEP_1) | instskip(NEXT) | instid1(VALU_DEP_1)
	v_mul_lo_u32 v2, v1, s8
	v_sub_nc_u32_e32 v2, v11, v2
	s_delay_alu instid0(VALU_DEP_1)
	v_mul_lo_u32 v3, v2, s2
	s_cbranch_scc1 .LBB55_173
; %bb.172:
	s_clause 0x1
	s_load_b128 s[8:11], s[0:1], 0x10
	s_load_b32 s2, s[0:1], 0xc8
	s_waitcnt lgkmcnt(0)
	v_mul_hi_u32 v2, s9, v1
	s_delay_alu instid0(VALU_DEP_1) | instskip(NEXT) | instid1(VALU_DEP_1)
	v_add_nc_u32_e32 v2, v1, v2
	v_lshrrev_b32_e32 v2, s10, v2
	s_delay_alu instid0(VALU_DEP_1) | instskip(NEXT) | instid1(VALU_DEP_1)
	v_mul_lo_u32 v2, v2, s8
	v_sub_nc_u32_e32 v5, v1, v2
	s_delay_alu instid0(VALU_DEP_1) | instskip(NEXT) | instid1(VALU_DEP_1)
	v_mad_u64_u32 v[1:2], null, v5, s2, v[3:4]
	v_mov_b32_e32 v3, v1
.LBB55_173:
	v_cmp_ne_u32_e32 vcc_lo, 1, v0
	v_add_nc_u32_e32 v1, 0x80, v11
	s_cbranch_vccnz .LBB55_179
; %bb.174:
	v_mov_b32_e32 v2, 0
	s_cmp_eq_u32 s20, 0
	s_mov_b32 s8, 0
	s_cbranch_scc1 .LBB55_183
; %bb.175:
	s_min_u32 s9, s21, 15
	v_mov_b32_e32 v2, 0
	s_add_i32 s9, s9, 1
	s_cmp_eq_u32 s21, 2
	s_mov_b32 s10, 0
	s_cbranch_scc1 .LBB55_180
; %bb.176:
	v_dual_mov_b32 v2, 0 :: v_dual_mov_b32 v5, v1
	s_add_u32 s2, s0, 0xc4
	s_addc_u32 s3, s1, 0
	s_and_b32 s10, s9, 28
	s_mov_b32 s11, 0
	s_mov_b64 s[4:5], s[0:1]
.LBB55_177:                             ; =>This Inner Loop Header: Depth=1
	s_clause 0x1
	s_load_b256 s[12:19], s[4:5], 0x4
	s_load_b128 s[24:27], s[4:5], 0x24
	s_load_b128 s[28:31], s[2:3], 0x0
	s_add_u32 s4, s4, 48
	s_addc_u32 s5, s5, 0
	s_add_i32 s11, s11, 4
	s_add_u32 s2, s2, 16
	s_addc_u32 s3, s3, 0
	s_cmp_lg_u32 s10, s11
	s_waitcnt lgkmcnt(0)
	v_mul_hi_u32 v6, s13, v5
	s_delay_alu instid0(VALU_DEP_1) | instskip(NEXT) | instid1(VALU_DEP_1)
	v_add_nc_u32_e32 v6, v5, v6
	v_lshrrev_b32_e32 v6, s14, v6
	s_delay_alu instid0(VALU_DEP_1) | instskip(SKIP_1) | instid1(VALU_DEP_2)
	v_mul_hi_u32 v7, s16, v6
	v_mul_lo_u32 v10, v6, s12
	v_add_nc_u32_e32 v7, v6, v7
	s_delay_alu instid0(VALU_DEP_2) | instskip(NEXT) | instid1(VALU_DEP_2)
	v_sub_nc_u32_e32 v10, v5, v10
	v_lshrrev_b32_e32 v7, s17, v7
	s_delay_alu instid0(VALU_DEP_2) | instskip(NEXT) | instid1(VALU_DEP_2)
	v_mul_lo_u32 v10, v10, s28
	v_mul_hi_u32 v8, s19, v7
	v_mul_lo_u32 v12, v7, s15
	s_delay_alu instid0(VALU_DEP_2) | instskip(NEXT) | instid1(VALU_DEP_2)
	v_add_nc_u32_e32 v8, v7, v8
	v_sub_nc_u32_e32 v6, v6, v12
	s_delay_alu instid0(VALU_DEP_2) | instskip(NEXT) | instid1(VALU_DEP_2)
	v_lshrrev_b32_e32 v8, s24, v8
	v_mul_lo_u32 v6, v6, s29
	s_delay_alu instid0(VALU_DEP_2) | instskip(NEXT) | instid1(VALU_DEP_2)
	v_mul_hi_u32 v9, s26, v8
	v_add3_u32 v2, v10, v2, v6
	s_delay_alu instid0(VALU_DEP_2) | instskip(NEXT) | instid1(VALU_DEP_1)
	v_add_nc_u32_e32 v9, v8, v9
	v_lshrrev_b32_e32 v5, s27, v9
	v_mul_lo_u32 v9, v8, s18
	s_delay_alu instid0(VALU_DEP_2) | instskip(NEXT) | instid1(VALU_DEP_2)
	v_mul_lo_u32 v13, v5, s25
	v_sub_nc_u32_e32 v7, v7, v9
	s_delay_alu instid0(VALU_DEP_2) | instskip(NEXT) | instid1(VALU_DEP_2)
	v_sub_nc_u32_e32 v8, v8, v13
	v_mul_lo_u32 v7, v7, s30
	s_delay_alu instid0(VALU_DEP_2) | instskip(NEXT) | instid1(VALU_DEP_1)
	v_mul_lo_u32 v8, v8, s31
	v_add3_u32 v2, v7, v2, v8
	s_cbranch_scc1 .LBB55_177
; %bb.178:
	s_and_b32 s9, s9, 3
	s_delay_alu instid0(SALU_CYCLE_1)
	s_cmp_eq_u32 s9, 0
	s_cbranch_scc0 .LBB55_181
	s_branch .LBB55_183
.LBB55_179:
	s_mov_b32 s8, -1
                                        ; implicit-def: $vgpr2
	s_branch .LBB55_183
.LBB55_180:
	v_mov_b32_e32 v5, v1
	s_and_b32 s9, s9, 3
	s_delay_alu instid0(SALU_CYCLE_1)
	s_cmp_eq_u32 s9, 0
	s_cbranch_scc1 .LBB55_183
.LBB55_181:
	s_lshl_b32 s2, s10, 2
	s_mul_i32 s4, s10, 12
	s_add_u32 s2, s2, s0
	s_addc_u32 s3, 0, s1
	s_add_u32 s2, s2, 0xc4
	s_addc_u32 s3, s3, 0
	;; [unrolled: 2-line block ×3, first 2 shown]
	.p2align	6
.LBB55_182:                             ; =>This Inner Loop Header: Depth=1
	s_clause 0x1
	s_load_b64 s[10:11], s[4:5], 0x4
	s_load_b32 s12, s[4:5], 0xc
	s_add_u32 s4, s4, 12
	s_addc_u32 s5, s5, 0
	s_waitcnt lgkmcnt(0)
	v_mul_hi_u32 v6, s11, v5
	s_load_b32 s11, s[2:3], 0x0
	s_add_u32 s2, s2, 4
	s_addc_u32 s3, s3, 0
	s_add_i32 s9, s9, -1
	s_delay_alu instid0(SALU_CYCLE_1) | instskip(NEXT) | instid1(VALU_DEP_1)
	s_cmp_lg_u32 s9, 0
	v_add_nc_u32_e32 v6, v5, v6
	s_delay_alu instid0(VALU_DEP_1) | instskip(NEXT) | instid1(VALU_DEP_1)
	v_lshrrev_b32_e32 v8, s12, v6
	v_mul_lo_u32 v6, v8, s10
	s_delay_alu instid0(VALU_DEP_1) | instskip(SKIP_1) | instid1(VALU_DEP_1)
	v_sub_nc_u32_e32 v5, v5, v6
	s_waitcnt lgkmcnt(0)
	v_mad_u64_u32 v[6:7], null, v5, s11, v[2:3]
	s_delay_alu instid0(VALU_DEP_1)
	v_dual_mov_b32 v5, v8 :: v_dual_mov_b32 v2, v6
	s_cbranch_scc1 .LBB55_182
.LBB55_183:
	s_and_not1_b32 vcc_lo, exec_lo, s8
	s_cbranch_vccnz .LBB55_186
; %bb.184:
	s_clause 0x1
	s_load_b128 s[8:11], s[0:1], 0x4
	s_load_b32 s2, s[0:1], 0xc4
	s_cmp_lt_u32 s20, 2
	s_waitcnt lgkmcnt(0)
	v_mul_hi_u32 v2, s9, v1
	s_delay_alu instid0(VALU_DEP_1) | instskip(NEXT) | instid1(VALU_DEP_1)
	v_add_nc_u32_e32 v2, v1, v2
	v_lshrrev_b32_e32 v5, s10, v2
	s_delay_alu instid0(VALU_DEP_1) | instskip(NEXT) | instid1(VALU_DEP_1)
	v_mul_lo_u32 v2, v5, s8
	v_sub_nc_u32_e32 v1, v1, v2
	s_delay_alu instid0(VALU_DEP_1)
	v_mul_lo_u32 v2, v1, s2
	s_cbranch_scc1 .LBB55_186
; %bb.185:
	s_clause 0x1
	s_load_b128 s[8:11], s[0:1], 0x10
	s_load_b32 s2, s[0:1], 0xc8
	s_waitcnt lgkmcnt(0)
	v_mul_hi_u32 v1, s9, v5
	s_delay_alu instid0(VALU_DEP_1) | instskip(NEXT) | instid1(VALU_DEP_1)
	v_add_nc_u32_e32 v1, v5, v1
	v_lshrrev_b32_e32 v1, s10, v1
	s_delay_alu instid0(VALU_DEP_1) | instskip(NEXT) | instid1(VALU_DEP_1)
	v_mul_lo_u32 v1, v1, s8
	v_sub_nc_u32_e32 v1, v5, v1
	s_delay_alu instid0(VALU_DEP_1) | instskip(NEXT) | instid1(VALU_DEP_1)
	v_mad_u64_u32 v[5:6], null, v1, s2, v[2:3]
	v_mov_b32_e32 v2, v5
.LBB55_186:
	v_cmp_ne_u32_e32 vcc_lo, 1, v0
	v_add_nc_u32_e32 v5, 0x100, v11
	s_cbranch_vccnz .LBB55_192
; %bb.187:
	v_mov_b32_e32 v1, 0
	s_cmp_eq_u32 s20, 0
	s_mov_b32 s8, 0
	s_cbranch_scc1 .LBB55_196
; %bb.188:
	s_min_u32 s9, s21, 15
	v_mov_b32_e32 v1, 0
	s_add_i32 s9, s9, 1
	s_cmp_eq_u32 s21, 2
	s_mov_b32 s10, 0
	s_cbranch_scc1 .LBB55_193
; %bb.189:
	v_dual_mov_b32 v1, 0 :: v_dual_mov_b32 v6, v5
	s_add_u32 s2, s0, 0xc4
	s_addc_u32 s3, s1, 0
	s_and_b32 s10, s9, 28
	s_mov_b32 s11, 0
	s_mov_b64 s[4:5], s[0:1]
.LBB55_190:                             ; =>This Inner Loop Header: Depth=1
	s_clause 0x1
	s_load_b256 s[12:19], s[4:5], 0x4
	s_load_b128 s[24:27], s[4:5], 0x24
	s_load_b128 s[28:31], s[2:3], 0x0
	s_add_u32 s4, s4, 48
	s_addc_u32 s5, s5, 0
	s_add_i32 s11, s11, 4
	s_add_u32 s2, s2, 16
	s_addc_u32 s3, s3, 0
	s_cmp_lg_u32 s10, s11
	s_waitcnt lgkmcnt(0)
	v_mul_hi_u32 v7, s13, v6
	s_delay_alu instid0(VALU_DEP_1) | instskip(NEXT) | instid1(VALU_DEP_1)
	v_add_nc_u32_e32 v7, v6, v7
	v_lshrrev_b32_e32 v7, s14, v7
	s_delay_alu instid0(VALU_DEP_1) | instskip(SKIP_1) | instid1(VALU_DEP_2)
	v_mul_hi_u32 v8, s16, v7
	v_mul_lo_u32 v11, v7, s12
	v_add_nc_u32_e32 v8, v7, v8
	s_delay_alu instid0(VALU_DEP_2) | instskip(NEXT) | instid1(VALU_DEP_2)
	v_sub_nc_u32_e32 v11, v6, v11
	v_lshrrev_b32_e32 v8, s17, v8
	s_delay_alu instid0(VALU_DEP_2) | instskip(NEXT) | instid1(VALU_DEP_2)
	v_mul_lo_u32 v11, v11, s28
	v_mul_hi_u32 v9, s19, v8
	v_mul_lo_u32 v12, v8, s15
	s_delay_alu instid0(VALU_DEP_2) | instskip(NEXT) | instid1(VALU_DEP_2)
	v_add_nc_u32_e32 v9, v8, v9
	v_sub_nc_u32_e32 v7, v7, v12
	s_delay_alu instid0(VALU_DEP_2) | instskip(NEXT) | instid1(VALU_DEP_2)
	v_lshrrev_b32_e32 v9, s24, v9
	v_mul_lo_u32 v7, v7, s29
	s_delay_alu instid0(VALU_DEP_2) | instskip(NEXT) | instid1(VALU_DEP_2)
	v_mul_hi_u32 v10, s26, v9
	v_add3_u32 v1, v11, v1, v7
	s_delay_alu instid0(VALU_DEP_2) | instskip(NEXT) | instid1(VALU_DEP_1)
	v_add_nc_u32_e32 v10, v9, v10
	v_lshrrev_b32_e32 v6, s27, v10
	v_mul_lo_u32 v10, v9, s18
	s_delay_alu instid0(VALU_DEP_2) | instskip(NEXT) | instid1(VALU_DEP_2)
	v_mul_lo_u32 v13, v6, s25
	v_sub_nc_u32_e32 v8, v8, v10
	s_delay_alu instid0(VALU_DEP_2) | instskip(NEXT) | instid1(VALU_DEP_2)
	v_sub_nc_u32_e32 v9, v9, v13
	v_mul_lo_u32 v8, v8, s30
	s_delay_alu instid0(VALU_DEP_2) | instskip(NEXT) | instid1(VALU_DEP_1)
	v_mul_lo_u32 v9, v9, s31
	v_add3_u32 v1, v8, v1, v9
	s_cbranch_scc1 .LBB55_190
; %bb.191:
	s_and_b32 s9, s9, 3
	s_delay_alu instid0(SALU_CYCLE_1)
	s_cmp_eq_u32 s9, 0
	s_cbranch_scc0 .LBB55_194
	s_branch .LBB55_196
.LBB55_192:
	s_mov_b32 s8, -1
                                        ; implicit-def: $vgpr1
	s_branch .LBB55_196
.LBB55_193:
	v_mov_b32_e32 v6, v5
	s_and_b32 s9, s9, 3
	s_delay_alu instid0(SALU_CYCLE_1)
	s_cmp_eq_u32 s9, 0
	s_cbranch_scc1 .LBB55_196
.LBB55_194:
	s_lshl_b32 s2, s10, 2
	s_mul_i32 s4, s10, 12
	s_add_u32 s2, s2, s0
	s_addc_u32 s3, 0, s1
	s_add_u32 s2, s2, 0xc4
	s_addc_u32 s3, s3, 0
	;; [unrolled: 2-line block ×3, first 2 shown]
	.p2align	6
.LBB55_195:                             ; =>This Inner Loop Header: Depth=1
	s_clause 0x1
	s_load_b64 s[10:11], s[4:5], 0x4
	s_load_b32 s12, s[4:5], 0xc
	s_add_u32 s4, s4, 12
	s_addc_u32 s5, s5, 0
	s_waitcnt lgkmcnt(0)
	v_mul_hi_u32 v7, s11, v6
	s_load_b32 s11, s[2:3], 0x0
	s_add_u32 s2, s2, 4
	s_addc_u32 s3, s3, 0
	s_add_i32 s9, s9, -1
	s_delay_alu instid0(SALU_CYCLE_1) | instskip(NEXT) | instid1(VALU_DEP_1)
	s_cmp_lg_u32 s9, 0
	v_add_nc_u32_e32 v7, v6, v7
	s_delay_alu instid0(VALU_DEP_1) | instskip(NEXT) | instid1(VALU_DEP_1)
	v_lshrrev_b32_e32 v9, s12, v7
	v_mul_lo_u32 v7, v9, s10
	s_delay_alu instid0(VALU_DEP_1) | instskip(SKIP_1) | instid1(VALU_DEP_1)
	v_sub_nc_u32_e32 v6, v6, v7
	s_waitcnt lgkmcnt(0)
	v_mad_u64_u32 v[7:8], null, v6, s11, v[1:2]
	s_delay_alu instid0(VALU_DEP_1)
	v_dual_mov_b32 v6, v9 :: v_dual_mov_b32 v1, v7
	s_cbranch_scc1 .LBB55_195
.LBB55_196:
	s_and_not1_b32 vcc_lo, exec_lo, s8
	s_cbranch_vccnz .LBB55_199
; %bb.197:
	s_clause 0x1
	s_load_b128 s[8:11], s[0:1], 0x4
	s_load_b32 s2, s[0:1], 0xc4
	s_cmp_lt_u32 s20, 2
	s_waitcnt lgkmcnt(0)
	v_mul_hi_u32 v1, s9, v5
	s_delay_alu instid0(VALU_DEP_1) | instskip(NEXT) | instid1(VALU_DEP_1)
	v_add_nc_u32_e32 v1, v5, v1
	v_lshrrev_b32_e32 v6, s10, v1
	s_delay_alu instid0(VALU_DEP_1) | instskip(NEXT) | instid1(VALU_DEP_1)
	v_mul_lo_u32 v1, v6, s8
	v_sub_nc_u32_e32 v1, v5, v1
	s_delay_alu instid0(VALU_DEP_1)
	v_mul_lo_u32 v1, v1, s2
	s_cbranch_scc1 .LBB55_199
; %bb.198:
	s_clause 0x1
	s_load_b128 s[8:11], s[0:1], 0x10
	s_load_b32 s2, s[0:1], 0xc8
	s_waitcnt lgkmcnt(0)
	v_mul_hi_u32 v5, s9, v6
	s_delay_alu instid0(VALU_DEP_1) | instskip(NEXT) | instid1(VALU_DEP_1)
	v_add_nc_u32_e32 v5, v6, v5
	v_lshrrev_b32_e32 v5, s10, v5
	s_delay_alu instid0(VALU_DEP_1) | instskip(NEXT) | instid1(VALU_DEP_1)
	v_mul_lo_u32 v5, v5, s8
	v_sub_nc_u32_e32 v7, v6, v5
	s_delay_alu instid0(VALU_DEP_1) | instskip(NEXT) | instid1(VALU_DEP_1)
	v_mad_u64_u32 v[5:6], null, v7, s2, v[1:2]
	v_mov_b32_e32 v1, v5
.LBB55_199:
	v_cmp_ne_u32_e32 vcc_lo, 1, v0
	s_cbranch_vccnz .LBB55_205
; %bb.200:
	v_mov_b32_e32 v0, 0
	s_cmp_eq_u32 s20, 0
	s_mov_b32 s8, 0
	s_cbranch_scc1 .LBB55_209
; %bb.201:
	s_min_u32 s9, s21, 15
	v_mov_b32_e32 v0, 0
	s_add_i32 s9, s9, 1
	s_cmp_eq_u32 s21, 2
	s_mov_b32 s10, 0
	s_cbranch_scc1 .LBB55_206
; %bb.202:
	v_dual_mov_b32 v0, 0 :: v_dual_mov_b32 v5, v4
	s_add_u32 s2, s0, 0xc4
	s_addc_u32 s3, s1, 0
	s_and_b32 s10, s9, 28
	s_mov_b32 s11, 0
	s_mov_b64 s[4:5], s[0:1]
.LBB55_203:                             ; =>This Inner Loop Header: Depth=1
	s_clause 0x1
	s_load_b256 s[12:19], s[4:5], 0x4
	s_load_b128 s[24:27], s[4:5], 0x24
	s_load_b128 s[28:31], s[2:3], 0x0
	s_add_u32 s4, s4, 48
	s_addc_u32 s5, s5, 0
	s_add_i32 s11, s11, 4
	s_add_u32 s2, s2, 16
	s_addc_u32 s3, s3, 0
	s_cmp_lg_u32 s10, s11
	s_waitcnt lgkmcnt(0)
	v_mul_hi_u32 v6, s13, v5
	s_delay_alu instid0(VALU_DEP_1) | instskip(NEXT) | instid1(VALU_DEP_1)
	v_add_nc_u32_e32 v6, v5, v6
	v_lshrrev_b32_e32 v6, s14, v6
	s_delay_alu instid0(VALU_DEP_1) | instskip(SKIP_1) | instid1(VALU_DEP_2)
	v_mul_hi_u32 v7, s16, v6
	v_mul_lo_u32 v10, v6, s12
	v_add_nc_u32_e32 v7, v6, v7
	s_delay_alu instid0(VALU_DEP_2) | instskip(NEXT) | instid1(VALU_DEP_2)
	v_sub_nc_u32_e32 v10, v5, v10
	v_lshrrev_b32_e32 v7, s17, v7
	s_delay_alu instid0(VALU_DEP_2) | instskip(NEXT) | instid1(VALU_DEP_2)
	v_mul_lo_u32 v10, v10, s28
	v_mul_hi_u32 v8, s19, v7
	v_mul_lo_u32 v11, v7, s15
	s_delay_alu instid0(VALU_DEP_2) | instskip(NEXT) | instid1(VALU_DEP_2)
	v_add_nc_u32_e32 v8, v7, v8
	v_sub_nc_u32_e32 v6, v6, v11
	s_delay_alu instid0(VALU_DEP_2) | instskip(NEXT) | instid1(VALU_DEP_2)
	v_lshrrev_b32_e32 v8, s24, v8
	v_mul_lo_u32 v6, v6, s29
	s_delay_alu instid0(VALU_DEP_2) | instskip(NEXT) | instid1(VALU_DEP_2)
	v_mul_hi_u32 v9, s26, v8
	v_add3_u32 v0, v10, v0, v6
	s_delay_alu instid0(VALU_DEP_2) | instskip(NEXT) | instid1(VALU_DEP_1)
	v_add_nc_u32_e32 v9, v8, v9
	v_lshrrev_b32_e32 v5, s27, v9
	v_mul_lo_u32 v9, v8, s18
	s_delay_alu instid0(VALU_DEP_2) | instskip(NEXT) | instid1(VALU_DEP_2)
	v_mul_lo_u32 v12, v5, s25
	v_sub_nc_u32_e32 v7, v7, v9
	s_delay_alu instid0(VALU_DEP_2) | instskip(NEXT) | instid1(VALU_DEP_2)
	v_sub_nc_u32_e32 v8, v8, v12
	v_mul_lo_u32 v7, v7, s30
	s_delay_alu instid0(VALU_DEP_2) | instskip(NEXT) | instid1(VALU_DEP_1)
	v_mul_lo_u32 v8, v8, s31
	v_add3_u32 v0, v7, v0, v8
	s_cbranch_scc1 .LBB55_203
; %bb.204:
	s_and_b32 s9, s9, 3
	s_delay_alu instid0(SALU_CYCLE_1)
	s_cmp_eq_u32 s9, 0
	s_cbranch_scc0 .LBB55_207
	s_branch .LBB55_209
.LBB55_205:
	s_mov_b32 s8, -1
                                        ; implicit-def: $vgpr0
	s_branch .LBB55_209
.LBB55_206:
	v_mov_b32_e32 v5, v4
	s_and_b32 s9, s9, 3
	s_delay_alu instid0(SALU_CYCLE_1)
	s_cmp_eq_u32 s9, 0
	s_cbranch_scc1 .LBB55_209
.LBB55_207:
	s_lshl_b32 s2, s10, 2
	s_mul_i32 s4, s10, 12
	s_add_u32 s2, s2, s0
	s_addc_u32 s3, 0, s1
	s_add_u32 s2, s2, 0xc4
	s_addc_u32 s3, s3, 0
	;; [unrolled: 2-line block ×3, first 2 shown]
	.p2align	6
.LBB55_208:                             ; =>This Inner Loop Header: Depth=1
	s_clause 0x1
	s_load_b64 s[10:11], s[4:5], 0x4
	s_load_b32 s12, s[4:5], 0xc
	s_add_u32 s4, s4, 12
	s_addc_u32 s5, s5, 0
	s_waitcnt lgkmcnt(0)
	v_mul_hi_u32 v6, s11, v5
	s_load_b32 s11, s[2:3], 0x0
	s_add_u32 s2, s2, 4
	s_addc_u32 s3, s3, 0
	s_add_i32 s9, s9, -1
	s_delay_alu instid0(SALU_CYCLE_1) | instskip(NEXT) | instid1(VALU_DEP_1)
	s_cmp_lg_u32 s9, 0
	v_add_nc_u32_e32 v6, v5, v6
	s_delay_alu instid0(VALU_DEP_1) | instskip(NEXT) | instid1(VALU_DEP_1)
	v_lshrrev_b32_e32 v8, s12, v6
	v_mul_lo_u32 v6, v8, s10
	s_delay_alu instid0(VALU_DEP_1) | instskip(SKIP_1) | instid1(VALU_DEP_1)
	v_sub_nc_u32_e32 v5, v5, v6
	s_waitcnt lgkmcnt(0)
	v_mad_u64_u32 v[6:7], null, v5, s11, v[0:1]
	s_delay_alu instid0(VALU_DEP_1)
	v_dual_mov_b32 v5, v8 :: v_dual_mov_b32 v0, v6
	s_cbranch_scc1 .LBB55_208
.LBB55_209:
	s_and_not1_b32 vcc_lo, exec_lo, s8
	s_cbranch_vccnz .LBB55_212
; %bb.210:
	s_clause 0x1
	s_load_b128 s[8:11], s[0:1], 0x4
	s_load_b32 s2, s[0:1], 0xc4
	s_cmp_lt_u32 s20, 2
	s_waitcnt lgkmcnt(0)
	v_mul_hi_u32 v0, s9, v4
	s_delay_alu instid0(VALU_DEP_1) | instskip(NEXT) | instid1(VALU_DEP_1)
	v_add_nc_u32_e32 v0, v4, v0
	v_lshrrev_b32_e32 v5, s10, v0
	s_delay_alu instid0(VALU_DEP_1) | instskip(NEXT) | instid1(VALU_DEP_1)
	v_mul_lo_u32 v0, v5, s8
	v_sub_nc_u32_e32 v0, v4, v0
	s_delay_alu instid0(VALU_DEP_1)
	v_mul_lo_u32 v0, v0, s2
	s_cbranch_scc1 .LBB55_212
; %bb.211:
	s_clause 0x1
	s_load_b128 s[8:11], s[0:1], 0x10
	s_load_b32 s2, s[0:1], 0xc8
	s_waitcnt lgkmcnt(0)
	v_mul_hi_u32 v4, s9, v5
	s_delay_alu instid0(VALU_DEP_1) | instskip(NEXT) | instid1(VALU_DEP_1)
	v_add_nc_u32_e32 v4, v5, v4
	v_lshrrev_b32_e32 v4, s10, v4
	s_delay_alu instid0(VALU_DEP_1) | instskip(NEXT) | instid1(VALU_DEP_1)
	v_mul_lo_u32 v4, v4, s8
	v_sub_nc_u32_e32 v6, v5, v4
	s_delay_alu instid0(VALU_DEP_1) | instskip(NEXT) | instid1(VALU_DEP_1)
	v_mad_u64_u32 v[4:5], null, v6, s2, v[0:1]
	v_mov_b32_e32 v0, v4
.LBB55_212:
	s_load_b128 s[0:3], s[0:1], 0x108
	s_mov_b32 s8, 0
	s_waitcnt lgkmcnt(0)
	s_and_b32 s3, s3, 0xff
	v_add_co_u32 v3, s5, s0, v3
	v_cmp_lt_i16_e64 s4, s3, 11
	v_add_co_ci_u32_e64 v4, null, s1, 0, s5
	s_mov_b32 s5, -1
	s_delay_alu instid0(VALU_DEP_2)
	s_and_b32 vcc_lo, exec_lo, s4
	s_mov_b32 s4, s6
	s_cbranch_vccnz .LBB55_473
; %bb.213:
	v_cmp_gt_i16_e64 s4, s3, 25
	s_mov_b32 s9, -1
	s_mov_b32 s5, 0
	s_delay_alu instid0(VALU_DEP_1)
	s_and_b32 vcc_lo, exec_lo, s4
	s_mov_b32 s4, 0
	s_cbranch_vccz .LBB55_308
; %bb.214:
	v_cmp_gt_i16_e64 s4, s3, 28
	s_delay_alu instid0(VALU_DEP_1)
	s_and_b32 vcc_lo, exec_lo, s4
	s_cbranch_vccz .LBB55_220
; %bb.215:
	v_cmp_gt_i16_e64 s4, s3, 43
	s_delay_alu instid0(VALU_DEP_1)
	s_and_b32 vcc_lo, exec_lo, s4
	;; [unrolled: 5-line block ×3, first 2 shown]
	s_cbranch_vccz .LBB55_278
; %bb.217:
	v_cmp_eq_u16_e64 s8, s3, 46
	s_mov_b32 s4, -1
	s_mov_b32 s9, 0
	s_delay_alu instid0(VALU_DEP_1)
	s_and_b32 vcc_lo, exec_lo, s8
	s_mov_b32 s8, 0
	s_cbranch_vccz .LBB55_279
; %bb.218:
	s_bfe_u32 s4, s2, 0x10010
	v_cmp_o_f32_e64 s8, s2, s2
	s_add_i32 s4, s2, s4
	s_delay_alu instid0(SALU_CYCLE_1) | instskip(NEXT) | instid1(SALU_CYCLE_1)
	s_addk_i32 s4, 0x7fff
	s_lshr_b32 s4, s4, 16
	s_delay_alu instid0(VALU_DEP_1)
	s_and_b32 s8, s8, exec_lo
	s_cselect_b32 s4, s4, 0x7fc0
	s_mov_b32 s8, -1
	v_mov_b32_e32 v5, s4
	s_mov_b32 s4, 0
	global_store_b32 v[3:4], v5, off
	s_branch .LBB55_279
.LBB55_219:
                                        ; implicit-def: $vgpr2
	s_branch .LBB55_227
.LBB55_220:
	s_mov_b32 s4, 0
	s_branch .LBB55_288
.LBB55_221:
	s_mov_b32 s4, 0
	s_and_b32 vcc_lo, exec_lo, s9
	s_cbranch_vccnz .LBB55_285
	s_branch .LBB55_287
.LBB55_222:
	v_mov_b32_e32 v3, v11
.LBB55_223:
	s_and_b32 s57, s57, 3
	s_delay_alu instid0(SALU_CYCLE_1)
	s_cmp_eq_u32 s57, 0
	s_cbranch_scc1 .LBB55_226
; %bb.224:
	s_lshl_b32 s16, s55, 2
	s_mul_i32 s18, s55, 12
	s_add_u32 s16, s16, s0
	s_addc_u32 s17, s1, 0
	s_add_u32 s16, s16, 0xc4
	s_addc_u32 s17, s17, 0
	s_add_u32 s18, s0, s18
	s_addc_u32 s19, s1, 0
	.p2align	6
.LBB55_225:                             ; =>This Inner Loop Header: Depth=1
	s_clause 0x1
	s_load_b64 s[58:59], s[18:19], 0x4
	s_load_b32 s55, s[18:19], 0xc
	s_add_u32 s18, s18, 12
	s_addc_u32 s19, s19, 0
	s_waitcnt lgkmcnt(0)
	v_mul_hi_u32 v8, s59, v3
	s_load_b32 s59, s[16:17], 0x0
	s_add_u32 s16, s16, 4
	s_addc_u32 s17, s17, 0
	s_add_i32 s57, s57, -1
	s_delay_alu instid0(SALU_CYCLE_1) | instskip(NEXT) | instid1(VALU_DEP_1)
	s_cmp_lg_u32 s57, 0
	v_add_nc_u32_e32 v8, v3, v8
	s_delay_alu instid0(VALU_DEP_1) | instskip(NEXT) | instid1(VALU_DEP_1)
	v_lshrrev_b32_e32 v17, s55, v8
	v_mul_lo_u32 v8, v17, s58
	s_delay_alu instid0(VALU_DEP_1) | instskip(SKIP_1) | instid1(VALU_DEP_1)
	v_sub_nc_u32_e32 v3, v3, v8
	s_waitcnt lgkmcnt(0)
	v_mad_u64_u32 v[8:9], null, v3, s59, v[2:3]
	s_delay_alu instid0(VALU_DEP_1)
	v_dual_mov_b32 v3, v17 :: v_dual_mov_b32 v2, v8
	s_cbranch_scc1 .LBB55_225
.LBB55_226:
	s_cbranch_execnz .LBB55_229
.LBB55_227:
	s_waitcnt lgkmcnt(0)
	v_mul_hi_u32 v2, s9, v11
	s_and_not1_b32 vcc_lo, exec_lo, s49
	s_delay_alu instid0(VALU_DEP_1) | instskip(NEXT) | instid1(VALU_DEP_1)
	v_add_nc_u32_e32 v2, v11, v2
	v_lshrrev_b32_e32 v3, s10, v2
	s_delay_alu instid0(VALU_DEP_1) | instskip(NEXT) | instid1(VALU_DEP_1)
	v_mul_lo_u32 v2, v3, s8
	v_sub_nc_u32_e32 v2, v11, v2
	s_delay_alu instid0(VALU_DEP_1)
	v_mul_lo_u32 v2, v2, s2
	s_cbranch_vccnz .LBB55_229
; %bb.228:
	v_mul_hi_u32 v8, s12, v3
	s_delay_alu instid0(VALU_DEP_1) | instskip(NEXT) | instid1(VALU_DEP_1)
	v_add_nc_u32_e32 v8, v3, v8
	v_lshrrev_b32_e32 v8, s13, v8
	s_delay_alu instid0(VALU_DEP_1) | instskip(NEXT) | instid1(VALU_DEP_1)
	v_mul_lo_u32 v8, v8, s11
	v_sub_nc_u32_e32 v3, v3, v8
	s_delay_alu instid0(VALU_DEP_1) | instskip(NEXT) | instid1(VALU_DEP_1)
	v_mad_u64_u32 v[8:9], null, v3, s3, v[2:3]
	v_mov_b32_e32 v2, v8
.LBB55_229:
	v_and_b32_e64 v17, 0xff, s7
	s_delay_alu instid0(VALU_DEP_2) | instskip(NEXT) | instid1(VALU_DEP_1)
	v_add_co_u32 v8, s16, s4, v2
	v_add_co_ci_u32_e64 v9, null, s5, 0, s16
	s_delay_alu instid0(VALU_DEP_3)
	v_cmp_gt_i16_e32 vcc_lo, 11, v17
	s_mov_b32 s17, 0
	s_mov_b32 s18, -1
	s_mov_b32 s16, s53
	s_cbranch_vccnz .LBB55_236
; %bb.230:
	v_cmp_lt_i16_e32 vcc_lo, 25, v17
	s_cbranch_vccz .LBB55_276
; %bb.231:
	v_cmp_lt_i16_e32 vcc_lo, 28, v17
	s_cbranch_vccz .LBB55_277
; %bb.232:
	v_cmp_lt_i16_e32 vcc_lo, 43, v17
	s_cbranch_vccz .LBB55_299
; %bb.233:
	v_cmp_lt_i16_e32 vcc_lo, 45, v17
	s_cbranch_vccz .LBB55_315
; %bb.234:
	v_cmp_eq_u16_e32 vcc_lo, 46, v17
	s_mov_b32 s18, 0
	s_mov_b32 s16, -1
	s_cbranch_vccz .LBB55_316
; %bb.235:
	v_mov_b32_e32 v2, s27
	s_mov_b32 s17, -1
	s_mov_b32 s16, 0
	global_store_b32 v[8:9], v2, off
	s_branch .LBB55_316
.LBB55_236:
	s_and_b32 vcc_lo, exec_lo, s18
	s_cbranch_vccz .LBB55_361
; %bb.237:
	v_cmp_gt_i16_e32 vcc_lo, 5, v17
	s_mov_b32 s17, -1
	s_cbranch_vccnz .LBB55_258
; %bb.238:
	v_cmp_gt_i16_e32 vcc_lo, 8, v17
	s_cbranch_vccnz .LBB55_248
; %bb.239:
	v_cmp_gt_i16_e32 vcc_lo, 9, v17
	s_cbranch_vccnz .LBB55_245
; %bb.240:
	v_cmp_lt_i16_e32 vcc_lo, 9, v17
	s_cbranch_vccz .LBB55_242
; %bb.241:
	v_mov_b32_e32 v2, 0
	s_mov_b32 s17, 0
	s_delay_alu instid0(VALU_DEP_1)
	v_mov_b32_e32 v3, v2
	global_store_b128 v[8:9], v[0:3], off
.LBB55_242:
	s_and_not1_b32 vcc_lo, exec_lo, s17
	s_cbranch_vccnz .LBB55_244
; %bb.243:
	v_dual_mov_b32 v2, s6 :: v_dual_mov_b32 v3, 0
	global_store_b64 v[8:9], v[2:3], off
.LBB55_244:
	s_mov_b32 s17, 0
.LBB55_245:
	s_delay_alu instid0(SALU_CYCLE_1)
	s_and_not1_b32 vcc_lo, exec_lo, s17
	s_cbranch_vccnz .LBB55_247
; %bb.246:
	global_store_b32 v[8:9], v13, off
.LBB55_247:
	s_mov_b32 s17, 0
.LBB55_248:
	s_delay_alu instid0(SALU_CYCLE_1)
	s_and_not1_b32 vcc_lo, exec_lo, s17
	s_cbranch_vccnz .LBB55_257
; %bb.249:
	v_cmp_gt_i16_e32 vcc_lo, 6, v17
	s_mov_b32 s17, -1
	s_cbranch_vccnz .LBB55_255
; %bb.250:
	v_cmp_lt_i16_e32 vcc_lo, 6, v17
	s_cbranch_vccz .LBB55_252
; %bb.251:
	s_mov_b32 s17, 0
	global_store_b64 v[8:9], v[0:1], off
.LBB55_252:
	s_and_not1_b32 vcc_lo, exec_lo, s17
	s_cbranch_vccnz .LBB55_254
; %bb.253:
	v_mov_b32_e32 v2, s6
	global_store_b32 v[8:9], v2, off
.LBB55_254:
	s_mov_b32 s17, 0
.LBB55_255:
	s_delay_alu instid0(SALU_CYCLE_1)
	s_and_not1_b32 vcc_lo, exec_lo, s17
	s_cbranch_vccnz .LBB55_257
; %bb.256:
	global_store_b16 v[8:9], v12, off
.LBB55_257:
	s_mov_b32 s17, 0
.LBB55_258:
	s_delay_alu instid0(SALU_CYCLE_1)
	s_and_not1_b32 vcc_lo, exec_lo, s17
	s_cbranch_vccnz .LBB55_274
; %bb.259:
	v_cmp_gt_i16_e32 vcc_lo, 2, v17
	s_mov_b32 s17, -1
	s_cbranch_vccnz .LBB55_269
; %bb.260:
	v_cmp_gt_i16_e32 vcc_lo, 3, v17
	s_cbranch_vccnz .LBB55_266
; %bb.261:
	v_cmp_lt_i16_e32 vcc_lo, 3, v17
	s_cbranch_vccz .LBB55_263
; %bb.262:
	s_mov_b32 s17, 0
	global_store_b64 v[8:9], v[4:5], off
.LBB55_263:
	s_and_not1_b32 vcc_lo, exec_lo, s17
	s_cbranch_vccnz .LBB55_265
; %bb.264:
	global_store_b32 v[8:9], v10, off
.LBB55_265:
	s_mov_b32 s17, 0
.LBB55_266:
	s_delay_alu instid0(SALU_CYCLE_1)
	s_and_not1_b32 vcc_lo, exec_lo, s17
	s_cbranch_vccnz .LBB55_268
; %bb.267:
	global_store_b16 v[8:9], v10, off
.LBB55_268:
	s_mov_b32 s17, 0
.LBB55_269:
	s_delay_alu instid0(SALU_CYCLE_1)
	s_and_not1_b32 vcc_lo, exec_lo, s17
	s_cbranch_vccnz .LBB55_274
; %bb.270:
	v_cmp_lt_i16_e32 vcc_lo, 0, v17
	s_mov_b32 s17, -1
	s_cbranch_vccz .LBB55_272
; %bb.271:
	s_mov_b32 s17, 0
	global_store_b8 v[8:9], v10, off
.LBB55_272:
	s_and_not1_b32 vcc_lo, exec_lo, s17
	s_cbranch_vccnz .LBB55_274
; %bb.273:
	global_store_b8 v[8:9], v4, off
.LBB55_274:
	s_branch .LBB55_362
.LBB55_275:
	s_mov_b32 s17, 0
                                        ; implicit-def: $vgpr11
	s_branch .LBB55_363
.LBB55_276:
	s_mov_b32 s16, s53
	s_branch .LBB55_338
.LBB55_277:
	s_mov_b32 s16, s53
	s_branch .LBB55_324
.LBB55_278:
	s_mov_b32 s4, 0
.LBB55_279:
	s_and_b32 vcc_lo, exec_lo, s9
	s_cbranch_vccz .LBB55_284
; %bb.280:
	v_cmp_eq_u16_e64 s4, s3, 44
	s_delay_alu instid0(VALU_DEP_1)
	s_and_b32 vcc_lo, exec_lo, s4
	s_mov_b32 s4, -1
	s_cbranch_vccz .LBB55_284
; %bb.281:
	v_mov_b32_e32 v5, 0xff
	s_bfe_u32 s4, s2, 0x80017
	s_delay_alu instid0(SALU_CYCLE_1)
	s_cmpk_eq_i32 s4, 0xff
	s_cbranch_scc1 .LBB55_283
; %bb.282:
	s_lshr_b32 s8, s2, 23
	s_bitcmp1_b32 s2, 22
	s_cselect_b32 s9, -1, 0
	s_and_b32 s10, s2, 0x3fffff
	s_delay_alu instid0(SALU_CYCLE_1) | instskip(NEXT) | instid1(SALU_CYCLE_1)
	s_or_b32 s4, s4, s10
	s_cmp_lg_u32 s4, 0
	s_cselect_b32 s4, -1, 0
	s_delay_alu instid0(SALU_CYCLE_1) | instskip(NEXT) | instid1(SALU_CYCLE_1)
	s_and_b32 s4, s9, s4
	v_cndmask_b32_e64 v5, 0, 1, s4
	s_delay_alu instid0(VALU_DEP_1)
	v_add_nc_u32_e32 v5, s8, v5
.LBB55_283:
	s_mov_b32 s4, 0
	s_mov_b32 s8, -1
	global_store_b8 v[3:4], v5, off
.LBB55_284:
	s_branch .LBB55_287
.LBB55_285:
	v_cmp_eq_u16_e64 s4, s3, 29
	s_delay_alu instid0(VALU_DEP_1)
	s_and_b32 vcc_lo, exec_lo, s4
	s_mov_b32 s4, -1
	s_cbranch_vccz .LBB55_287
; %bb.286:
	v_trunc_f32_e32 v5, s2
	s_mov_b32 s4, 0
	s_mov_b32 s8, -1
	s_mov_b32 s9, 0
	s_delay_alu instid0(VALU_DEP_1) | instskip(NEXT) | instid1(VALU_DEP_1)
	v_mul_f32_e32 v6, 0x2f800000, v5
	v_floor_f32_e32 v6, v6
	s_delay_alu instid0(VALU_DEP_1) | instskip(SKIP_1) | instid1(VALU_DEP_2)
	v_fmamk_f32 v5, v6, 0xcf800000, v5
	v_cvt_u32_f32_e32 v6, v6
	v_cvt_u32_f32_e32 v5, v5
	global_store_b64 v[3:4], v[5:6], off
	s_branch .LBB55_288
.LBB55_287:
	s_mov_b32 s9, 0
.LBB55_288:
	s_delay_alu instid0(SALU_CYCLE_1)
	s_and_b32 vcc_lo, exec_lo, s9
	s_cbranch_vccz .LBB55_307
; %bb.289:
	v_cmp_lt_i16_e64 s8, s3, 27
	s_delay_alu instid0(VALU_DEP_1)
	s_and_b32 vcc_lo, exec_lo, s8
	s_mov_b32 s8, -1
	s_cbranch_vccnz .LBB55_295
; %bb.290:
	v_cmp_gt_i16_e64 s8, s3, 27
	s_delay_alu instid0(VALU_DEP_1)
	s_and_b32 vcc_lo, exec_lo, s8
	s_mov_b32 s8, -1
	s_cbranch_vccz .LBB55_292
; %bb.291:
	v_cvt_u32_f32_e32 v5, s2
	s_mov_b32 s8, 0
	global_store_b32 v[3:4], v5, off
.LBB55_292:
	s_and_not1_b32 vcc_lo, exec_lo, s8
	s_cbranch_vccnz .LBB55_294
; %bb.293:
	v_cvt_u32_f32_e32 v5, s2
	global_store_b16 v[3:4], v5, off
.LBB55_294:
	s_mov_b32 s8, 0
.LBB55_295:
	s_delay_alu instid0(SALU_CYCLE_1)
	s_and_not1_b32 vcc_lo, exec_lo, s8
	s_cbranch_vccnz .LBB55_306
; %bb.296:
	v_mov_b32_e32 v6, 0x80
	s_and_b32 s8, s2, 0x7fffffff
	s_delay_alu instid0(SALU_CYCLE_1)
	s_cmp_gt_u32 s8, 0x437fffff
	s_cbranch_scc1 .LBB55_305
; %bb.297:
	s_cmp_gt_u32 s8, 0x3bffffff
	s_cbranch_scc0 .LBB55_300
; %bb.298:
	s_bfe_u32 s8, s2, 0x10014
	s_mov_b32 s9, 0
	s_add_i32 s8, s2, s8
	s_delay_alu instid0(SALU_CYCLE_1) | instskip(NEXT) | instid1(SALU_CYCLE_1)
	s_add_i32 s8, s8, 0x487ffff
	s_lshr_b32 s10, s8, 20
	s_mov_b32 s8, -1
	s_branch .LBB55_301
.LBB55_299:
	s_mov_b32 s16, s53
	s_branch .LBB55_320
.LBB55_300:
	s_mov_b32 s9, -1
	s_mov_b32 s8, 0
                                        ; implicit-def: $sgpr10
.LBB55_301:
	v_mov_b32_e32 v5, s10
	s_and_not1_b32 vcc_lo, exec_lo, s9
                                        ; implicit-def: $sgpr9
	s_cbranch_vccnz .LBB55_303
; %bb.302:
	v_add_f32_e64 v5, 0x46000000, |s2|
	s_mov_b32 s9, 0
	s_delay_alu instid0(VALU_DEP_1) | instskip(NEXT) | instid1(VALU_DEP_1)
	v_and_b32_e32 v5, 0xff, v5
	v_cmp_ne_u32_e64 s8, 0, v5
.LBB55_303:
	v_mov_b32_e32 v6, s9
	s_delay_alu instid0(VALU_DEP_2)
	s_and_not1_b32 vcc_lo, exec_lo, s8
	s_cbranch_vccnz .LBB55_305
; %bb.304:
	s_lshr_b32 s8, s2, 24
	s_delay_alu instid0(SALU_CYCLE_1) | instskip(NEXT) | instid1(SALU_CYCLE_1)
	s_and_b32 s8, s8, 0x80
	v_or_b32_e32 v6, s8, v5
.LBB55_305:
	global_store_b8 v[3:4], v6, off
.LBB55_306:
	s_mov_b32 s8, -1
.LBB55_307:
	s_mov_b32 s9, 0
.LBB55_308:
	s_delay_alu instid0(SALU_CYCLE_1)
	s_and_b32 vcc_lo, exec_lo, s9
	s_cbranch_vccz .LBB55_469
; %bb.309:
	v_cmp_gt_i16_e64 s5, s3, 22
	s_delay_alu instid0(VALU_DEP_1)
	s_and_b32 vcc_lo, exec_lo, s5
	s_mov_b32 s5, -1
	s_cbranch_vccz .LBB55_462
; %bb.310:
	v_cmp_lt_i16_e64 s5, s3, 24
	s_delay_alu instid0(VALU_DEP_1)
	s_and_b32 vcc_lo, exec_lo, s5
	s_mov_b32 s5, -1
	s_cbranch_vccnz .LBB55_449
; %bb.311:
	v_cmp_gt_i16_e64 s5, s3, 24
	s_delay_alu instid0(VALU_DEP_1)
	s_and_b32 vcc_lo, exec_lo, s5
	s_mov_b32 s5, -1
	s_cbranch_vccz .LBB55_436
; %bb.312:
	v_mov_b32_e32 v6, 0x80
	s_and_b32 s5, s2, 0x7fffffff
	s_delay_alu instid0(SALU_CYCLE_1)
	s_cmp_gt_u32 s5, 0x477fffff
	s_cbranch_scc1 .LBB55_435
; %bb.313:
	s_cmp_gt_u32 s5, 0x37ffffff
	s_cbranch_scc0 .LBB55_430
; %bb.314:
	s_bfe_u32 s5, s2, 0x10015
	s_mov_b32 s8, 0
	s_add_i32 s5, s2, s5
	s_delay_alu instid0(SALU_CYCLE_1) | instskip(NEXT) | instid1(SALU_CYCLE_1)
	s_add_i32 s5, s5, 0x88fffff
	s_lshr_b32 s9, s5, 21
	s_mov_b32 s5, -1
	s_branch .LBB55_431
.LBB55_315:
	s_mov_b32 s16, s53
.LBB55_316:
	s_and_b32 vcc_lo, exec_lo, s18
	s_cbranch_vccz .LBB55_319
; %bb.317:
	v_cmp_eq_u16_e32 vcc_lo, 44, v17
	s_mov_b32 s16, -1
	s_cbranch_vccz .LBB55_319
; %bb.318:
	v_cndmask_b32_e64 v2, v16, 0xff, s48
	s_mov_b32 s17, -1
	s_mov_b32 s16, 0
	global_store_b8 v[8:9], v2, off
.LBB55_319:
	s_mov_b32 s18, 0
.LBB55_320:
	s_delay_alu instid0(SALU_CYCLE_1)
	s_and_b32 vcc_lo, exec_lo, s18
	s_cbranch_vccz .LBB55_323
; %bb.321:
	v_cmp_eq_u16_e32 vcc_lo, 29, v17
	s_mov_b32 s16, -1
	s_cbranch_vccz .LBB55_323
; %bb.322:
	s_mov_b32 s17, -1
	s_mov_b32 s16, 0
	global_store_b64 v[8:9], v[6:7], off
.LBB55_323:
	s_mov_b32 s18, 0
.LBB55_324:
	s_delay_alu instid0(SALU_CYCLE_1)
	s_and_b32 vcc_lo, exec_lo, s18
	s_cbranch_vccz .LBB55_337
; %bb.325:
	v_cmp_gt_i16_e32 vcc_lo, 27, v17
	s_mov_b32 s17, -1
	s_cbranch_vccnz .LBB55_331
; %bb.326:
	v_cmp_lt_i16_e32 vcc_lo, 27, v17
	s_cbranch_vccz .LBB55_328
; %bb.327:
	s_mov_b32 s17, 0
	global_store_b32 v[8:9], v15, off
.LBB55_328:
	s_and_not1_b32 vcc_lo, exec_lo, s17
	s_cbranch_vccnz .LBB55_330
; %bb.329:
	global_store_b16 v[8:9], v15, off
.LBB55_330:
	s_mov_b32 s17, 0
.LBB55_331:
	s_delay_alu instid0(SALU_CYCLE_1)
	s_and_not1_b32 vcc_lo, exec_lo, s17
	s_cbranch_vccnz .LBB55_336
; %bb.332:
	s_and_not1_b32 vcc_lo, exec_lo, s44
	s_movk_i32 s17, 0x80
	s_cbranch_vccnz .LBB55_335
; %bb.333:
	s_or_b32 s17, s39, s47
	s_delay_alu instid0(SALU_CYCLE_1)
	s_and_not1_b32 vcc_lo, exec_lo, s17
	s_mov_b32 s17, 0
	s_cbranch_vccnz .LBB55_335
; %bb.334:
	s_and_b32 s17, s39, exec_lo
	s_cselect_b32 s17, s46, s38
	s_delay_alu instid0(SALU_CYCLE_1)
	s_or_b32 s17, s17, s25
.LBB55_335:
	s_delay_alu instid0(SALU_CYCLE_1)
	v_mov_b32_e32 v2, s17
	global_store_b8 v[8:9], v2, off
.LBB55_336:
	s_mov_b32 s17, -1
.LBB55_337:
	s_mov_b32 s18, 0
.LBB55_338:
	s_delay_alu instid0(SALU_CYCLE_1)
	s_and_b32 vcc_lo, exec_lo, s18
	s_cbranch_vccz .LBB55_360
; %bb.339:
	v_cmp_lt_i16_e32 vcc_lo, 22, v17
	s_mov_b32 s18, -1
	s_cbranch_vccz .LBB55_352
; %bb.340:
	v_cmp_gt_i16_e32 vcc_lo, 24, v17
	s_mov_b32 s17, -1
	s_cbranch_vccnz .LBB55_349
; %bb.341:
	v_cmp_lt_i16_e32 vcc_lo, 24, v17
	s_cbranch_vccz .LBB55_346
; %bb.342:
	s_and_not1_b32 vcc_lo, exec_lo, s40
	s_movk_i32 s17, 0x80
	s_cbranch_vccnz .LBB55_345
; %bb.343:
	s_or_b32 s17, s34, s45
	s_delay_alu instid0(SALU_CYCLE_1)
	s_and_not1_b32 vcc_lo, exec_lo, s17
	s_mov_b32 s17, 0
	s_cbranch_vccnz .LBB55_345
; %bb.344:
	s_and_b32 s17, s34, exec_lo
	s_cselect_b32 s17, s41, s30
	s_delay_alu instid0(SALU_CYCLE_1)
	s_or_b32 s17, s17, s25
.LBB55_345:
	s_delay_alu instid0(SALU_CYCLE_1)
	v_mov_b32_e32 v2, s17
	s_mov_b32 s17, 0
	global_store_b8 v[8:9], v2, off
.LBB55_346:
	s_and_b32 vcc_lo, exec_lo, s17
	s_cbranch_vccz .LBB55_348
; %bb.347:
	s_and_b32 s17, s35, exec_lo
	s_cselect_b32 s17, s43, s37
	s_and_b32 s18, s33, exec_lo
	s_cselect_b32 s17, s42, s17
	s_delay_alu instid0(SALU_CYCLE_1) | instskip(NEXT) | instid1(SALU_CYCLE_1)
	s_or_b32 s17, s17, s25
	v_mov_b32_e32 v2, s17
	global_store_b8 v[8:9], v2, off
.LBB55_348:
	s_mov_b32 s17, 0
.LBB55_349:
	s_delay_alu instid0(SALU_CYCLE_1)
	s_and_not1_b32 vcc_lo, exec_lo, s17
	s_cbranch_vccnz .LBB55_351
; %bb.350:
	s_and_b32 s17, s28, exec_lo
	s_cselect_b32 s17, s36, s29
	s_and_b32 s18, s26, exec_lo
	s_cselect_b32 s17, s31, s17
	s_delay_alu instid0(SALU_CYCLE_1) | instskip(NEXT) | instid1(SALU_CYCLE_1)
	s_or_b32 s17, s17, s25
	v_mov_b32_e32 v2, s17
	global_store_b8 v[8:9], v2, off
.LBB55_351:
	s_mov_b32 s18, 0
	s_mov_b32 s17, -1
.LBB55_352:
	s_and_not1_b32 vcc_lo, exec_lo, s18
	s_cbranch_vccnz .LBB55_360
; %bb.353:
	v_cmp_lt_i16_e32 vcc_lo, 14, v17
	s_mov_b32 s18, -1
	s_cbranch_vccz .LBB55_357
; %bb.354:
	v_cmp_eq_u16_e32 vcc_lo, 15, v17
	s_mov_b32 s16, -1
	s_cbranch_vccz .LBB55_356
; %bb.355:
	v_mov_b32_e32 v2, s27
	s_mov_b32 s17, -1
	s_mov_b32 s16, 0
	global_store_b16 v[8:9], v2, off
.LBB55_356:
	s_mov_b32 s18, 0
.LBB55_357:
	s_delay_alu instid0(SALU_CYCLE_1)
	s_and_b32 vcc_lo, exec_lo, s18
	s_cbranch_vccz .LBB55_360
; %bb.358:
	v_cmp_eq_u16_e32 vcc_lo, 11, v17
	s_mov_b32 s16, -1
	s_cbranch_vccz .LBB55_360
; %bb.359:
	s_mov_b32 s17, -1
	s_mov_b32 s16, 0
	global_store_b8 v[8:9], v14, off
.LBB55_360:
.LBB55_361:
	s_and_not1_b32 vcc_lo, exec_lo, s17
	s_cbranch_vccnz .LBB55_275
.LBB55_362:
	v_add_nc_u32_e32 v11, 0x80, v11
	s_mov_b32 s17, -1
.LBB55_363:
	s_and_not1_b32 s18, s53, exec_lo
	s_and_b32 s16, s16, exec_lo
	s_delay_alu instid0(SALU_CYCLE_1)
	s_or_b32 s55, s18, s16
	s_or_not1_b32 s18, s17, exec_lo
.LBB55_364:
	s_or_b32 exec_lo, exec_lo, s56
	s_mov_b32 s16, 0
	s_mov_b32 s17, 0
                                        ; implicit-def: $vgpr17
                                        ; implicit-def: $vgpr8_vgpr9
	s_and_saveexec_b32 s56, s18
	s_cbranch_execz .LBB55_681
; %bb.365:
	s_mov_b32 s58, -1
	s_mov_b32 s18, s55
	s_mov_b32 s57, exec_lo
	v_cmpx_gt_i32_e64 s50, v11
	s_cbranch_execz .LBB55_612
; %bb.366:
	s_and_not1_b32 vcc_lo, exec_lo, s23
	s_cbranch_vccnz .LBB55_371
; %bb.367:
	v_mov_b32_e32 v2, 0
	s_and_not1_b32 vcc_lo, exec_lo, s52
	s_cbranch_vccnz .LBB55_376
; %bb.368:
	s_add_i32 s59, s51, 1
	s_cmp_eq_u32 s21, 2
	s_mov_b32 s58, 0
	s_cbranch_scc1 .LBB55_372
; %bb.369:
	v_dual_mov_b32 v2, 0 :: v_dual_mov_b32 v3, v11
	s_and_b32 s58, s59, 28
	s_mov_b32 s60, 0
	s_mov_b64 s[16:17], s[0:1]
	s_mov_b64 s[18:19], s[14:15]
.LBB55_370:                             ; =>This Inner Loop Header: Depth=1
	s_clause 0x1
	s_load_b256 s[64:71], s[16:17], 0x4
	s_load_b128 s[72:75], s[16:17], 0x24
	s_load_b128 s[76:79], s[18:19], 0x0
	s_add_u32 s16, s16, 48
	s_addc_u32 s17, s17, 0
	s_add_i32 s60, s60, 4
	s_add_u32 s18, s18, 16
	s_addc_u32 s19, s19, 0
	s_cmp_eq_u32 s58, s60
	s_waitcnt lgkmcnt(0)
	v_mul_hi_u32 v8, s65, v3
	s_delay_alu instid0(VALU_DEP_1) | instskip(NEXT) | instid1(VALU_DEP_1)
	v_add_nc_u32_e32 v8, v3, v8
	v_lshrrev_b32_e32 v8, s66, v8
	s_delay_alu instid0(VALU_DEP_1) | instskip(SKIP_1) | instid1(VALU_DEP_2)
	v_mul_hi_u32 v9, s68, v8
	v_mul_lo_u32 v19, v8, s64
	v_add_nc_u32_e32 v9, v8, v9
	s_delay_alu instid0(VALU_DEP_2) | instskip(NEXT) | instid1(VALU_DEP_2)
	v_sub_nc_u32_e32 v19, v3, v19
	v_lshrrev_b32_e32 v9, s69, v9
	s_delay_alu instid0(VALU_DEP_2) | instskip(NEXT) | instid1(VALU_DEP_2)
	v_mul_lo_u32 v19, v19, s76
	v_mul_hi_u32 v17, s71, v9
	v_mul_lo_u32 v20, v9, s67
	s_delay_alu instid0(VALU_DEP_2) | instskip(NEXT) | instid1(VALU_DEP_2)
	v_add_nc_u32_e32 v17, v9, v17
	v_sub_nc_u32_e32 v8, v8, v20
	s_delay_alu instid0(VALU_DEP_2) | instskip(NEXT) | instid1(VALU_DEP_2)
	v_lshrrev_b32_e32 v17, s72, v17
	v_mul_lo_u32 v8, v8, s77
	s_delay_alu instid0(VALU_DEP_2) | instskip(NEXT) | instid1(VALU_DEP_2)
	v_mul_hi_u32 v18, s74, v17
	v_add3_u32 v2, v19, v2, v8
	s_delay_alu instid0(VALU_DEP_2) | instskip(NEXT) | instid1(VALU_DEP_1)
	v_add_nc_u32_e32 v18, v17, v18
	v_lshrrev_b32_e32 v3, s75, v18
	v_mul_lo_u32 v18, v17, s70
	s_delay_alu instid0(VALU_DEP_2) | instskip(NEXT) | instid1(VALU_DEP_2)
	v_mul_lo_u32 v21, v3, s73
	v_sub_nc_u32_e32 v9, v9, v18
	s_delay_alu instid0(VALU_DEP_2) | instskip(NEXT) | instid1(VALU_DEP_2)
	v_sub_nc_u32_e32 v17, v17, v21
	v_mul_lo_u32 v9, v9, s78
	s_delay_alu instid0(VALU_DEP_2) | instskip(NEXT) | instid1(VALU_DEP_1)
	v_mul_lo_u32 v17, v17, s79
	v_add3_u32 v2, v9, v2, v17
	s_cbranch_scc0 .LBB55_370
	s_branch .LBB55_373
.LBB55_371:
	s_mov_b32 s16, -1
                                        ; implicit-def: $vgpr2
	s_branch .LBB55_377
.LBB55_372:
	v_mov_b32_e32 v3, v11
.LBB55_373:
	s_and_b32 s59, s59, 3
	s_delay_alu instid0(SALU_CYCLE_1)
	s_cmp_eq_u32 s59, 0
	s_cbranch_scc1 .LBB55_376
; %bb.374:
	s_lshl_b32 s16, s58, 2
	s_mul_i32 s18, s58, 12
	s_add_u32 s16, s16, s0
	s_addc_u32 s17, s1, 0
	s_add_u32 s16, s16, 0xc4
	s_addc_u32 s17, s17, 0
	;; [unrolled: 2-line block ×3, first 2 shown]
	.p2align	6
.LBB55_375:                             ; =>This Inner Loop Header: Depth=1
	s_clause 0x1
	s_load_b64 s[60:61], s[18:19], 0x4
	s_load_b32 s58, s[18:19], 0xc
	s_add_u32 s18, s18, 12
	s_addc_u32 s19, s19, 0
	s_waitcnt lgkmcnt(0)
	v_mul_hi_u32 v8, s61, v3
	s_load_b32 s61, s[16:17], 0x0
	s_add_u32 s16, s16, 4
	s_addc_u32 s17, s17, 0
	s_add_i32 s59, s59, -1
	s_delay_alu instid0(SALU_CYCLE_1) | instskip(NEXT) | instid1(VALU_DEP_1)
	s_cmp_lg_u32 s59, 0
	v_add_nc_u32_e32 v8, v3, v8
	s_delay_alu instid0(VALU_DEP_1) | instskip(NEXT) | instid1(VALU_DEP_1)
	v_lshrrev_b32_e32 v17, s58, v8
	v_mul_lo_u32 v8, v17, s60
	s_delay_alu instid0(VALU_DEP_1) | instskip(SKIP_1) | instid1(VALU_DEP_1)
	v_sub_nc_u32_e32 v3, v3, v8
	s_waitcnt lgkmcnt(0)
	v_mad_u64_u32 v[8:9], null, v3, s61, v[2:3]
	s_delay_alu instid0(VALU_DEP_1)
	v_dual_mov_b32 v3, v17 :: v_dual_mov_b32 v2, v8
	s_cbranch_scc1 .LBB55_375
.LBB55_376:
	s_mov_b32 s16, 0
.LBB55_377:
	s_delay_alu instid0(SALU_CYCLE_1)
	s_and_not1_b32 vcc_lo, exec_lo, s16
	s_cbranch_vccnz .LBB55_380
; %bb.378:
	s_waitcnt lgkmcnt(0)
	v_mul_hi_u32 v2, s9, v11
	s_and_not1_b32 vcc_lo, exec_lo, s49
	s_delay_alu instid0(VALU_DEP_1) | instskip(NEXT) | instid1(VALU_DEP_1)
	v_add_nc_u32_e32 v2, v11, v2
	v_lshrrev_b32_e32 v3, s10, v2
	s_delay_alu instid0(VALU_DEP_1) | instskip(NEXT) | instid1(VALU_DEP_1)
	v_mul_lo_u32 v2, v3, s8
	v_sub_nc_u32_e32 v2, v11, v2
	s_delay_alu instid0(VALU_DEP_1)
	v_mul_lo_u32 v2, v2, s2
	s_cbranch_vccnz .LBB55_380
; %bb.379:
	v_mul_hi_u32 v8, s12, v3
	s_delay_alu instid0(VALU_DEP_1) | instskip(NEXT) | instid1(VALU_DEP_1)
	v_add_nc_u32_e32 v8, v3, v8
	v_lshrrev_b32_e32 v8, s13, v8
	s_delay_alu instid0(VALU_DEP_1) | instskip(NEXT) | instid1(VALU_DEP_1)
	v_mul_lo_u32 v8, v8, s11
	v_sub_nc_u32_e32 v3, v3, v8
	s_delay_alu instid0(VALU_DEP_1) | instskip(NEXT) | instid1(VALU_DEP_1)
	v_mad_u64_u32 v[8:9], null, v3, s3, v[2:3]
	v_mov_b32_e32 v2, v8
.LBB55_380:
	v_and_b32_e64 v17, 0xff, s7
	s_delay_alu instid0(VALU_DEP_2) | instskip(NEXT) | instid1(VALU_DEP_1)
	v_add_co_u32 v8, s16, s4, v2
	v_add_co_ci_u32_e64 v9, null, s5, 0, s16
	s_delay_alu instid0(VALU_DEP_3)
	v_cmp_gt_i16_e32 vcc_lo, 11, v17
	s_mov_b32 s17, 0
	s_mov_b32 s18, -1
	s_mov_b32 s16, s55
	s_cbranch_vccnz .LBB55_387
; %bb.381:
	v_cmp_lt_i16_e32 vcc_lo, 25, v17
	s_cbranch_vccz .LBB55_427
; %bb.382:
	v_cmp_lt_i16_e32 vcc_lo, 28, v17
	s_cbranch_vccz .LBB55_428
	;; [unrolled: 3-line block ×4, first 2 shown]
; %bb.385:
	v_cmp_eq_u16_e32 vcc_lo, 46, v17
	s_mov_b32 s18, 0
	s_mov_b32 s16, -1
	s_cbranch_vccz .LBB55_564
; %bb.386:
	v_mov_b32_e32 v2, s27
	s_mov_b32 s17, -1
	s_mov_b32 s16, 0
	global_store_b32 v[8:9], v2, off
	s_branch .LBB55_564
.LBB55_387:
	s_and_b32 vcc_lo, exec_lo, s18
	s_cbranch_vccz .LBB55_609
; %bb.388:
	v_cmp_gt_i16_e32 vcc_lo, 5, v17
	s_mov_b32 s17, -1
	s_cbranch_vccnz .LBB55_409
; %bb.389:
	v_cmp_gt_i16_e32 vcc_lo, 8, v17
	s_cbranch_vccnz .LBB55_399
; %bb.390:
	v_cmp_gt_i16_e32 vcc_lo, 9, v17
	s_cbranch_vccnz .LBB55_396
; %bb.391:
	v_cmp_lt_i16_e32 vcc_lo, 9, v17
	s_cbranch_vccz .LBB55_393
; %bb.392:
	v_mov_b32_e32 v2, 0
	s_mov_b32 s17, 0
	s_delay_alu instid0(VALU_DEP_1)
	v_mov_b32_e32 v3, v2
	global_store_b128 v[8:9], v[0:3], off
.LBB55_393:
	s_and_not1_b32 vcc_lo, exec_lo, s17
	s_cbranch_vccnz .LBB55_395
; %bb.394:
	v_dual_mov_b32 v2, s6 :: v_dual_mov_b32 v3, 0
	global_store_b64 v[8:9], v[2:3], off
.LBB55_395:
	s_mov_b32 s17, 0
.LBB55_396:
	s_delay_alu instid0(SALU_CYCLE_1)
	s_and_not1_b32 vcc_lo, exec_lo, s17
	s_cbranch_vccnz .LBB55_398
; %bb.397:
	global_store_b32 v[8:9], v13, off
.LBB55_398:
	s_mov_b32 s17, 0
.LBB55_399:
	s_delay_alu instid0(SALU_CYCLE_1)
	s_and_not1_b32 vcc_lo, exec_lo, s17
	s_cbranch_vccnz .LBB55_408
; %bb.400:
	v_cmp_gt_i16_e32 vcc_lo, 6, v17
	s_mov_b32 s17, -1
	s_cbranch_vccnz .LBB55_406
; %bb.401:
	v_cmp_lt_i16_e32 vcc_lo, 6, v17
	s_cbranch_vccz .LBB55_403
; %bb.402:
	s_mov_b32 s17, 0
	global_store_b64 v[8:9], v[0:1], off
.LBB55_403:
	s_and_not1_b32 vcc_lo, exec_lo, s17
	s_cbranch_vccnz .LBB55_405
; %bb.404:
	v_mov_b32_e32 v2, s6
	global_store_b32 v[8:9], v2, off
.LBB55_405:
	s_mov_b32 s17, 0
.LBB55_406:
	s_delay_alu instid0(SALU_CYCLE_1)
	s_and_not1_b32 vcc_lo, exec_lo, s17
	s_cbranch_vccnz .LBB55_408
; %bb.407:
	global_store_b16 v[8:9], v12, off
.LBB55_408:
	s_mov_b32 s17, 0
.LBB55_409:
	s_delay_alu instid0(SALU_CYCLE_1)
	s_and_not1_b32 vcc_lo, exec_lo, s17
	s_cbranch_vccnz .LBB55_425
; %bb.410:
	v_cmp_gt_i16_e32 vcc_lo, 2, v17
	s_mov_b32 s17, -1
	s_cbranch_vccnz .LBB55_420
; %bb.411:
	v_cmp_gt_i16_e32 vcc_lo, 3, v17
	s_cbranch_vccnz .LBB55_417
; %bb.412:
	v_cmp_lt_i16_e32 vcc_lo, 3, v17
	s_cbranch_vccz .LBB55_414
; %bb.413:
	s_mov_b32 s17, 0
	global_store_b64 v[8:9], v[4:5], off
.LBB55_414:
	s_and_not1_b32 vcc_lo, exec_lo, s17
	s_cbranch_vccnz .LBB55_416
; %bb.415:
	global_store_b32 v[8:9], v10, off
.LBB55_416:
	s_mov_b32 s17, 0
.LBB55_417:
	s_delay_alu instid0(SALU_CYCLE_1)
	s_and_not1_b32 vcc_lo, exec_lo, s17
	s_cbranch_vccnz .LBB55_419
; %bb.418:
	global_store_b16 v[8:9], v10, off
.LBB55_419:
	s_mov_b32 s17, 0
.LBB55_420:
	s_delay_alu instid0(SALU_CYCLE_1)
	s_and_not1_b32 vcc_lo, exec_lo, s17
	s_cbranch_vccnz .LBB55_425
; %bb.421:
	v_cmp_lt_i16_e32 vcc_lo, 0, v17
	s_mov_b32 s17, -1
	s_cbranch_vccz .LBB55_423
; %bb.422:
	s_mov_b32 s17, 0
	global_store_b8 v[8:9], v10, off
.LBB55_423:
	s_and_not1_b32 vcc_lo, exec_lo, s17
	s_cbranch_vccnz .LBB55_425
; %bb.424:
	global_store_b8 v[8:9], v4, off
.LBB55_425:
	s_branch .LBB55_610
.LBB55_426:
	s_mov_b32 s17, 0
                                        ; implicit-def: $vgpr11
	s_branch .LBB55_611
.LBB55_427:
	s_mov_b32 s16, s55
	s_branch .LBB55_586
.LBB55_428:
	s_mov_b32 s16, s55
	s_branch .LBB55_572
.LBB55_429:
	s_mov_b32 s16, s55
	s_branch .LBB55_568
.LBB55_430:
	s_mov_b32 s8, -1
	s_mov_b32 s5, 0
                                        ; implicit-def: $sgpr9
.LBB55_431:
	v_mov_b32_e32 v5, s9
	s_and_not1_b32 vcc_lo, exec_lo, s8
                                        ; implicit-def: $sgpr8
	s_cbranch_vccnz .LBB55_433
; %bb.432:
	v_add_f32_e64 v5, 0x42800000, |s2|
	s_mov_b32 s8, 0
	s_delay_alu instid0(VALU_DEP_1) | instskip(NEXT) | instid1(VALU_DEP_1)
	v_and_b32_e32 v5, 0xff, v5
	v_cmp_ne_u32_e64 s5, 0, v5
.LBB55_433:
	v_mov_b32_e32 v6, s8
	s_delay_alu instid0(VALU_DEP_2)
	s_and_not1_b32 vcc_lo, exec_lo, s5
	s_cbranch_vccnz .LBB55_435
; %bb.434:
	s_lshr_b32 s5, s2, 24
	s_delay_alu instid0(SALU_CYCLE_1) | instskip(NEXT) | instid1(SALU_CYCLE_1)
	s_and_b32 s5, s5, 0x80
	v_or_b32_e32 v6, s5, v5
.LBB55_435:
	s_mov_b32 s5, 0
	global_store_b8 v[3:4], v6, off
.LBB55_436:
	s_and_b32 vcc_lo, exec_lo, s5
	s_cbranch_vccz .LBB55_448
; %bb.437:
	s_and_b32 s5, s2, 0x7fffffff
	s_delay_alu instid0(SALU_CYCLE_1)
	s_cmp_lt_u32 s5, 0x43f00000
	s_cbranch_scc0 .LBB55_440
; %bb.438:
	s_cmp_gt_u32 s5, 0x3c7fffff
	s_cbranch_scc0 .LBB55_441
; %bb.439:
	s_bfe_u32 s8, s2, 0x10014
	s_delay_alu instid0(SALU_CYCLE_1) | instskip(NEXT) | instid1(SALU_CYCLE_1)
	s_add_i32 s8, s2, s8
	s_add_i32 s8, s8, 0x407ffff
	s_delay_alu instid0(SALU_CYCLE_1)
	s_and_b32 s9, s8, 0xff00000
	s_lshr_b32 s8, s8, 20
	s_cmp_lg_u32 s9, 0x7f00000
	s_cselect_b32 s9, s8, 0x7e
	s_mov_b32 s8, 0
	s_branch .LBB55_442
.LBB55_440:
	s_mov_b32 s8, -1
                                        ; implicit-def: $vgpr5
	s_branch .LBB55_445
.LBB55_441:
	s_mov_b32 s8, -1
                                        ; implicit-def: $sgpr9
.LBB55_442:
	v_mov_b32_e32 v5, s9
	s_and_not1_b32 vcc_lo, exec_lo, s8
	s_cbranch_vccnz .LBB55_444
; %bb.443:
	v_add_f32_e64 v5, 0x46800000, |s2|
.LBB55_444:
	s_mov_b32 s8, 0
.LBB55_445:
	s_delay_alu instid0(SALU_CYCLE_1)
	s_and_not1_b32 vcc_lo, exec_lo, s8
	s_cbranch_vccnz .LBB55_447
; %bb.446:
	s_cmp_gt_u32 s5, 0x7f800000
	s_movk_i32 s5, 0x7f
	s_delay_alu instid0(SALU_CYCLE_1) | instskip(NEXT) | instid1(SALU_CYCLE_1)
	s_cselect_b32 s5, s5, 0x7e
	v_mov_b32_e32 v5, s5
.LBB55_447:
	s_lshr_b32 s5, s2, 24
	s_delay_alu instid0(SALU_CYCLE_1)
	s_and_b32 s5, s5, 0x80
	s_delay_alu instid0(VALU_DEP_1) | instid1(SALU_CYCLE_1)
	v_or_b32_e32 v5, s5, v5
	global_store_b8 v[3:4], v5, off
.LBB55_448:
	s_mov_b32 s5, 0
.LBB55_449:
	s_delay_alu instid0(SALU_CYCLE_1)
	s_and_not1_b32 vcc_lo, exec_lo, s5
	s_cbranch_vccnz .LBB55_461
; %bb.450:
	s_and_b32 s5, s2, 0x7fffffff
	s_delay_alu instid0(SALU_CYCLE_1)
	s_cmp_lt_u32 s5, 0x47800000
	s_cbranch_scc0 .LBB55_453
; %bb.451:
	s_cmp_gt_u32 s5, 0x387fffff
	s_cbranch_scc0 .LBB55_454
; %bb.452:
	s_bfe_u32 s8, s2, 0x10015
	s_delay_alu instid0(SALU_CYCLE_1) | instskip(NEXT) | instid1(SALU_CYCLE_1)
	s_add_i32 s8, s2, s8
	s_add_i32 s8, s8, 0x80fffff
	s_delay_alu instid0(SALU_CYCLE_1)
	s_lshr_b32 s9, s8, 21
	s_mov_b32 s8, 0
	s_branch .LBB55_455
.LBB55_453:
	s_mov_b32 s8, -1
                                        ; implicit-def: $vgpr5
	s_branch .LBB55_458
.LBB55_454:
	s_mov_b32 s8, -1
                                        ; implicit-def: $sgpr9
.LBB55_455:
	v_mov_b32_e32 v5, s9
	s_and_not1_b32 vcc_lo, exec_lo, s8
	s_cbranch_vccnz .LBB55_457
; %bb.456:
	v_add_f32_e64 v5, 0x43000000, |s2|
.LBB55_457:
	s_mov_b32 s8, 0
.LBB55_458:
	s_delay_alu instid0(SALU_CYCLE_1)
	s_and_not1_b32 vcc_lo, exec_lo, s8
	s_cbranch_vccnz .LBB55_460
; %bb.459:
	s_cmp_gt_u32 s5, 0x7f800000
	s_movk_i32 s5, 0x7f
	s_delay_alu instid0(SALU_CYCLE_1) | instskip(NEXT) | instid1(SALU_CYCLE_1)
	s_cselect_b32 s5, s5, 0x7c
	v_mov_b32_e32 v5, s5
.LBB55_460:
	s_lshr_b32 s5, s2, 24
	s_delay_alu instid0(SALU_CYCLE_1)
	s_and_b32 s5, s5, 0x80
	s_delay_alu instid0(VALU_DEP_1) | instid1(SALU_CYCLE_1)
	v_or_b32_e32 v5, s5, v5
	global_store_b8 v[3:4], v5, off
.LBB55_461:
	s_mov_b32 s5, 0
	s_mov_b32 s8, -1
.LBB55_462:
	s_and_not1_b32 vcc_lo, exec_lo, s5
	s_mov_b32 s5, 0
	s_cbranch_vccnz .LBB55_469
; %bb.463:
	v_cmp_gt_i16_e64 s5, s3, 14
	s_delay_alu instid0(VALU_DEP_1)
	s_and_b32 vcc_lo, exec_lo, s5
	s_mov_b32 s5, -1
	s_cbranch_vccz .LBB55_467
; %bb.464:
	v_cmp_eq_u16_e64 s4, s3, 15
	s_delay_alu instid0(VALU_DEP_1)
	s_and_b32 vcc_lo, exec_lo, s4
	s_mov_b32 s4, -1
	s_cbranch_vccz .LBB55_466
; %bb.465:
	s_bfe_u32 s4, s2, 0x10010
	v_cmp_o_f32_e64 s5, s2, s2
	s_add_i32 s4, s2, s4
	s_mov_b32 s8, -1
	s_addk_i32 s4, 0x7fff
	s_delay_alu instid0(SALU_CYCLE_1) | instskip(SKIP_2) | instid1(SALU_CYCLE_1)
	s_lshr_b32 s4, s4, 16
	s_and_b32 s5, s5, exec_lo
	s_cselect_b32 s4, s4, 0x7fc0
	v_mov_b32_e32 v5, s4
	s_mov_b32 s4, 0
	global_store_b16 v[3:4], v5, off
.LBB55_466:
	s_mov_b32 s5, 0
.LBB55_467:
	s_delay_alu instid0(SALU_CYCLE_1)
	s_and_b32 vcc_lo, exec_lo, s5
	s_mov_b32 s5, 0
	s_cbranch_vccz .LBB55_469
; %bb.468:
	v_cmp_ne_u16_e64 s4, s3, 11
	s_mov_b32 s5, -1
.LBB55_469:
	s_delay_alu instid0(VALU_DEP_1)
	s_and_b32 vcc_lo, exec_lo, s4
	s_mov_b32 s4, s6
	s_cbranch_vccnz .LBB55_522
; %bb.470:
	s_and_not1_b32 vcc_lo, exec_lo, s5
	s_cbranch_vccnz .LBB55_472
.LBB55_471:
	v_cmp_neq_f32_e64 s5, s2, 0
	s_mov_b32 s8, -1
	s_delay_alu instid0(VALU_DEP_1)
	v_cndmask_b32_e64 v5, 0, 1, s5
	global_store_b8 v[3:4], v5, off
.LBB55_472:
	s_mov_b32 s5, 0
.LBB55_473:
	s_delay_alu instid0(SALU_CYCLE_1)
	s_and_b32 vcc_lo, exec_lo, s5
	s_cbranch_vccz .LBB55_512
; %bb.474:
	v_cmp_lt_i16_e64 s5, s3, 5
	s_delay_alu instid0(VALU_DEP_1)
	s_and_b32 vcc_lo, exec_lo, s5
	s_mov_b32 s5, -1
	s_cbranch_vccnz .LBB55_495
; %bb.475:
	v_cmp_lt_i16_e64 s5, s3, 8
	s_delay_alu instid0(VALU_DEP_1)
	s_and_b32 vcc_lo, exec_lo, s5
	s_mov_b32 s5, -1
	s_cbranch_vccnz .LBB55_485
	;; [unrolled: 6-line block ×3, first 2 shown]
; %bb.477:
	v_cmp_gt_i16_e64 s5, s3, 9
	s_delay_alu instid0(VALU_DEP_1)
	s_and_b32 vcc_lo, exec_lo, s5
	s_mov_b32 s5, -1
	s_cbranch_vccz .LBB55_479
; %bb.478:
	v_cvt_f64_f32_e32 v[5:6], s2
	v_mov_b32_e32 v7, 0
	s_mov_b32 s5, 0
	s_delay_alu instid0(VALU_DEP_1)
	v_mov_b32_e32 v8, v7
	global_store_b128 v[3:4], v[5:8], off
.LBB55_479:
	s_and_not1_b32 vcc_lo, exec_lo, s5
	s_cbranch_vccnz .LBB55_481
; %bb.480:
	v_dual_mov_b32 v5, s2 :: v_dual_mov_b32 v6, 0
	global_store_b64 v[3:4], v[5:6], off
.LBB55_481:
	s_mov_b32 s5, 0
.LBB55_482:
	s_delay_alu instid0(SALU_CYCLE_1)
	s_and_not1_b32 vcc_lo, exec_lo, s5
	s_cbranch_vccnz .LBB55_484
; %bb.483:
	v_cvt_f16_f32_e32 v5, s2
	s_delay_alu instid0(VALU_DEP_1)
	v_and_b32_e32 v5, 0xffff, v5
	global_store_b32 v[3:4], v5, off
.LBB55_484:
	s_mov_b32 s5, 0
.LBB55_485:
	s_delay_alu instid0(SALU_CYCLE_1)
	s_and_not1_b32 vcc_lo, exec_lo, s5
	s_cbranch_vccnz .LBB55_494
; %bb.486:
	v_cmp_lt_i16_e64 s5, s3, 6
	s_delay_alu instid0(VALU_DEP_1)
	s_and_b32 vcc_lo, exec_lo, s5
	s_mov_b32 s5, -1
	s_cbranch_vccnz .LBB55_492
; %bb.487:
	v_cmp_gt_i16_e64 s5, s3, 6
	s_delay_alu instid0(VALU_DEP_1)
	s_and_b32 vcc_lo, exec_lo, s5
	s_mov_b32 s5, -1
	s_cbranch_vccz .LBB55_489
; %bb.488:
	v_cvt_f64_f32_e32 v[5:6], s2
	s_mov_b32 s5, 0
	global_store_b64 v[3:4], v[5:6], off
.LBB55_489:
	s_and_not1_b32 vcc_lo, exec_lo, s5
	s_cbranch_vccnz .LBB55_491
; %bb.490:
	v_mov_b32_e32 v5, s2
	global_store_b32 v[3:4], v5, off
.LBB55_491:
	s_mov_b32 s5, 0
.LBB55_492:
	s_delay_alu instid0(SALU_CYCLE_1)
	s_and_not1_b32 vcc_lo, exec_lo, s5
	s_cbranch_vccnz .LBB55_494
; %bb.493:
	v_cvt_f16_f32_e32 v5, s2
	global_store_b16 v[3:4], v5, off
.LBB55_494:
	s_mov_b32 s5, 0
.LBB55_495:
	s_delay_alu instid0(SALU_CYCLE_1)
	s_and_not1_b32 vcc_lo, exec_lo, s5
	s_cbranch_vccnz .LBB55_511
; %bb.496:
	v_cmp_lt_i16_e64 s5, s3, 2
	s_delay_alu instid0(VALU_DEP_1)
	s_and_b32 vcc_lo, exec_lo, s5
	s_mov_b32 s5, -1
	s_cbranch_vccnz .LBB55_506
; %bb.497:
	v_cmp_lt_i16_e64 s5, s3, 3
	s_delay_alu instid0(VALU_DEP_1)
	s_and_b32 vcc_lo, exec_lo, s5
	s_mov_b32 s5, -1
	s_cbranch_vccnz .LBB55_503
; %bb.498:
	v_cmp_gt_i16_e64 s5, s3, 3
	s_delay_alu instid0(VALU_DEP_1)
	s_and_b32 vcc_lo, exec_lo, s5
	s_mov_b32 s5, -1
	s_cbranch_vccz .LBB55_500
; %bb.499:
	v_trunc_f32_e32 v5, s2
	s_mov_b32 s5, 0
	s_delay_alu instid0(VALU_DEP_1) | instskip(SKIP_1) | instid1(VALU_DEP_2)
	v_mul_f32_e64 v6, 0x2f800000, |v5|
	v_ashrrev_i32_e32 v8, 31, v5
	v_floor_f32_e32 v6, v6
	s_delay_alu instid0(VALU_DEP_1) | instskip(SKIP_1) | instid1(VALU_DEP_2)
	v_fma_f32 v7, 0xcf800000, v6, |v5|
	v_cvt_u32_f32_e32 v6, v6
	v_cvt_u32_f32_e32 v5, v7
	s_delay_alu instid0(VALU_DEP_2) | instskip(NEXT) | instid1(VALU_DEP_2)
	v_xor_b32_e32 v6, v6, v8
	v_xor_b32_e32 v5, v5, v8
	s_delay_alu instid0(VALU_DEP_1) | instskip(NEXT) | instid1(VALU_DEP_3)
	v_sub_co_u32 v5, vcc_lo, v5, v8
	v_sub_co_ci_u32_e32 v6, vcc_lo, v6, v8, vcc_lo
	global_store_b64 v[3:4], v[5:6], off
.LBB55_500:
	s_and_not1_b32 vcc_lo, exec_lo, s5
	s_cbranch_vccnz .LBB55_502
; %bb.501:
	v_cvt_i32_f32_e32 v5, s2
	global_store_b32 v[3:4], v5, off
.LBB55_502:
	s_mov_b32 s5, 0
.LBB55_503:
	s_delay_alu instid0(SALU_CYCLE_1)
	s_and_not1_b32 vcc_lo, exec_lo, s5
	s_cbranch_vccnz .LBB55_505
; %bb.504:
	v_cvt_i32_f32_e32 v5, s2
	global_store_b16 v[3:4], v5, off
.LBB55_505:
	s_mov_b32 s5, 0
.LBB55_506:
	s_delay_alu instid0(SALU_CYCLE_1)
	s_and_not1_b32 vcc_lo, exec_lo, s5
	s_cbranch_vccnz .LBB55_511
; %bb.507:
	v_cmp_gt_i16_e64 s5, s3, 0
	s_delay_alu instid0(VALU_DEP_1)
	s_and_b32 vcc_lo, exec_lo, s5
	s_mov_b32 s5, -1
	s_cbranch_vccz .LBB55_509
; %bb.508:
	v_cvt_i32_f32_e32 v5, s2
	s_mov_b32 s5, 0
	global_store_b8 v[3:4], v5, off
.LBB55_509:
	s_and_not1_b32 vcc_lo, exec_lo, s5
	s_cbranch_vccnz .LBB55_511
; %bb.510:
	v_trunc_f32_e32 v5, s2
	s_delay_alu instid0(VALU_DEP_1) | instskip(NEXT) | instid1(VALU_DEP_1)
	v_mul_f32_e64 v6, 0x2f800000, |v5|
	v_floor_f32_e32 v6, v6
	s_delay_alu instid0(VALU_DEP_1) | instskip(SKIP_1) | instid1(VALU_DEP_2)
	v_fma_f32 v6, 0xcf800000, v6, |v5|
	v_ashrrev_i32_e32 v5, 31, v5
	v_cvt_u32_f32_e32 v6, v6
	s_delay_alu instid0(VALU_DEP_1) | instskip(NEXT) | instid1(VALU_DEP_1)
	v_xor_b32_e32 v6, v6, v5
	v_sub_nc_u32_e32 v5, v6, v5
	global_store_b8 v[3:4], v5, off
.LBB55_511:
	s_mov_b32 s8, -1
.LBB55_512:
	s_delay_alu instid0(SALU_CYCLE_1)
	s_and_not1_b32 vcc_lo, exec_lo, s8
	s_cbranch_vccnz .LBB55_910
; %bb.513:
	v_cmp_lt_i16_e64 s5, s3, 11
	v_add_co_u32 v2, s8, s0, v2
	s_delay_alu instid0(VALU_DEP_1) | instskip(SKIP_1) | instid1(VALU_DEP_3)
	v_add_co_ci_u32_e64 v3, null, s1, 0, s8
	s_mov_b32 s9, 0
	s_and_b32 vcc_lo, exec_lo, s5
	s_mov_b32 s5, -1
	s_cbranch_vccnz .LBB55_729
; %bb.514:
	v_cmp_gt_i16_e64 s5, s3, 25
	s_mov_b32 s10, -1
	s_mov_b32 s8, 0
	s_delay_alu instid0(VALU_DEP_1)
	s_and_b32 vcc_lo, exec_lo, s5
	s_mov_b32 s5, 0
	s_cbranch_vccz .LBB55_556
; %bb.515:
	v_cmp_gt_i16_e64 s5, s3, 28
	s_delay_alu instid0(VALU_DEP_1)
	s_and_b32 vcc_lo, exec_lo, s5
	s_cbranch_vccz .LBB55_520
; %bb.516:
	v_cmp_gt_i16_e64 s5, s3, 43
	s_delay_alu instid0(VALU_DEP_1)
	s_and_b32 vcc_lo, exec_lo, s5
	;; [unrolled: 5-line block ×3, first 2 shown]
	s_cbranch_vccz .LBB55_524
; %bb.518:
	v_cmp_eq_u16_e64 s9, s3, 46
	s_mov_b32 s5, -1
	s_mov_b32 s10, 0
	s_delay_alu instid0(VALU_DEP_1)
	s_and_b32 vcc_lo, exec_lo, s9
	s_mov_b32 s9, 0
	s_cbranch_vccz .LBB55_525
; %bb.519:
	s_bfe_u32 s5, s2, 0x10010
	v_cmp_o_f32_e64 s9, s2, s2
	s_add_i32 s5, s2, s5
	s_delay_alu instid0(SALU_CYCLE_1) | instskip(NEXT) | instid1(SALU_CYCLE_1)
	s_addk_i32 s5, 0x7fff
	s_lshr_b32 s5, s5, 16
	s_delay_alu instid0(VALU_DEP_1)
	s_and_b32 s9, s9, exec_lo
	s_cselect_b32 s5, s5, 0x7fc0
	s_mov_b32 s9, -1
	v_mov_b32_e32 v4, s5
	s_mov_b32 s5, 0
	global_store_b32 v[2:3], v4, off
	s_branch .LBB55_525
.LBB55_520:
	s_mov_b32 s5, 0
	s_branch .LBB55_535
.LBB55_521:
	s_mov_b32 s5, 0
	s_branch .LBB55_531
.LBB55_522:
	s_cbranch_execnz .LBB55_546
; %bb.523:
	s_or_b32 s4, s6, exec_lo
	s_cbranch_execz .LBB55_471
	s_branch .LBB55_472
.LBB55_524:
	s_mov_b32 s5, 0
.LBB55_525:
	s_and_b32 vcc_lo, exec_lo, s10
	s_cbranch_vccz .LBB55_530
; %bb.526:
	v_cmp_eq_u16_e64 s5, s3, 44
	s_delay_alu instid0(VALU_DEP_1)
	s_and_b32 vcc_lo, exec_lo, s5
	s_mov_b32 s5, -1
	s_cbranch_vccz .LBB55_530
; %bb.527:
	v_mov_b32_e32 v4, 0xff
	s_bfe_u32 s5, s2, 0x80017
	s_delay_alu instid0(SALU_CYCLE_1)
	s_cmpk_eq_i32 s5, 0xff
	s_cbranch_scc1 .LBB55_529
; %bb.528:
	s_lshr_b32 s9, s2, 23
	s_bitcmp1_b32 s2, 22
	s_cselect_b32 s10, -1, 0
	s_and_b32 s11, s2, 0x3fffff
	s_delay_alu instid0(SALU_CYCLE_1) | instskip(NEXT) | instid1(SALU_CYCLE_1)
	s_or_b32 s5, s5, s11
	s_cmp_lg_u32 s5, 0
	s_cselect_b32 s5, -1, 0
	s_delay_alu instid0(SALU_CYCLE_1) | instskip(NEXT) | instid1(SALU_CYCLE_1)
	s_and_b32 s5, s10, s5
	v_cndmask_b32_e64 v4, 0, 1, s5
	s_delay_alu instid0(VALU_DEP_1)
	v_add_nc_u32_e32 v4, s9, v4
.LBB55_529:
	s_mov_b32 s5, 0
	s_mov_b32 s9, -1
	global_store_b8 v[2:3], v4, off
.LBB55_530:
	s_mov_b32 s10, 0
.LBB55_531:
	s_delay_alu instid0(SALU_CYCLE_1)
	s_and_b32 vcc_lo, exec_lo, s10
	s_cbranch_vccz .LBB55_534
; %bb.532:
	v_cmp_eq_u16_e64 s5, s3, 29
	s_delay_alu instid0(VALU_DEP_1)
	s_and_b32 vcc_lo, exec_lo, s5
	s_mov_b32 s5, -1
	s_cbranch_vccz .LBB55_534
; %bb.533:
	v_trunc_f32_e32 v4, s2
	s_mov_b32 s5, 0
	s_mov_b32 s9, -1
	s_mov_b32 s10, 0
	s_delay_alu instid0(VALU_DEP_1) | instskip(NEXT) | instid1(VALU_DEP_1)
	v_mul_f32_e32 v5, 0x2f800000, v4
	v_floor_f32_e32 v5, v5
	s_delay_alu instid0(VALU_DEP_1) | instskip(SKIP_1) | instid1(VALU_DEP_2)
	v_fmamk_f32 v4, v5, 0xcf800000, v4
	v_cvt_u32_f32_e32 v5, v5
	v_cvt_u32_f32_e32 v4, v4
	global_store_b64 v[2:3], v[4:5], off
	s_branch .LBB55_535
.LBB55_534:
	s_mov_b32 s10, 0
.LBB55_535:
	s_delay_alu instid0(SALU_CYCLE_1)
	s_and_b32 vcc_lo, exec_lo, s10
	s_cbranch_vccz .LBB55_555
; %bb.536:
	v_cmp_lt_i16_e64 s9, s3, 27
	s_delay_alu instid0(VALU_DEP_1)
	s_and_b32 vcc_lo, exec_lo, s9
	s_mov_b32 s9, -1
	s_cbranch_vccnz .LBB55_542
; %bb.537:
	v_cmp_gt_i16_e64 s9, s3, 27
	s_delay_alu instid0(VALU_DEP_1)
	s_and_b32 vcc_lo, exec_lo, s9
	s_mov_b32 s9, -1
	s_cbranch_vccz .LBB55_539
; %bb.538:
	v_cvt_u32_f32_e32 v4, s2
	s_mov_b32 s9, 0
	global_store_b32 v[2:3], v4, off
.LBB55_539:
	s_and_not1_b32 vcc_lo, exec_lo, s9
	s_cbranch_vccnz .LBB55_541
; %bb.540:
	v_cvt_u32_f32_e32 v4, s2
	global_store_b16 v[2:3], v4, off
.LBB55_541:
	s_mov_b32 s9, 0
.LBB55_542:
	s_delay_alu instid0(SALU_CYCLE_1)
	s_and_not1_b32 vcc_lo, exec_lo, s9
	s_cbranch_vccnz .LBB55_554
; %bb.543:
	v_mov_b32_e32 v5, 0x80
	s_and_b32 s9, s2, 0x7fffffff
	s_delay_alu instid0(SALU_CYCLE_1)
	s_cmp_gt_u32 s9, 0x437fffff
	s_cbranch_scc1 .LBB55_553
; %bb.544:
	s_cmp_gt_u32 s9, 0x3bffffff
	s_cbranch_scc0 .LBB55_548
; %bb.545:
	s_bfe_u32 s9, s2, 0x10014
	s_mov_b32 s10, 0
	s_add_i32 s9, s2, s9
	s_delay_alu instid0(SALU_CYCLE_1) | instskip(NEXT) | instid1(SALU_CYCLE_1)
	s_add_i32 s9, s9, 0x487ffff
	s_lshr_b32 s11, s9, 20
	s_mov_b32 s9, -1
	s_branch .LBB55_549
.LBB55_546:
	s_trap 2
	s_sendmsg_rtn_b32 s0, sendmsg(MSG_RTN_GET_DOORBELL)
	s_mov_b32 ttmp2, m0
	s_waitcnt lgkmcnt(0)
	s_and_b32 s0, s0, 0x3ff
	s_delay_alu instid0(SALU_CYCLE_1) | instskip(NEXT) | instid1(SALU_CYCLE_1)
	s_bitset1_b32 s0, 10
	s_mov_b32 m0, s0
	s_sendmsg sendmsg(MSG_INTERRUPT)
	s_mov_b32 m0, ttmp2
.LBB55_547:                             ; =>This Inner Loop Header: Depth=1
	s_sethalt 5
	s_branch .LBB55_547
.LBB55_548:
	s_mov_b32 s10, -1
	s_mov_b32 s9, 0
                                        ; implicit-def: $sgpr11
.LBB55_549:
	v_mov_b32_e32 v4, s11
	s_and_not1_b32 vcc_lo, exec_lo, s10
                                        ; implicit-def: $sgpr10
	s_cbranch_vccnz .LBB55_551
; %bb.550:
	v_add_f32_e64 v4, 0x46000000, |s2|
	s_mov_b32 s10, 0
	s_delay_alu instid0(VALU_DEP_1) | instskip(NEXT) | instid1(VALU_DEP_1)
	v_and_b32_e32 v4, 0xff, v4
	v_cmp_ne_u32_e64 s9, 0, v4
.LBB55_551:
	v_mov_b32_e32 v5, s10
	s_delay_alu instid0(VALU_DEP_2)
	s_and_not1_b32 vcc_lo, exec_lo, s9
	s_cbranch_vccnz .LBB55_553
; %bb.552:
	s_lshr_b32 s9, s2, 24
	s_delay_alu instid0(SALU_CYCLE_1) | instskip(NEXT) | instid1(SALU_CYCLE_1)
	s_and_b32 s9, s9, 0x80
	v_or_b32_e32 v5, s9, v4
.LBB55_553:
	global_store_b8 v[2:3], v5, off
.LBB55_554:
	s_mov_b32 s9, -1
.LBB55_555:
	s_mov_b32 s10, 0
.LBB55_556:
	s_delay_alu instid0(SALU_CYCLE_1)
	s_and_b32 vcc_lo, exec_lo, s10
	s_cbranch_vccz .LBB55_725
; %bb.557:
	v_cmp_gt_i16_e64 s8, s3, 22
	s_delay_alu instid0(VALU_DEP_1)
	s_and_b32 vcc_lo, exec_lo, s8
	s_mov_b32 s8, -1
	s_cbranch_vccz .LBB55_718
; %bb.558:
	v_cmp_lt_i16_e64 s8, s3, 24
	s_delay_alu instid0(VALU_DEP_1)
	s_and_b32 vcc_lo, exec_lo, s8
	s_mov_b32 s8, -1
	s_cbranch_vccnz .LBB55_705
; %bb.559:
	v_cmp_gt_i16_e64 s8, s3, 24
	s_delay_alu instid0(VALU_DEP_1)
	s_and_b32 vcc_lo, exec_lo, s8
	s_mov_b32 s8, -1
	s_cbranch_vccz .LBB55_692
; %bb.560:
	v_mov_b32_e32 v5, 0x80
	s_and_b32 s8, s2, 0x7fffffff
	s_delay_alu instid0(SALU_CYCLE_1)
	s_cmp_gt_u32 s8, 0x477fffff
	s_cbranch_scc1 .LBB55_691
; %bb.561:
	s_cmp_gt_u32 s8, 0x37ffffff
	s_cbranch_scc0 .LBB55_686
; %bb.562:
	s_bfe_u32 s8, s2, 0x10015
	s_mov_b32 s9, 0
	s_add_i32 s8, s2, s8
	s_delay_alu instid0(SALU_CYCLE_1) | instskip(NEXT) | instid1(SALU_CYCLE_1)
	s_add_i32 s8, s8, 0x88fffff
	s_lshr_b32 s10, s8, 21
	s_mov_b32 s8, -1
	s_branch .LBB55_687
.LBB55_563:
	s_mov_b32 s16, s55
.LBB55_564:
	s_and_b32 vcc_lo, exec_lo, s18
	s_cbranch_vccz .LBB55_567
; %bb.565:
	v_cmp_eq_u16_e32 vcc_lo, 44, v17
	s_mov_b32 s16, -1
	s_cbranch_vccz .LBB55_567
; %bb.566:
	v_cndmask_b32_e64 v2, v16, 0xff, s48
	s_mov_b32 s17, -1
	s_mov_b32 s16, 0
	global_store_b8 v[8:9], v2, off
.LBB55_567:
	s_mov_b32 s18, 0
.LBB55_568:
	s_delay_alu instid0(SALU_CYCLE_1)
	s_and_b32 vcc_lo, exec_lo, s18
	s_cbranch_vccz .LBB55_571
; %bb.569:
	v_cmp_eq_u16_e32 vcc_lo, 29, v17
	s_mov_b32 s16, -1
	s_cbranch_vccz .LBB55_571
; %bb.570:
	s_mov_b32 s17, -1
	s_mov_b32 s16, 0
	global_store_b64 v[8:9], v[6:7], off
.LBB55_571:
	s_mov_b32 s18, 0
.LBB55_572:
	s_delay_alu instid0(SALU_CYCLE_1)
	s_and_b32 vcc_lo, exec_lo, s18
	s_cbranch_vccz .LBB55_585
; %bb.573:
	v_cmp_gt_i16_e32 vcc_lo, 27, v17
	s_mov_b32 s17, -1
	s_cbranch_vccnz .LBB55_579
; %bb.574:
	v_cmp_lt_i16_e32 vcc_lo, 27, v17
	s_cbranch_vccz .LBB55_576
; %bb.575:
	s_mov_b32 s17, 0
	global_store_b32 v[8:9], v15, off
.LBB55_576:
	s_and_not1_b32 vcc_lo, exec_lo, s17
	s_cbranch_vccnz .LBB55_578
; %bb.577:
	global_store_b16 v[8:9], v15, off
.LBB55_578:
	s_mov_b32 s17, 0
.LBB55_579:
	s_delay_alu instid0(SALU_CYCLE_1)
	s_and_not1_b32 vcc_lo, exec_lo, s17
	s_cbranch_vccnz .LBB55_584
; %bb.580:
	s_and_not1_b32 vcc_lo, exec_lo, s44
	s_movk_i32 s17, 0x80
	s_cbranch_vccnz .LBB55_583
; %bb.581:
	s_or_b32 s17, s39, s47
	s_delay_alu instid0(SALU_CYCLE_1)
	s_and_not1_b32 vcc_lo, exec_lo, s17
	s_mov_b32 s17, 0
	s_cbranch_vccnz .LBB55_583
; %bb.582:
	s_and_b32 s17, s39, exec_lo
	s_cselect_b32 s17, s46, s38
	s_delay_alu instid0(SALU_CYCLE_1)
	s_or_b32 s17, s17, s25
.LBB55_583:
	s_delay_alu instid0(SALU_CYCLE_1)
	v_mov_b32_e32 v2, s17
	global_store_b8 v[8:9], v2, off
.LBB55_584:
	s_mov_b32 s17, -1
.LBB55_585:
	s_mov_b32 s18, 0
.LBB55_586:
	s_delay_alu instid0(SALU_CYCLE_1)
	s_and_b32 vcc_lo, exec_lo, s18
	s_cbranch_vccz .LBB55_608
; %bb.587:
	v_cmp_lt_i16_e32 vcc_lo, 22, v17
	s_mov_b32 s18, -1
	s_cbranch_vccz .LBB55_600
; %bb.588:
	v_cmp_gt_i16_e32 vcc_lo, 24, v17
	s_mov_b32 s17, -1
	s_cbranch_vccnz .LBB55_597
; %bb.589:
	v_cmp_lt_i16_e32 vcc_lo, 24, v17
	s_cbranch_vccz .LBB55_594
; %bb.590:
	s_and_not1_b32 vcc_lo, exec_lo, s40
	s_movk_i32 s17, 0x80
	s_cbranch_vccnz .LBB55_593
; %bb.591:
	s_or_b32 s17, s34, s45
	s_delay_alu instid0(SALU_CYCLE_1)
	s_and_not1_b32 vcc_lo, exec_lo, s17
	s_mov_b32 s17, 0
	s_cbranch_vccnz .LBB55_593
; %bb.592:
	s_and_b32 s17, s34, exec_lo
	s_cselect_b32 s17, s41, s30
	s_delay_alu instid0(SALU_CYCLE_1)
	s_or_b32 s17, s17, s25
.LBB55_593:
	s_delay_alu instid0(SALU_CYCLE_1)
	v_mov_b32_e32 v2, s17
	s_mov_b32 s17, 0
	global_store_b8 v[8:9], v2, off
.LBB55_594:
	s_and_b32 vcc_lo, exec_lo, s17
	s_cbranch_vccz .LBB55_596
; %bb.595:
	s_and_b32 s17, s35, exec_lo
	s_cselect_b32 s17, s43, s37
	s_and_b32 s18, s33, exec_lo
	s_cselect_b32 s17, s42, s17
	s_delay_alu instid0(SALU_CYCLE_1) | instskip(NEXT) | instid1(SALU_CYCLE_1)
	s_or_b32 s17, s17, s25
	v_mov_b32_e32 v2, s17
	global_store_b8 v[8:9], v2, off
.LBB55_596:
	s_mov_b32 s17, 0
.LBB55_597:
	s_delay_alu instid0(SALU_CYCLE_1)
	s_and_not1_b32 vcc_lo, exec_lo, s17
	s_cbranch_vccnz .LBB55_599
; %bb.598:
	s_and_b32 s17, s28, exec_lo
	s_cselect_b32 s17, s36, s29
	s_and_b32 s18, s26, exec_lo
	s_cselect_b32 s17, s31, s17
	s_delay_alu instid0(SALU_CYCLE_1) | instskip(NEXT) | instid1(SALU_CYCLE_1)
	s_or_b32 s17, s17, s25
	v_mov_b32_e32 v2, s17
	global_store_b8 v[8:9], v2, off
.LBB55_599:
	s_mov_b32 s18, 0
	s_mov_b32 s17, -1
.LBB55_600:
	s_and_not1_b32 vcc_lo, exec_lo, s18
	s_cbranch_vccnz .LBB55_608
; %bb.601:
	v_cmp_lt_i16_e32 vcc_lo, 14, v17
	s_mov_b32 s18, -1
	s_cbranch_vccz .LBB55_605
; %bb.602:
	v_cmp_eq_u16_e32 vcc_lo, 15, v17
	s_mov_b32 s16, -1
	s_cbranch_vccz .LBB55_604
; %bb.603:
	v_mov_b32_e32 v2, s27
	s_mov_b32 s17, -1
	s_mov_b32 s16, 0
	global_store_b16 v[8:9], v2, off
.LBB55_604:
	s_mov_b32 s18, 0
.LBB55_605:
	s_delay_alu instid0(SALU_CYCLE_1)
	s_and_b32 vcc_lo, exec_lo, s18
	s_cbranch_vccz .LBB55_608
; %bb.606:
	v_cmp_eq_u16_e32 vcc_lo, 11, v17
	s_mov_b32 s16, -1
	s_cbranch_vccz .LBB55_608
; %bb.607:
	s_mov_b32 s17, -1
	s_mov_b32 s16, 0
	global_store_b8 v[8:9], v14, off
.LBB55_608:
.LBB55_609:
	s_and_not1_b32 vcc_lo, exec_lo, s17
	s_cbranch_vccnz .LBB55_426
.LBB55_610:
	v_add_nc_u32_e32 v11, 0x80, v11
	s_mov_b32 s17, -1
.LBB55_611:
	s_and_not1_b32 s18, s55, exec_lo
	s_and_b32 s16, s16, exec_lo
	s_or_not1_b32 s58, s17, exec_lo
	s_or_b32 s18, s18, s16
.LBB55_612:
	s_or_b32 exec_lo, exec_lo, s57
	s_mov_b32 s16, 0
	s_mov_b32 s17, 0
                                        ; implicit-def: $vgpr17
                                        ; implicit-def: $vgpr8_vgpr9
	s_and_saveexec_b32 s19, s58
	s_cbranch_execz .LBB55_680
; %bb.613:
	v_cmp_gt_i32_e32 vcc_lo, s50, v11
	s_mov_b32 s57, s18
                                        ; implicit-def: $vgpr17
                                        ; implicit-def: $vgpr8_vgpr9
	s_and_saveexec_b32 s50, vcc_lo
	s_cbranch_execz .LBB55_679
; %bb.614:
	s_and_not1_b32 vcc_lo, exec_lo, s23
	s_cbranch_vccnz .LBB55_619
; %bb.615:
	v_mov_b32_e32 v2, 0
	s_and_not1_b32 vcc_lo, exec_lo, s52
	s_cbranch_vccnz .LBB55_624
; %bb.616:
	s_add_i32 s52, s51, 1
	s_cmp_eq_u32 s21, 2
	s_mov_b32 s51, 0
	s_cbranch_scc1 .LBB55_620
; %bb.617:
	v_dual_mov_b32 v2, 0 :: v_dual_mov_b32 v3, v11
	s_and_b32 s51, s52, 28
	s_mov_b32 s57, 0
	s_mov_b64 s[16:17], s[0:1]
.LBB55_618:                             ; =>This Inner Loop Header: Depth=1
	s_clause 0x1
	s_load_b256 s[60:67], s[16:17], 0x4
	s_load_b128 s[68:71], s[16:17], 0x24
	s_load_b128 s[72:75], s[14:15], 0x0
	s_add_u32 s16, s16, 48
	s_addc_u32 s17, s17, 0
	s_add_i32 s57, s57, 4
	s_add_u32 s14, s14, 16
	s_addc_u32 s15, s15, 0
	s_cmp_eq_u32 s51, s57
	s_waitcnt lgkmcnt(0)
	v_mul_hi_u32 v8, s61, v3
	s_delay_alu instid0(VALU_DEP_1) | instskip(NEXT) | instid1(VALU_DEP_1)
	v_add_nc_u32_e32 v8, v3, v8
	v_lshrrev_b32_e32 v8, s62, v8
	s_delay_alu instid0(VALU_DEP_1) | instskip(SKIP_1) | instid1(VALU_DEP_2)
	v_mul_hi_u32 v9, s64, v8
	v_mul_lo_u32 v19, v8, s60
	v_add_nc_u32_e32 v9, v8, v9
	s_delay_alu instid0(VALU_DEP_2) | instskip(NEXT) | instid1(VALU_DEP_2)
	v_sub_nc_u32_e32 v19, v3, v19
	v_lshrrev_b32_e32 v9, s65, v9
	s_delay_alu instid0(VALU_DEP_2) | instskip(NEXT) | instid1(VALU_DEP_2)
	v_mul_lo_u32 v19, v19, s72
	v_mul_hi_u32 v17, s67, v9
	v_mul_lo_u32 v20, v9, s63
	s_delay_alu instid0(VALU_DEP_2) | instskip(NEXT) | instid1(VALU_DEP_2)
	v_add_nc_u32_e32 v17, v9, v17
	v_sub_nc_u32_e32 v8, v8, v20
	s_delay_alu instid0(VALU_DEP_2) | instskip(NEXT) | instid1(VALU_DEP_2)
	v_lshrrev_b32_e32 v17, s68, v17
	v_mul_lo_u32 v8, v8, s73
	s_delay_alu instid0(VALU_DEP_2) | instskip(NEXT) | instid1(VALU_DEP_2)
	v_mul_hi_u32 v18, s70, v17
	v_add3_u32 v2, v19, v2, v8
	s_delay_alu instid0(VALU_DEP_2) | instskip(NEXT) | instid1(VALU_DEP_1)
	v_add_nc_u32_e32 v18, v17, v18
	v_lshrrev_b32_e32 v3, s71, v18
	v_mul_lo_u32 v18, v17, s66
	s_delay_alu instid0(VALU_DEP_2) | instskip(NEXT) | instid1(VALU_DEP_2)
	v_mul_lo_u32 v21, v3, s69
	v_sub_nc_u32_e32 v9, v9, v18
	s_delay_alu instid0(VALU_DEP_2) | instskip(NEXT) | instid1(VALU_DEP_2)
	v_sub_nc_u32_e32 v17, v17, v21
	v_mul_lo_u32 v9, v9, s74
	s_delay_alu instid0(VALU_DEP_2) | instskip(NEXT) | instid1(VALU_DEP_1)
	v_mul_lo_u32 v17, v17, s75
	v_add3_u32 v2, v9, v2, v17
	s_cbranch_scc0 .LBB55_618
	s_branch .LBB55_621
.LBB55_619:
	s_mov_b32 s14, -1
                                        ; implicit-def: $vgpr2
	s_branch .LBB55_625
.LBB55_620:
	v_mov_b32_e32 v3, v11
.LBB55_621:
	s_and_b32 s52, s52, 3
	s_delay_alu instid0(SALU_CYCLE_1)
	s_cmp_eq_u32 s52, 0
	s_cbranch_scc1 .LBB55_624
; %bb.622:
	s_lshl_b32 s14, s51, 2
	s_mul_i32 s16, s51, 12
	s_add_u32 s14, s14, s0
	s_addc_u32 s15, s1, 0
	s_add_u32 s14, s14, 0xc4
	s_addc_u32 s15, s15, 0
	;; [unrolled: 2-line block ×3, first 2 shown]
.LBB55_623:                             ; =>This Inner Loop Header: Depth=1
	s_clause 0x1
	s_load_b64 s[58:59], s[16:17], 0x4
	s_load_b32 s51, s[16:17], 0xc
	s_load_b32 s57, s[14:15], 0x0
	s_add_u32 s16, s16, 12
	s_addc_u32 s17, s17, 0
	s_add_u32 s14, s14, 4
	s_addc_u32 s15, s15, 0
	s_add_i32 s52, s52, -1
	s_delay_alu instid0(SALU_CYCLE_1) | instskip(SKIP_2) | instid1(VALU_DEP_1)
	s_cmp_lg_u32 s52, 0
	s_waitcnt lgkmcnt(0)
	v_mul_hi_u32 v8, s59, v3
	v_add_nc_u32_e32 v8, v3, v8
	s_delay_alu instid0(VALU_DEP_1) | instskip(NEXT) | instid1(VALU_DEP_1)
	v_lshrrev_b32_e32 v17, s51, v8
	v_mul_lo_u32 v8, v17, s58
	s_delay_alu instid0(VALU_DEP_1) | instskip(NEXT) | instid1(VALU_DEP_1)
	v_sub_nc_u32_e32 v3, v3, v8
	v_mad_u64_u32 v[8:9], null, v3, s57, v[2:3]
	s_delay_alu instid0(VALU_DEP_1)
	v_dual_mov_b32 v3, v17 :: v_dual_mov_b32 v2, v8
	s_cbranch_scc1 .LBB55_623
.LBB55_624:
	s_mov_b32 s14, 0
.LBB55_625:
	s_delay_alu instid0(SALU_CYCLE_1)
	s_and_not1_b32 vcc_lo, exec_lo, s14
	s_cbranch_vccnz .LBB55_628
; %bb.626:
	s_waitcnt lgkmcnt(0)
	v_mul_hi_u32 v2, s9, v11
	s_and_not1_b32 vcc_lo, exec_lo, s49
	s_delay_alu instid0(VALU_DEP_1) | instskip(NEXT) | instid1(VALU_DEP_1)
	v_add_nc_u32_e32 v2, v11, v2
	v_lshrrev_b32_e32 v3, s10, v2
	s_delay_alu instid0(VALU_DEP_1) | instskip(NEXT) | instid1(VALU_DEP_1)
	v_mul_lo_u32 v2, v3, s8
	v_sub_nc_u32_e32 v2, v11, v2
	s_delay_alu instid0(VALU_DEP_1)
	v_mul_lo_u32 v2, v2, s2
	s_cbranch_vccnz .LBB55_628
; %bb.627:
	v_mul_hi_u32 v8, s12, v3
	s_delay_alu instid0(VALU_DEP_1) | instskip(NEXT) | instid1(VALU_DEP_1)
	v_add_nc_u32_e32 v8, v3, v8
	v_lshrrev_b32_e32 v8, s13, v8
	s_delay_alu instid0(VALU_DEP_1) | instskip(NEXT) | instid1(VALU_DEP_1)
	v_mul_lo_u32 v8, v8, s11
	v_sub_nc_u32_e32 v3, v3, v8
	s_delay_alu instid0(VALU_DEP_1) | instskip(NEXT) | instid1(VALU_DEP_1)
	v_mad_u64_u32 v[8:9], null, v3, s3, v[2:3]
	v_mov_b32_e32 v2, v8
.LBB55_628:
	v_and_b32_e64 v17, 0xff, s7
	s_delay_alu instid0(VALU_DEP_2) | instskip(NEXT) | instid1(VALU_DEP_1)
	v_add_co_u32 v8, s2, s4, v2
	v_add_co_ci_u32_e64 v9, null, s5, 0, s2
	s_delay_alu instid0(VALU_DEP_3)
	v_cmp_gt_i16_e32 vcc_lo, 11, v17
	s_mov_b32 s7, 0
	s_mov_b32 s3, -1
	s_mov_b32 s2, s18
	s_cbranch_vccnz .LBB55_678
; %bb.629:
	v_cmp_lt_i16_e32 vcc_lo, 25, v17
	s_mov_b32 s2, s18
	s_cbranch_vccz .LBB55_657
; %bb.630:
	v_cmp_lt_i16_e32 vcc_lo, 28, v17
	s_mov_b32 s2, s18
	s_cbranch_vccz .LBB55_644
	;; [unrolled: 4-line block ×4, first 2 shown]
; %bb.633:
	v_cmp_eq_u16_e32 vcc_lo, 46, v17
	s_mov_b32 s2, -1
	s_cbranch_vccz .LBB55_635
; %bb.634:
	v_mov_b32_e32 v2, s27
	s_mov_b32 s2, 0
	global_store_b32 v[8:9], v2, off
.LBB55_635:
	s_mov_b32 s3, 0
.LBB55_636:
	s_delay_alu instid0(SALU_CYCLE_1)
	s_and_b32 vcc_lo, exec_lo, s3
	s_cbranch_vccz .LBB55_639
; %bb.637:
	v_cmp_eq_u16_e32 vcc_lo, 44, v17
	s_mov_b32 s2, -1
	s_cbranch_vccz .LBB55_639
; %bb.638:
	v_cndmask_b32_e64 v2, v16, 0xff, s48
	s_mov_b32 s2, 0
	global_store_b8 v[8:9], v2, off
.LBB55_639:
	s_mov_b32 s3, 0
.LBB55_640:
	s_delay_alu instid0(SALU_CYCLE_1)
	s_and_b32 vcc_lo, exec_lo, s3
	s_cbranch_vccz .LBB55_643
; %bb.641:
	v_cmp_eq_u16_e32 vcc_lo, 29, v17
	s_mov_b32 s2, -1
	s_cbranch_vccz .LBB55_643
; %bb.642:
	s_mov_b32 s2, 0
	global_store_b64 v[8:9], v[6:7], off
.LBB55_643:
	s_mov_b32 s3, 0
.LBB55_644:
	s_delay_alu instid0(SALU_CYCLE_1)
	s_and_b32 vcc_lo, exec_lo, s3
	s_cbranch_vccz .LBB55_656
; %bb.645:
	v_cmp_gt_i16_e32 vcc_lo, 27, v17
	s_mov_b32 s3, -1
	s_cbranch_vccnz .LBB55_651
; %bb.646:
	v_cmp_lt_i16_e32 vcc_lo, 27, v17
	s_cbranch_vccz .LBB55_648
; %bb.647:
	s_mov_b32 s3, 0
	global_store_b32 v[8:9], v15, off
.LBB55_648:
	s_and_not1_b32 vcc_lo, exec_lo, s3
	s_cbranch_vccnz .LBB55_650
; %bb.649:
	global_store_b16 v[8:9], v15, off
.LBB55_650:
	s_mov_b32 s3, 0
.LBB55_651:
	s_delay_alu instid0(SALU_CYCLE_1)
	s_and_not1_b32 vcc_lo, exec_lo, s3
	s_cbranch_vccnz .LBB55_656
; %bb.652:
	s_and_not1_b32 vcc_lo, exec_lo, s44
	s_movk_i32 s3, 0x80
	s_cbranch_vccnz .LBB55_655
; %bb.653:
	s_or_b32 s3, s39, s47
	s_delay_alu instid0(SALU_CYCLE_1)
	s_and_not1_b32 vcc_lo, exec_lo, s3
	s_mov_b32 s3, 0
	s_cbranch_vccnz .LBB55_655
; %bb.654:
	s_and_b32 s3, s39, exec_lo
	s_cselect_b32 s3, s46, s38
	s_delay_alu instid0(SALU_CYCLE_1)
	s_or_b32 s3, s3, s25
.LBB55_655:
	s_delay_alu instid0(SALU_CYCLE_1)
	v_mov_b32_e32 v2, s3
	global_store_b8 v[8:9], v2, off
.LBB55_656:
	s_mov_b32 s3, 0
.LBB55_657:
	s_delay_alu instid0(SALU_CYCLE_1)
	s_and_b32 vcc_lo, exec_lo, s3
	s_mov_b32 s3, 0
	s_cbranch_vccz .LBB55_678
; %bb.658:
	v_cmp_lt_i16_e32 vcc_lo, 22, v17
	s_mov_b32 s4, -1
	s_cbranch_vccz .LBB55_671
; %bb.659:
	v_cmp_gt_i16_e32 vcc_lo, 24, v17
	s_cbranch_vccnz .LBB55_668
; %bb.660:
	v_cmp_lt_i16_e32 vcc_lo, 24, v17
	s_cbranch_vccz .LBB55_665
; %bb.661:
	s_and_not1_b32 vcc_lo, exec_lo, s40
	s_movk_i32 s4, 0x80
	s_cbranch_vccnz .LBB55_664
; %bb.662:
	s_or_b32 s4, s34, s45
	s_delay_alu instid0(SALU_CYCLE_1)
	s_and_not1_b32 vcc_lo, exec_lo, s4
	s_mov_b32 s4, 0
	s_cbranch_vccnz .LBB55_664
; %bb.663:
	s_and_b32 s4, s34, exec_lo
	s_cselect_b32 s4, s41, s30
	s_delay_alu instid0(SALU_CYCLE_1)
	s_or_b32 s4, s4, s25
.LBB55_664:
	s_delay_alu instid0(SALU_CYCLE_1)
	v_mov_b32_e32 v2, s4
	s_mov_b32 s4, 0
	global_store_b8 v[8:9], v2, off
.LBB55_665:
	s_and_b32 vcc_lo, exec_lo, s4
	s_cbranch_vccz .LBB55_667
; %bb.666:
	s_and_b32 s4, s35, exec_lo
	s_cselect_b32 s4, s43, s37
	s_and_b32 s5, s33, exec_lo
	s_cselect_b32 s4, s42, s4
	s_delay_alu instid0(SALU_CYCLE_1) | instskip(NEXT) | instid1(SALU_CYCLE_1)
	s_or_b32 s4, s4, s25
	v_mov_b32_e32 v2, s4
	global_store_b8 v[8:9], v2, off
.LBB55_667:
	s_mov_b32 s4, 0
.LBB55_668:
	s_delay_alu instid0(SALU_CYCLE_1)
	s_and_not1_b32 vcc_lo, exec_lo, s4
	s_cbranch_vccnz .LBB55_670
; %bb.669:
	s_and_b32 s4, s28, exec_lo
	s_cselect_b32 s4, s36, s29
	s_and_b32 s5, s26, exec_lo
	s_cselect_b32 s4, s31, s4
	s_delay_alu instid0(SALU_CYCLE_1) | instskip(NEXT) | instid1(SALU_CYCLE_1)
	s_or_b32 s4, s4, s25
	v_mov_b32_e32 v2, s4
	global_store_b8 v[8:9], v2, off
.LBB55_670:
	s_mov_b32 s4, 0
.LBB55_671:
	s_delay_alu instid0(SALU_CYCLE_1)
	s_and_not1_b32 vcc_lo, exec_lo, s4
	s_cbranch_vccnz .LBB55_678
; %bb.672:
	v_cmp_lt_i16_e32 vcc_lo, 14, v17
	s_mov_b32 s4, -1
	s_cbranch_vccz .LBB55_676
; %bb.673:
	v_cmp_eq_u16_e32 vcc_lo, 15, v17
	s_mov_b32 s2, -1
	s_cbranch_vccz .LBB55_675
; %bb.674:
	v_mov_b32_e32 v2, s27
	s_mov_b32 s2, 0
	global_store_b16 v[8:9], v2, off
.LBB55_675:
	s_mov_b32 s4, 0
.LBB55_676:
	s_delay_alu instid0(SALU_CYCLE_1)
	s_and_b32 vcc_lo, exec_lo, s4
	s_cbranch_vccz .LBB55_678
; %bb.677:
	v_cmp_ne_u16_e32 vcc_lo, 11, v17
	s_and_not1_b32 s2, s2, exec_lo
	s_mov_b32 s7, -1
	s_and_b32 s4, vcc_lo, exec_lo
	s_delay_alu instid0(SALU_CYCLE_1)
	s_or_b32 s2, s2, s4
.LBB55_678:
	s_and_b32 s17, s3, exec_lo
	s_and_not1_b32 s3, s18, exec_lo
	s_and_b32 s2, s2, exec_lo
	s_and_b32 s16, s7, exec_lo
	s_or_b32 s57, s3, s2
.LBB55_679:
	s_or_b32 exec_lo, exec_lo, s50
	s_delay_alu instid0(SALU_CYCLE_1)
	s_and_not1_b32 s2, s18, exec_lo
	s_and_b32 s3, s57, exec_lo
	s_and_b32 s17, s17, exec_lo
	;; [unrolled: 1-line block ×3, first 2 shown]
	s_or_b32 s18, s2, s3
.LBB55_680:
	s_or_b32 exec_lo, exec_lo, s19
	s_delay_alu instid0(SALU_CYCLE_1)
	s_and_not1_b32 s2, s55, exec_lo
	s_and_b32 s3, s18, exec_lo
	s_and_b32 s17, s17, exec_lo
	;; [unrolled: 1-line block ×3, first 2 shown]
	s_or_b32 s55, s2, s3
.LBB55_681:
	s_or_b32 exec_lo, exec_lo, s56
	s_delay_alu instid0(SALU_CYCLE_1)
	s_and_not1_b32 s2, s53, exec_lo
	s_and_b32 s3, s55, exec_lo
	s_and_b32 s17, s17, exec_lo
	;; [unrolled: 1-line block ×3, first 2 shown]
	s_or_b32 s53, s2, s3
	s_or_b32 exec_lo, exec_lo, s54
	s_mov_b32 s2, 0
	s_and_saveexec_b32 s3, s53
	s_cbranch_execz .LBB55_118
.LBB55_682:
	s_cbranch_execnz .LBB55_684
; %bb.683:
	s_mov_b32 s2, exec_lo
	s_and_not1_b32 s55, s55, exec_lo
	s_or_b32 exec_lo, exec_lo, s3
	s_and_saveexec_b32 s3, s55
	s_delay_alu instid0(SALU_CYCLE_1)
	s_xor_b32 s3, exec_lo, s3
	s_cbranch_execnz .LBB55_119
	s_branch .LBB55_120
.LBB55_684:
	s_trap 2
	s_sendmsg_rtn_b32 s0, sendmsg(MSG_RTN_GET_DOORBELL)
	s_mov_b32 ttmp2, m0
	s_waitcnt lgkmcnt(0)
	s_and_b32 s0, s0, 0x3ff
	s_delay_alu instid0(SALU_CYCLE_1) | instskip(NEXT) | instid1(SALU_CYCLE_1)
	s_bitset1_b32 s0, 10
	s_mov_b32 m0, s0
	s_sendmsg sendmsg(MSG_INTERRUPT)
	s_mov_b32 m0, ttmp2
.LBB55_685:                             ; =>This Inner Loop Header: Depth=1
	s_sethalt 5
	s_branch .LBB55_685
.LBB55_686:
	s_mov_b32 s9, -1
	s_mov_b32 s8, 0
                                        ; implicit-def: $sgpr10
.LBB55_687:
	v_mov_b32_e32 v4, s10
	s_and_not1_b32 vcc_lo, exec_lo, s9
                                        ; implicit-def: $sgpr9
	s_cbranch_vccnz .LBB55_689
; %bb.688:
	v_add_f32_e64 v4, 0x42800000, |s2|
	s_mov_b32 s9, 0
	s_delay_alu instid0(VALU_DEP_1) | instskip(NEXT) | instid1(VALU_DEP_1)
	v_and_b32_e32 v4, 0xff, v4
	v_cmp_ne_u32_e64 s8, 0, v4
.LBB55_689:
	v_mov_b32_e32 v5, s9
	s_delay_alu instid0(VALU_DEP_2)
	s_and_not1_b32 vcc_lo, exec_lo, s8
	s_cbranch_vccnz .LBB55_691
; %bb.690:
	s_lshr_b32 s8, s2, 24
	s_delay_alu instid0(SALU_CYCLE_1) | instskip(NEXT) | instid1(SALU_CYCLE_1)
	s_and_b32 s8, s8, 0x80
	v_or_b32_e32 v5, s8, v4
.LBB55_691:
	s_mov_b32 s8, 0
	global_store_b8 v[2:3], v5, off
.LBB55_692:
	s_and_b32 vcc_lo, exec_lo, s8
	s_cbranch_vccz .LBB55_704
; %bb.693:
	s_and_b32 s8, s2, 0x7fffffff
	s_delay_alu instid0(SALU_CYCLE_1)
	s_cmp_lt_u32 s8, 0x43f00000
	s_cbranch_scc0 .LBB55_696
; %bb.694:
	s_cmp_gt_u32 s8, 0x3c7fffff
	s_cbranch_scc0 .LBB55_697
; %bb.695:
	s_bfe_u32 s9, s2, 0x10014
	s_delay_alu instid0(SALU_CYCLE_1) | instskip(NEXT) | instid1(SALU_CYCLE_1)
	s_add_i32 s9, s2, s9
	s_add_i32 s9, s9, 0x407ffff
	s_delay_alu instid0(SALU_CYCLE_1)
	s_and_b32 s10, s9, 0xff00000
	s_lshr_b32 s9, s9, 20
	s_cmp_lg_u32 s10, 0x7f00000
	s_cselect_b32 s10, s9, 0x7e
	s_mov_b32 s9, 0
	s_branch .LBB55_698
.LBB55_696:
	s_mov_b32 s9, -1
                                        ; implicit-def: $vgpr4
	s_branch .LBB55_701
.LBB55_697:
	s_mov_b32 s9, -1
                                        ; implicit-def: $sgpr10
.LBB55_698:
	v_mov_b32_e32 v4, s10
	s_and_not1_b32 vcc_lo, exec_lo, s9
	s_cbranch_vccnz .LBB55_700
; %bb.699:
	v_add_f32_e64 v4, 0x46800000, |s2|
.LBB55_700:
	s_mov_b32 s9, 0
.LBB55_701:
	s_delay_alu instid0(SALU_CYCLE_1)
	s_and_not1_b32 vcc_lo, exec_lo, s9
	s_cbranch_vccnz .LBB55_703
; %bb.702:
	s_cmp_gt_u32 s8, 0x7f800000
	s_movk_i32 s8, 0x7f
	s_delay_alu instid0(SALU_CYCLE_1) | instskip(NEXT) | instid1(SALU_CYCLE_1)
	s_cselect_b32 s8, s8, 0x7e
	v_mov_b32_e32 v4, s8
.LBB55_703:
	s_lshr_b32 s8, s2, 24
	s_delay_alu instid0(SALU_CYCLE_1)
	s_and_b32 s8, s8, 0x80
	s_delay_alu instid0(VALU_DEP_1) | instid1(SALU_CYCLE_1)
	v_or_b32_e32 v4, s8, v4
	global_store_b8 v[2:3], v4, off
.LBB55_704:
	s_mov_b32 s8, 0
.LBB55_705:
	s_delay_alu instid0(SALU_CYCLE_1)
	s_and_not1_b32 vcc_lo, exec_lo, s8
	s_cbranch_vccnz .LBB55_717
; %bb.706:
	s_and_b32 s8, s2, 0x7fffffff
	s_delay_alu instid0(SALU_CYCLE_1)
	s_cmp_lt_u32 s8, 0x47800000
	s_cbranch_scc0 .LBB55_709
; %bb.707:
	s_cmp_gt_u32 s8, 0x387fffff
	s_cbranch_scc0 .LBB55_710
; %bb.708:
	s_bfe_u32 s9, s2, 0x10015
	s_delay_alu instid0(SALU_CYCLE_1) | instskip(NEXT) | instid1(SALU_CYCLE_1)
	s_add_i32 s9, s2, s9
	s_add_i32 s9, s9, 0x80fffff
	s_delay_alu instid0(SALU_CYCLE_1)
	s_lshr_b32 s10, s9, 21
	s_mov_b32 s9, 0
	s_branch .LBB55_711
.LBB55_709:
	s_mov_b32 s9, -1
                                        ; implicit-def: $vgpr4
	s_branch .LBB55_714
.LBB55_710:
	s_mov_b32 s9, -1
                                        ; implicit-def: $sgpr10
.LBB55_711:
	v_mov_b32_e32 v4, s10
	s_and_not1_b32 vcc_lo, exec_lo, s9
	s_cbranch_vccnz .LBB55_713
; %bb.712:
	v_add_f32_e64 v4, 0x43000000, |s2|
.LBB55_713:
	s_mov_b32 s9, 0
.LBB55_714:
	s_delay_alu instid0(SALU_CYCLE_1)
	s_and_not1_b32 vcc_lo, exec_lo, s9
	s_cbranch_vccnz .LBB55_716
; %bb.715:
	s_cmp_gt_u32 s8, 0x7f800000
	s_movk_i32 s8, 0x7f
	s_delay_alu instid0(SALU_CYCLE_1) | instskip(NEXT) | instid1(SALU_CYCLE_1)
	s_cselect_b32 s8, s8, 0x7c
	v_mov_b32_e32 v4, s8
.LBB55_716:
	s_lshr_b32 s8, s2, 24
	s_delay_alu instid0(SALU_CYCLE_1)
	s_and_b32 s8, s8, 0x80
	s_delay_alu instid0(VALU_DEP_1) | instid1(SALU_CYCLE_1)
	v_or_b32_e32 v4, s8, v4
	global_store_b8 v[2:3], v4, off
.LBB55_717:
	s_mov_b32 s8, 0
	s_mov_b32 s9, -1
.LBB55_718:
	s_and_not1_b32 vcc_lo, exec_lo, s8
	s_mov_b32 s8, 0
	s_cbranch_vccnz .LBB55_725
; %bb.719:
	v_cmp_gt_i16_e64 s8, s3, 14
	s_delay_alu instid0(VALU_DEP_1)
	s_and_b32 vcc_lo, exec_lo, s8
	s_mov_b32 s8, -1
	s_cbranch_vccz .LBB55_723
; %bb.720:
	v_cmp_eq_u16_e64 s5, s3, 15
	s_delay_alu instid0(VALU_DEP_1)
	s_and_b32 vcc_lo, exec_lo, s5
	s_mov_b32 s5, -1
	s_cbranch_vccz .LBB55_722
; %bb.721:
	s_bfe_u32 s5, s2, 0x10010
	v_cmp_o_f32_e64 s8, s2, s2
	s_add_i32 s5, s2, s5
	s_mov_b32 s9, -1
	s_addk_i32 s5, 0x7fff
	s_delay_alu instid0(SALU_CYCLE_1) | instskip(SKIP_2) | instid1(SALU_CYCLE_1)
	s_lshr_b32 s5, s5, 16
	s_and_b32 s8, s8, exec_lo
	s_cselect_b32 s5, s5, 0x7fc0
	v_mov_b32_e32 v4, s5
	s_mov_b32 s5, 0
	global_store_b16 v[2:3], v4, off
.LBB55_722:
	s_mov_b32 s8, 0
.LBB55_723:
	s_delay_alu instid0(SALU_CYCLE_1)
	s_and_b32 vcc_lo, exec_lo, s8
	s_mov_b32 s8, 0
	s_cbranch_vccz .LBB55_725
; %bb.724:
	v_cmp_ne_u16_e64 s5, s3, 11
	s_mov_b32 s8, -1
.LBB55_725:
	s_delay_alu instid0(VALU_DEP_1)
	s_and_b32 vcc_lo, exec_lo, s5
	s_cbranch_vccnz .LBB55_778
; %bb.726:
	s_and_not1_b32 vcc_lo, exec_lo, s8
	s_cbranch_vccnz .LBB55_728
.LBB55_727:
	v_cmp_neq_f32_e64 s5, s2, 0
	s_mov_b32 s9, -1
	s_delay_alu instid0(VALU_DEP_1)
	v_cndmask_b32_e64 v4, 0, 1, s5
	global_store_b8 v[2:3], v4, off
.LBB55_728:
	s_mov_b32 s5, 0
.LBB55_729:
	s_delay_alu instid0(SALU_CYCLE_1)
	s_and_b32 vcc_lo, exec_lo, s5
	s_cbranch_vccz .LBB55_768
; %bb.730:
	v_cmp_lt_i16_e64 s5, s3, 5
	s_delay_alu instid0(VALU_DEP_1)
	s_and_b32 vcc_lo, exec_lo, s5
	s_mov_b32 s5, -1
	s_cbranch_vccnz .LBB55_751
; %bb.731:
	v_cmp_lt_i16_e64 s5, s3, 8
	s_delay_alu instid0(VALU_DEP_1)
	s_and_b32 vcc_lo, exec_lo, s5
	s_mov_b32 s5, -1
	s_cbranch_vccnz .LBB55_741
	;; [unrolled: 6-line block ×3, first 2 shown]
; %bb.733:
	v_cmp_gt_i16_e64 s5, s3, 9
	s_delay_alu instid0(VALU_DEP_1)
	s_and_b32 vcc_lo, exec_lo, s5
	s_mov_b32 s5, -1
	s_cbranch_vccz .LBB55_735
; %bb.734:
	v_cvt_f64_f32_e32 v[4:5], s2
	v_mov_b32_e32 v6, 0
	s_mov_b32 s5, 0
	s_delay_alu instid0(VALU_DEP_1)
	v_mov_b32_e32 v7, v6
	global_store_b128 v[2:3], v[4:7], off
.LBB55_735:
	s_and_not1_b32 vcc_lo, exec_lo, s5
	s_cbranch_vccnz .LBB55_737
; %bb.736:
	v_dual_mov_b32 v4, s2 :: v_dual_mov_b32 v5, 0
	global_store_b64 v[2:3], v[4:5], off
.LBB55_737:
	s_mov_b32 s5, 0
.LBB55_738:
	s_delay_alu instid0(SALU_CYCLE_1)
	s_and_not1_b32 vcc_lo, exec_lo, s5
	s_cbranch_vccnz .LBB55_740
; %bb.739:
	v_cvt_f16_f32_e32 v4, s2
	s_delay_alu instid0(VALU_DEP_1)
	v_and_b32_e32 v4, 0xffff, v4
	global_store_b32 v[2:3], v4, off
.LBB55_740:
	s_mov_b32 s5, 0
.LBB55_741:
	s_delay_alu instid0(SALU_CYCLE_1)
	s_and_not1_b32 vcc_lo, exec_lo, s5
	s_cbranch_vccnz .LBB55_750
; %bb.742:
	v_cmp_lt_i16_e64 s5, s3, 6
	s_delay_alu instid0(VALU_DEP_1)
	s_and_b32 vcc_lo, exec_lo, s5
	s_mov_b32 s5, -1
	s_cbranch_vccnz .LBB55_748
; %bb.743:
	v_cmp_gt_i16_e64 s5, s3, 6
	s_delay_alu instid0(VALU_DEP_1)
	s_and_b32 vcc_lo, exec_lo, s5
	s_mov_b32 s5, -1
	s_cbranch_vccz .LBB55_745
; %bb.744:
	v_cvt_f64_f32_e32 v[4:5], s2
	s_mov_b32 s5, 0
	global_store_b64 v[2:3], v[4:5], off
.LBB55_745:
	s_and_not1_b32 vcc_lo, exec_lo, s5
	s_cbranch_vccnz .LBB55_747
; %bb.746:
	v_mov_b32_e32 v4, s2
	global_store_b32 v[2:3], v4, off
.LBB55_747:
	s_mov_b32 s5, 0
.LBB55_748:
	s_delay_alu instid0(SALU_CYCLE_1)
	s_and_not1_b32 vcc_lo, exec_lo, s5
	s_cbranch_vccnz .LBB55_750
; %bb.749:
	v_cvt_f16_f32_e32 v4, s2
	global_store_b16 v[2:3], v4, off
.LBB55_750:
	s_mov_b32 s5, 0
.LBB55_751:
	s_delay_alu instid0(SALU_CYCLE_1)
	s_and_not1_b32 vcc_lo, exec_lo, s5
	s_cbranch_vccnz .LBB55_767
; %bb.752:
	v_cmp_lt_i16_e64 s5, s3, 2
	s_delay_alu instid0(VALU_DEP_1)
	s_and_b32 vcc_lo, exec_lo, s5
	s_mov_b32 s5, -1
	s_cbranch_vccnz .LBB55_762
; %bb.753:
	v_cmp_lt_i16_e64 s5, s3, 3
	s_delay_alu instid0(VALU_DEP_1)
	s_and_b32 vcc_lo, exec_lo, s5
	s_mov_b32 s5, -1
	s_cbranch_vccnz .LBB55_759
; %bb.754:
	v_cmp_gt_i16_e64 s5, s3, 3
	s_delay_alu instid0(VALU_DEP_1)
	s_and_b32 vcc_lo, exec_lo, s5
	s_mov_b32 s5, -1
	s_cbranch_vccz .LBB55_756
; %bb.755:
	v_trunc_f32_e32 v4, s2
	s_mov_b32 s5, 0
	s_delay_alu instid0(VALU_DEP_1) | instskip(SKIP_1) | instid1(VALU_DEP_2)
	v_mul_f32_e64 v5, 0x2f800000, |v4|
	v_ashrrev_i32_e32 v7, 31, v4
	v_floor_f32_e32 v5, v5
	s_delay_alu instid0(VALU_DEP_1) | instskip(SKIP_1) | instid1(VALU_DEP_2)
	v_fma_f32 v6, 0xcf800000, v5, |v4|
	v_cvt_u32_f32_e32 v5, v5
	v_cvt_u32_f32_e32 v4, v6
	s_delay_alu instid0(VALU_DEP_2) | instskip(NEXT) | instid1(VALU_DEP_2)
	v_xor_b32_e32 v5, v5, v7
	v_xor_b32_e32 v4, v4, v7
	s_delay_alu instid0(VALU_DEP_1) | instskip(NEXT) | instid1(VALU_DEP_3)
	v_sub_co_u32 v4, vcc_lo, v4, v7
	v_sub_co_ci_u32_e32 v5, vcc_lo, v5, v7, vcc_lo
	global_store_b64 v[2:3], v[4:5], off
.LBB55_756:
	s_and_not1_b32 vcc_lo, exec_lo, s5
	s_cbranch_vccnz .LBB55_758
; %bb.757:
	v_cvt_i32_f32_e32 v4, s2
	global_store_b32 v[2:3], v4, off
.LBB55_758:
	s_mov_b32 s5, 0
.LBB55_759:
	s_delay_alu instid0(SALU_CYCLE_1)
	s_and_not1_b32 vcc_lo, exec_lo, s5
	s_cbranch_vccnz .LBB55_761
; %bb.760:
	v_cvt_i32_f32_e32 v4, s2
	global_store_b16 v[2:3], v4, off
.LBB55_761:
	s_mov_b32 s5, 0
.LBB55_762:
	s_delay_alu instid0(SALU_CYCLE_1)
	s_and_not1_b32 vcc_lo, exec_lo, s5
	s_cbranch_vccnz .LBB55_767
; %bb.763:
	v_cmp_gt_i16_e64 s5, s3, 0
	s_delay_alu instid0(VALU_DEP_1)
	s_and_b32 vcc_lo, exec_lo, s5
	s_mov_b32 s5, -1
	s_cbranch_vccz .LBB55_765
; %bb.764:
	v_cvt_i32_f32_e32 v4, s2
	s_mov_b32 s5, 0
	global_store_b8 v[2:3], v4, off
.LBB55_765:
	s_and_not1_b32 vcc_lo, exec_lo, s5
	s_cbranch_vccnz .LBB55_767
; %bb.766:
	v_trunc_f32_e32 v4, s2
	s_delay_alu instid0(VALU_DEP_1) | instskip(NEXT) | instid1(VALU_DEP_1)
	v_mul_f32_e64 v5, 0x2f800000, |v4|
	v_floor_f32_e32 v5, v5
	s_delay_alu instid0(VALU_DEP_1) | instskip(SKIP_1) | instid1(VALU_DEP_2)
	v_fma_f32 v5, 0xcf800000, v5, |v4|
	v_ashrrev_i32_e32 v4, 31, v4
	v_cvt_u32_f32_e32 v5, v5
	s_delay_alu instid0(VALU_DEP_1) | instskip(NEXT) | instid1(VALU_DEP_1)
	v_xor_b32_e32 v5, v5, v4
	v_sub_nc_u32_e32 v4, v5, v4
	global_store_b8 v[2:3], v4, off
.LBB55_767:
	s_mov_b32 s9, -1
.LBB55_768:
	s_delay_alu instid0(SALU_CYCLE_1)
	s_and_not1_b32 vcc_lo, exec_lo, s9
	s_cbranch_vccnz .LBB55_910
; %bb.769:
	v_cmp_lt_i16_e64 s5, s3, 11
	v_add_co_u32 v1, s8, s0, v1
	s_delay_alu instid0(VALU_DEP_1) | instskip(SKIP_1) | instid1(VALU_DEP_3)
	v_add_co_ci_u32_e64 v2, null, s1, 0, s8
	s_mov_b32 s9, 0
	s_and_b32 vcc_lo, exec_lo, s5
	s_mov_b32 s5, -1
	s_cbranch_vccnz .LBB55_862
; %bb.770:
	v_cmp_gt_i16_e64 s5, s3, 25
	s_mov_b32 s10, -1
	s_mov_b32 s8, 0
	s_delay_alu instid0(VALU_DEP_1)
	s_and_b32 vcc_lo, exec_lo, s5
	s_mov_b32 s5, 0
	s_cbranch_vccz .LBB55_812
; %bb.771:
	v_cmp_gt_i16_e64 s5, s3, 28
	s_delay_alu instid0(VALU_DEP_1)
	s_and_b32 vcc_lo, exec_lo, s5
	s_cbranch_vccz .LBB55_776
; %bb.772:
	v_cmp_gt_i16_e64 s5, s3, 43
	s_delay_alu instid0(VALU_DEP_1)
	s_and_b32 vcc_lo, exec_lo, s5
	;; [unrolled: 5-line block ×3, first 2 shown]
	s_cbranch_vccz .LBB55_780
; %bb.774:
	v_cmp_eq_u16_e64 s9, s3, 46
	s_mov_b32 s5, -1
	s_mov_b32 s10, 0
	s_delay_alu instid0(VALU_DEP_1)
	s_and_b32 vcc_lo, exec_lo, s9
	s_mov_b32 s9, 0
	s_cbranch_vccz .LBB55_781
; %bb.775:
	s_bfe_u32 s5, s2, 0x10010
	v_cmp_o_f32_e64 s9, s2, s2
	s_add_i32 s5, s2, s5
	s_delay_alu instid0(SALU_CYCLE_1) | instskip(NEXT) | instid1(SALU_CYCLE_1)
	s_addk_i32 s5, 0x7fff
	s_lshr_b32 s5, s5, 16
	s_delay_alu instid0(VALU_DEP_1)
	s_and_b32 s9, s9, exec_lo
	s_cselect_b32 s5, s5, 0x7fc0
	s_mov_b32 s9, -1
	v_mov_b32_e32 v3, s5
	s_mov_b32 s5, 0
	global_store_b32 v[1:2], v3, off
	s_branch .LBB55_781
.LBB55_776:
	s_mov_b32 s5, 0
	s_branch .LBB55_791
.LBB55_777:
	s_mov_b32 s5, 0
	s_branch .LBB55_787
.LBB55_778:
	s_cbranch_execnz .LBB55_802
; %bb.779:
	s_or_b32 s4, s4, exec_lo
	s_cbranch_execz .LBB55_727
	s_branch .LBB55_728
.LBB55_780:
	s_mov_b32 s5, 0
.LBB55_781:
	s_and_b32 vcc_lo, exec_lo, s10
	s_cbranch_vccz .LBB55_786
; %bb.782:
	v_cmp_eq_u16_e64 s5, s3, 44
	s_delay_alu instid0(VALU_DEP_1)
	s_and_b32 vcc_lo, exec_lo, s5
	s_mov_b32 s5, -1
	s_cbranch_vccz .LBB55_786
; %bb.783:
	v_mov_b32_e32 v3, 0xff
	s_bfe_u32 s5, s2, 0x80017
	s_delay_alu instid0(SALU_CYCLE_1)
	s_cmpk_eq_i32 s5, 0xff
	s_cbranch_scc1 .LBB55_785
; %bb.784:
	s_lshr_b32 s9, s2, 23
	s_bitcmp1_b32 s2, 22
	s_cselect_b32 s10, -1, 0
	s_and_b32 s11, s2, 0x3fffff
	s_delay_alu instid0(SALU_CYCLE_1) | instskip(NEXT) | instid1(SALU_CYCLE_1)
	s_or_b32 s5, s5, s11
	s_cmp_lg_u32 s5, 0
	s_cselect_b32 s5, -1, 0
	s_delay_alu instid0(SALU_CYCLE_1) | instskip(NEXT) | instid1(SALU_CYCLE_1)
	s_and_b32 s5, s10, s5
	v_cndmask_b32_e64 v3, 0, 1, s5
	s_delay_alu instid0(VALU_DEP_1)
	v_add_nc_u32_e32 v3, s9, v3
.LBB55_785:
	s_mov_b32 s5, 0
	s_mov_b32 s9, -1
	global_store_b8 v[1:2], v3, off
.LBB55_786:
	s_mov_b32 s10, 0
.LBB55_787:
	s_delay_alu instid0(SALU_CYCLE_1)
	s_and_b32 vcc_lo, exec_lo, s10
	s_cbranch_vccz .LBB55_790
; %bb.788:
	v_cmp_eq_u16_e64 s5, s3, 29
	s_delay_alu instid0(VALU_DEP_1)
	s_and_b32 vcc_lo, exec_lo, s5
	s_mov_b32 s5, -1
	s_cbranch_vccz .LBB55_790
; %bb.789:
	v_trunc_f32_e32 v3, s2
	s_mov_b32 s5, 0
	s_mov_b32 s9, -1
	s_mov_b32 s10, 0
	s_delay_alu instid0(VALU_DEP_1) | instskip(NEXT) | instid1(VALU_DEP_1)
	v_mul_f32_e32 v4, 0x2f800000, v3
	v_floor_f32_e32 v4, v4
	s_delay_alu instid0(VALU_DEP_1) | instskip(SKIP_1) | instid1(VALU_DEP_2)
	v_fmamk_f32 v3, v4, 0xcf800000, v3
	v_cvt_u32_f32_e32 v4, v4
	v_cvt_u32_f32_e32 v3, v3
	global_store_b64 v[1:2], v[3:4], off
	s_branch .LBB55_791
.LBB55_790:
	s_mov_b32 s10, 0
.LBB55_791:
	s_delay_alu instid0(SALU_CYCLE_1)
	s_and_b32 vcc_lo, exec_lo, s10
	s_cbranch_vccz .LBB55_811
; %bb.792:
	v_cmp_lt_i16_e64 s9, s3, 27
	s_delay_alu instid0(VALU_DEP_1)
	s_and_b32 vcc_lo, exec_lo, s9
	s_mov_b32 s9, -1
	s_cbranch_vccnz .LBB55_798
; %bb.793:
	v_cmp_gt_i16_e64 s9, s3, 27
	s_delay_alu instid0(VALU_DEP_1)
	s_and_b32 vcc_lo, exec_lo, s9
	s_mov_b32 s9, -1
	s_cbranch_vccz .LBB55_795
; %bb.794:
	v_cvt_u32_f32_e32 v3, s2
	s_mov_b32 s9, 0
	global_store_b32 v[1:2], v3, off
.LBB55_795:
	s_and_not1_b32 vcc_lo, exec_lo, s9
	s_cbranch_vccnz .LBB55_797
; %bb.796:
	v_cvt_u32_f32_e32 v3, s2
	global_store_b16 v[1:2], v3, off
.LBB55_797:
	s_mov_b32 s9, 0
.LBB55_798:
	s_delay_alu instid0(SALU_CYCLE_1)
	s_and_not1_b32 vcc_lo, exec_lo, s9
	s_cbranch_vccnz .LBB55_810
; %bb.799:
	v_mov_b32_e32 v4, 0x80
	s_and_b32 s9, s2, 0x7fffffff
	s_delay_alu instid0(SALU_CYCLE_1)
	s_cmp_gt_u32 s9, 0x437fffff
	s_cbranch_scc1 .LBB55_809
; %bb.800:
	s_cmp_gt_u32 s9, 0x3bffffff
	s_cbranch_scc0 .LBB55_804
; %bb.801:
	s_bfe_u32 s9, s2, 0x10014
	s_mov_b32 s10, 0
	s_add_i32 s9, s2, s9
	s_delay_alu instid0(SALU_CYCLE_1) | instskip(NEXT) | instid1(SALU_CYCLE_1)
	s_add_i32 s9, s9, 0x487ffff
	s_lshr_b32 s11, s9, 20
	s_mov_b32 s9, -1
	s_branch .LBB55_805
.LBB55_802:
	s_trap 2
	s_sendmsg_rtn_b32 s0, sendmsg(MSG_RTN_GET_DOORBELL)
	s_mov_b32 ttmp2, m0
	s_waitcnt lgkmcnt(0)
	s_and_b32 s0, s0, 0x3ff
	s_delay_alu instid0(SALU_CYCLE_1) | instskip(NEXT) | instid1(SALU_CYCLE_1)
	s_bitset1_b32 s0, 10
	s_mov_b32 m0, s0
	s_sendmsg sendmsg(MSG_INTERRUPT)
	s_mov_b32 m0, ttmp2
.LBB55_803:                             ; =>This Inner Loop Header: Depth=1
	s_sethalt 5
	s_branch .LBB55_803
.LBB55_804:
	s_mov_b32 s10, -1
	s_mov_b32 s9, 0
                                        ; implicit-def: $sgpr11
.LBB55_805:
	v_mov_b32_e32 v3, s11
	s_and_not1_b32 vcc_lo, exec_lo, s10
                                        ; implicit-def: $sgpr10
	s_cbranch_vccnz .LBB55_807
; %bb.806:
	v_add_f32_e64 v3, 0x46000000, |s2|
	s_mov_b32 s10, 0
	s_delay_alu instid0(VALU_DEP_1) | instskip(NEXT) | instid1(VALU_DEP_1)
	v_and_b32_e32 v3, 0xff, v3
	v_cmp_ne_u32_e64 s9, 0, v3
.LBB55_807:
	v_mov_b32_e32 v4, s10
	s_delay_alu instid0(VALU_DEP_2)
	s_and_not1_b32 vcc_lo, exec_lo, s9
	s_cbranch_vccnz .LBB55_809
; %bb.808:
	s_lshr_b32 s9, s2, 24
	s_delay_alu instid0(SALU_CYCLE_1) | instskip(NEXT) | instid1(SALU_CYCLE_1)
	s_and_b32 s9, s9, 0x80
	v_or_b32_e32 v4, s9, v3
.LBB55_809:
	global_store_b8 v[1:2], v4, off
.LBB55_810:
	s_mov_b32 s9, -1
.LBB55_811:
	s_mov_b32 s10, 0
.LBB55_812:
	s_delay_alu instid0(SALU_CYCLE_1)
	s_and_b32 vcc_lo, exec_lo, s10
	s_cbranch_vccz .LBB55_858
; %bb.813:
	v_cmp_gt_i16_e64 s8, s3, 22
	s_delay_alu instid0(VALU_DEP_1)
	s_and_b32 vcc_lo, exec_lo, s8
	s_mov_b32 s8, -1
	s_cbranch_vccz .LBB55_851
; %bb.814:
	v_cmp_lt_i16_e64 s8, s3, 24
	s_delay_alu instid0(VALU_DEP_1)
	s_and_b32 vcc_lo, exec_lo, s8
	s_mov_b32 s8, -1
	s_cbranch_vccnz .LBB55_838
; %bb.815:
	v_cmp_gt_i16_e64 s8, s3, 24
	s_delay_alu instid0(VALU_DEP_1)
	s_and_b32 vcc_lo, exec_lo, s8
	s_mov_b32 s8, -1
	s_cbranch_vccz .LBB55_825
; %bb.816:
	v_mov_b32_e32 v4, 0x80
	s_and_b32 s8, s2, 0x7fffffff
	s_delay_alu instid0(SALU_CYCLE_1)
	s_cmp_gt_u32 s8, 0x477fffff
	s_cbranch_scc1 .LBB55_824
; %bb.817:
	s_cmp_gt_u32 s8, 0x37ffffff
	s_cbranch_scc0 .LBB55_819
; %bb.818:
	s_bfe_u32 s8, s2, 0x10015
	s_mov_b32 s9, 0
	s_add_i32 s8, s2, s8
	s_delay_alu instid0(SALU_CYCLE_1) | instskip(NEXT) | instid1(SALU_CYCLE_1)
	s_add_i32 s8, s8, 0x88fffff
	s_lshr_b32 s10, s8, 21
	s_mov_b32 s8, -1
	s_branch .LBB55_820
.LBB55_819:
	s_mov_b32 s9, -1
	s_mov_b32 s8, 0
                                        ; implicit-def: $sgpr10
.LBB55_820:
	v_mov_b32_e32 v3, s10
	s_and_not1_b32 vcc_lo, exec_lo, s9
                                        ; implicit-def: $sgpr9
	s_cbranch_vccnz .LBB55_822
; %bb.821:
	v_add_f32_e64 v3, 0x42800000, |s2|
	s_mov_b32 s9, 0
	s_delay_alu instid0(VALU_DEP_1) | instskip(NEXT) | instid1(VALU_DEP_1)
	v_and_b32_e32 v3, 0xff, v3
	v_cmp_ne_u32_e64 s8, 0, v3
.LBB55_822:
	v_mov_b32_e32 v4, s9
	s_delay_alu instid0(VALU_DEP_2)
	s_and_not1_b32 vcc_lo, exec_lo, s8
	s_cbranch_vccnz .LBB55_824
; %bb.823:
	s_lshr_b32 s8, s2, 24
	s_delay_alu instid0(SALU_CYCLE_1) | instskip(NEXT) | instid1(SALU_CYCLE_1)
	s_and_b32 s8, s8, 0x80
	v_or_b32_e32 v4, s8, v3
.LBB55_824:
	s_mov_b32 s8, 0
	global_store_b8 v[1:2], v4, off
.LBB55_825:
	s_and_b32 vcc_lo, exec_lo, s8
	s_cbranch_vccz .LBB55_837
; %bb.826:
	s_and_b32 s8, s2, 0x7fffffff
	s_delay_alu instid0(SALU_CYCLE_1)
	s_cmp_lt_u32 s8, 0x43f00000
	s_cbranch_scc0 .LBB55_829
; %bb.827:
	s_cmp_gt_u32 s8, 0x3c7fffff
	s_cbranch_scc0 .LBB55_830
; %bb.828:
	s_bfe_u32 s9, s2, 0x10014
	s_delay_alu instid0(SALU_CYCLE_1) | instskip(NEXT) | instid1(SALU_CYCLE_1)
	s_add_i32 s9, s2, s9
	s_add_i32 s9, s9, 0x407ffff
	s_delay_alu instid0(SALU_CYCLE_1)
	s_and_b32 s10, s9, 0xff00000
	s_lshr_b32 s9, s9, 20
	s_cmp_lg_u32 s10, 0x7f00000
	s_cselect_b32 s10, s9, 0x7e
	s_mov_b32 s9, 0
	s_branch .LBB55_831
.LBB55_829:
	s_mov_b32 s9, -1
                                        ; implicit-def: $vgpr3
	s_branch .LBB55_834
.LBB55_830:
	s_mov_b32 s9, -1
                                        ; implicit-def: $sgpr10
.LBB55_831:
	v_mov_b32_e32 v3, s10
	s_and_not1_b32 vcc_lo, exec_lo, s9
	s_cbranch_vccnz .LBB55_833
; %bb.832:
	v_add_f32_e64 v3, 0x46800000, |s2|
.LBB55_833:
	s_mov_b32 s9, 0
.LBB55_834:
	s_delay_alu instid0(SALU_CYCLE_1)
	s_and_not1_b32 vcc_lo, exec_lo, s9
	s_cbranch_vccnz .LBB55_836
; %bb.835:
	s_cmp_gt_u32 s8, 0x7f800000
	s_movk_i32 s8, 0x7f
	s_delay_alu instid0(SALU_CYCLE_1) | instskip(NEXT) | instid1(SALU_CYCLE_1)
	s_cselect_b32 s8, s8, 0x7e
	v_mov_b32_e32 v3, s8
.LBB55_836:
	s_lshr_b32 s8, s2, 24
	s_delay_alu instid0(SALU_CYCLE_1)
	s_and_b32 s8, s8, 0x80
	s_delay_alu instid0(VALU_DEP_1) | instid1(SALU_CYCLE_1)
	v_or_b32_e32 v3, s8, v3
	global_store_b8 v[1:2], v3, off
.LBB55_837:
	s_mov_b32 s8, 0
.LBB55_838:
	s_delay_alu instid0(SALU_CYCLE_1)
	s_and_not1_b32 vcc_lo, exec_lo, s8
	s_cbranch_vccnz .LBB55_850
; %bb.839:
	s_and_b32 s8, s2, 0x7fffffff
	s_delay_alu instid0(SALU_CYCLE_1)
	s_cmp_lt_u32 s8, 0x47800000
	s_cbranch_scc0 .LBB55_842
; %bb.840:
	s_cmp_gt_u32 s8, 0x387fffff
	s_cbranch_scc0 .LBB55_843
; %bb.841:
	s_bfe_u32 s9, s2, 0x10015
	s_delay_alu instid0(SALU_CYCLE_1) | instskip(NEXT) | instid1(SALU_CYCLE_1)
	s_add_i32 s9, s2, s9
	s_add_i32 s9, s9, 0x80fffff
	s_delay_alu instid0(SALU_CYCLE_1)
	s_lshr_b32 s10, s9, 21
	s_mov_b32 s9, 0
	s_branch .LBB55_844
.LBB55_842:
	s_mov_b32 s9, -1
                                        ; implicit-def: $vgpr3
	s_branch .LBB55_847
.LBB55_843:
	s_mov_b32 s9, -1
                                        ; implicit-def: $sgpr10
.LBB55_844:
	v_mov_b32_e32 v3, s10
	s_and_not1_b32 vcc_lo, exec_lo, s9
	s_cbranch_vccnz .LBB55_846
; %bb.845:
	v_add_f32_e64 v3, 0x43000000, |s2|
.LBB55_846:
	s_mov_b32 s9, 0
.LBB55_847:
	s_delay_alu instid0(SALU_CYCLE_1)
	s_and_not1_b32 vcc_lo, exec_lo, s9
	s_cbranch_vccnz .LBB55_849
; %bb.848:
	s_cmp_gt_u32 s8, 0x7f800000
	s_movk_i32 s8, 0x7f
	s_delay_alu instid0(SALU_CYCLE_1) | instskip(NEXT) | instid1(SALU_CYCLE_1)
	s_cselect_b32 s8, s8, 0x7c
	v_mov_b32_e32 v3, s8
.LBB55_849:
	s_lshr_b32 s8, s2, 24
	s_delay_alu instid0(SALU_CYCLE_1)
	s_and_b32 s8, s8, 0x80
	s_delay_alu instid0(VALU_DEP_1) | instid1(SALU_CYCLE_1)
	v_or_b32_e32 v3, s8, v3
	global_store_b8 v[1:2], v3, off
.LBB55_850:
	s_mov_b32 s8, 0
	s_mov_b32 s9, -1
.LBB55_851:
	s_and_not1_b32 vcc_lo, exec_lo, s8
	s_mov_b32 s8, 0
	s_cbranch_vccnz .LBB55_858
; %bb.852:
	v_cmp_gt_i16_e64 s8, s3, 14
	s_delay_alu instid0(VALU_DEP_1)
	s_and_b32 vcc_lo, exec_lo, s8
	s_mov_b32 s8, -1
	s_cbranch_vccz .LBB55_856
; %bb.853:
	v_cmp_eq_u16_e64 s5, s3, 15
	s_delay_alu instid0(VALU_DEP_1)
	s_and_b32 vcc_lo, exec_lo, s5
	s_mov_b32 s5, -1
	s_cbranch_vccz .LBB55_855
; %bb.854:
	s_bfe_u32 s5, s2, 0x10010
	v_cmp_o_f32_e64 s8, s2, s2
	s_add_i32 s5, s2, s5
	s_mov_b32 s9, -1
	s_addk_i32 s5, 0x7fff
	s_delay_alu instid0(SALU_CYCLE_1) | instskip(SKIP_2) | instid1(SALU_CYCLE_1)
	s_lshr_b32 s5, s5, 16
	s_and_b32 s8, s8, exec_lo
	s_cselect_b32 s5, s5, 0x7fc0
	v_mov_b32_e32 v3, s5
	s_mov_b32 s5, 0
	global_store_b16 v[1:2], v3, off
.LBB55_855:
	s_mov_b32 s8, 0
.LBB55_856:
	s_delay_alu instid0(SALU_CYCLE_1)
	s_and_b32 vcc_lo, exec_lo, s8
	s_mov_b32 s8, 0
	s_cbranch_vccz .LBB55_858
; %bb.857:
	v_cmp_ne_u16_e64 s5, s3, 11
	s_mov_b32 s8, -1
.LBB55_858:
	s_delay_alu instid0(VALU_DEP_1)
	s_and_b32 vcc_lo, exec_lo, s5
	s_cbranch_vccnz .LBB55_957
; %bb.859:
	s_and_not1_b32 vcc_lo, exec_lo, s8
	s_cbranch_vccnz .LBB55_861
.LBB55_860:
	v_cmp_neq_f32_e64 s5, s2, 0
	s_mov_b32 s9, -1
	s_delay_alu instid0(VALU_DEP_1)
	v_cndmask_b32_e64 v3, 0, 1, s5
	global_store_b8 v[1:2], v3, off
.LBB55_861:
	s_mov_b32 s5, 0
.LBB55_862:
	s_delay_alu instid0(SALU_CYCLE_1)
	s_and_b32 vcc_lo, exec_lo, s5
	s_cbranch_vccz .LBB55_901
; %bb.863:
	v_cmp_lt_i16_e64 s5, s3, 5
	s_delay_alu instid0(VALU_DEP_1)
	s_and_b32 vcc_lo, exec_lo, s5
	s_mov_b32 s5, -1
	s_cbranch_vccnz .LBB55_884
; %bb.864:
	v_cmp_lt_i16_e64 s5, s3, 8
	s_delay_alu instid0(VALU_DEP_1)
	s_and_b32 vcc_lo, exec_lo, s5
	s_mov_b32 s5, -1
	s_cbranch_vccnz .LBB55_874
; %bb.865:
	v_cmp_lt_i16_e64 s5, s3, 9
	s_delay_alu instid0(VALU_DEP_1)
	s_and_b32 vcc_lo, exec_lo, s5
	s_mov_b32 s5, -1
	s_cbranch_vccnz .LBB55_871
; %bb.866:
	v_cmp_gt_i16_e64 s5, s3, 9
	s_delay_alu instid0(VALU_DEP_1)
	s_and_b32 vcc_lo, exec_lo, s5
	s_mov_b32 s5, -1
	s_cbranch_vccz .LBB55_868
; %bb.867:
	v_cvt_f64_f32_e32 v[3:4], s2
	v_mov_b32_e32 v5, 0
	s_mov_b32 s5, 0
	s_delay_alu instid0(VALU_DEP_1)
	v_mov_b32_e32 v6, v5
	global_store_b128 v[1:2], v[3:6], off
.LBB55_868:
	s_and_not1_b32 vcc_lo, exec_lo, s5
	s_cbranch_vccnz .LBB55_870
; %bb.869:
	v_dual_mov_b32 v3, s2 :: v_dual_mov_b32 v4, 0
	global_store_b64 v[1:2], v[3:4], off
.LBB55_870:
	s_mov_b32 s5, 0
.LBB55_871:
	s_delay_alu instid0(SALU_CYCLE_1)
	s_and_not1_b32 vcc_lo, exec_lo, s5
	s_cbranch_vccnz .LBB55_873
; %bb.872:
	v_cvt_f16_f32_e32 v3, s2
	s_delay_alu instid0(VALU_DEP_1)
	v_and_b32_e32 v3, 0xffff, v3
	global_store_b32 v[1:2], v3, off
.LBB55_873:
	s_mov_b32 s5, 0
.LBB55_874:
	s_delay_alu instid0(SALU_CYCLE_1)
	s_and_not1_b32 vcc_lo, exec_lo, s5
	s_cbranch_vccnz .LBB55_883
; %bb.875:
	v_cmp_lt_i16_e64 s5, s3, 6
	s_delay_alu instid0(VALU_DEP_1)
	s_and_b32 vcc_lo, exec_lo, s5
	s_mov_b32 s5, -1
	s_cbranch_vccnz .LBB55_881
; %bb.876:
	v_cmp_gt_i16_e64 s5, s3, 6
	s_delay_alu instid0(VALU_DEP_1)
	s_and_b32 vcc_lo, exec_lo, s5
	s_mov_b32 s5, -1
	s_cbranch_vccz .LBB55_878
; %bb.877:
	v_cvt_f64_f32_e32 v[3:4], s2
	s_mov_b32 s5, 0
	global_store_b64 v[1:2], v[3:4], off
.LBB55_878:
	s_and_not1_b32 vcc_lo, exec_lo, s5
	s_cbranch_vccnz .LBB55_880
; %bb.879:
	v_mov_b32_e32 v3, s2
	global_store_b32 v[1:2], v3, off
.LBB55_880:
	s_mov_b32 s5, 0
.LBB55_881:
	s_delay_alu instid0(SALU_CYCLE_1)
	s_and_not1_b32 vcc_lo, exec_lo, s5
	s_cbranch_vccnz .LBB55_883
; %bb.882:
	v_cvt_f16_f32_e32 v3, s2
	global_store_b16 v[1:2], v3, off
.LBB55_883:
	s_mov_b32 s5, 0
.LBB55_884:
	s_delay_alu instid0(SALU_CYCLE_1)
	s_and_not1_b32 vcc_lo, exec_lo, s5
	s_cbranch_vccnz .LBB55_900
; %bb.885:
	v_cmp_lt_i16_e64 s5, s3, 2
	s_delay_alu instid0(VALU_DEP_1)
	s_and_b32 vcc_lo, exec_lo, s5
	s_mov_b32 s5, -1
	s_cbranch_vccnz .LBB55_895
; %bb.886:
	v_cmp_lt_i16_e64 s5, s3, 3
	s_delay_alu instid0(VALU_DEP_1)
	s_and_b32 vcc_lo, exec_lo, s5
	s_mov_b32 s5, -1
	s_cbranch_vccnz .LBB55_892
; %bb.887:
	v_cmp_gt_i16_e64 s5, s3, 3
	s_delay_alu instid0(VALU_DEP_1)
	s_and_b32 vcc_lo, exec_lo, s5
	s_mov_b32 s5, -1
	s_cbranch_vccz .LBB55_889
; %bb.888:
	v_trunc_f32_e32 v3, s2
	s_mov_b32 s5, 0
	s_delay_alu instid0(VALU_DEP_1) | instskip(SKIP_1) | instid1(VALU_DEP_2)
	v_mul_f32_e64 v4, 0x2f800000, |v3|
	v_ashrrev_i32_e32 v6, 31, v3
	v_floor_f32_e32 v4, v4
	s_delay_alu instid0(VALU_DEP_1) | instskip(SKIP_1) | instid1(VALU_DEP_2)
	v_fma_f32 v5, 0xcf800000, v4, |v3|
	v_cvt_u32_f32_e32 v4, v4
	v_cvt_u32_f32_e32 v3, v5
	s_delay_alu instid0(VALU_DEP_2) | instskip(NEXT) | instid1(VALU_DEP_2)
	v_xor_b32_e32 v4, v4, v6
	v_xor_b32_e32 v3, v3, v6
	s_delay_alu instid0(VALU_DEP_1) | instskip(NEXT) | instid1(VALU_DEP_3)
	v_sub_co_u32 v3, vcc_lo, v3, v6
	v_sub_co_ci_u32_e32 v4, vcc_lo, v4, v6, vcc_lo
	global_store_b64 v[1:2], v[3:4], off
.LBB55_889:
	s_and_not1_b32 vcc_lo, exec_lo, s5
	s_cbranch_vccnz .LBB55_891
; %bb.890:
	v_cvt_i32_f32_e32 v3, s2
	global_store_b32 v[1:2], v3, off
.LBB55_891:
	s_mov_b32 s5, 0
.LBB55_892:
	s_delay_alu instid0(SALU_CYCLE_1)
	s_and_not1_b32 vcc_lo, exec_lo, s5
	s_cbranch_vccnz .LBB55_894
; %bb.893:
	v_cvt_i32_f32_e32 v3, s2
	global_store_b16 v[1:2], v3, off
.LBB55_894:
	s_mov_b32 s5, 0
.LBB55_895:
	s_delay_alu instid0(SALU_CYCLE_1)
	s_and_not1_b32 vcc_lo, exec_lo, s5
	s_cbranch_vccnz .LBB55_900
; %bb.896:
	v_cmp_gt_i16_e64 s5, s3, 0
	s_delay_alu instid0(VALU_DEP_1)
	s_and_b32 vcc_lo, exec_lo, s5
	s_mov_b32 s5, -1
	s_cbranch_vccz .LBB55_898
; %bb.897:
	v_cvt_i32_f32_e32 v3, s2
	s_mov_b32 s5, 0
	global_store_b8 v[1:2], v3, off
.LBB55_898:
	s_and_not1_b32 vcc_lo, exec_lo, s5
	s_cbranch_vccnz .LBB55_900
; %bb.899:
	v_trunc_f32_e32 v3, s2
	s_delay_alu instid0(VALU_DEP_1) | instskip(NEXT) | instid1(VALU_DEP_1)
	v_mul_f32_e64 v4, 0x2f800000, |v3|
	v_floor_f32_e32 v4, v4
	s_delay_alu instid0(VALU_DEP_1) | instskip(SKIP_1) | instid1(VALU_DEP_2)
	v_fma_f32 v4, 0xcf800000, v4, |v3|
	v_ashrrev_i32_e32 v3, 31, v3
	v_cvt_u32_f32_e32 v4, v4
	s_delay_alu instid0(VALU_DEP_1) | instskip(NEXT) | instid1(VALU_DEP_1)
	v_xor_b32_e32 v4, v4, v3
	v_sub_nc_u32_e32 v3, v4, v3
	global_store_b8 v[1:2], v3, off
.LBB55_900:
	s_mov_b32 s9, -1
.LBB55_901:
	s_delay_alu instid0(SALU_CYCLE_1)
	s_and_not1_b32 vcc_lo, exec_lo, s9
	s_cbranch_vccnz .LBB55_910
; %bb.902:
	v_cmp_lt_i16_e64 s8, s3, 11
	v_add_co_u32 v0, s0, s0, v0
	s_delay_alu instid0(VALU_DEP_1) | instskip(SKIP_1) | instid1(VALU_DEP_3)
	v_add_co_ci_u32_e64 v1, null, s1, 0, s0
	s_mov_b32 s5, 0
	s_and_b32 vcc_lo, exec_lo, s8
	s_mov_b32 s0, -1
	s_cbranch_vccnz .LBB55_911
; %bb.903:
	v_cmp_gt_i16_e64 s0, s3, 25
	s_mov_b32 s1, -1
	s_delay_alu instid0(VALU_DEP_1)
	s_and_b32 vcc_lo, exec_lo, s0
	s_mov_b32 s0, 0
	s_cbranch_vccz .LBB55_990
; %bb.904:
	v_cmp_gt_i16_e64 s0, s3, 28
	s_delay_alu instid0(VALU_DEP_1)
	s_and_b32 vcc_lo, exec_lo, s0
	s_cbranch_vccz .LBB55_955
; %bb.905:
	v_cmp_gt_i16_e64 s0, s3, 43
	s_delay_alu instid0(VALU_DEP_1)
	s_and_b32 vcc_lo, exec_lo, s0
	;; [unrolled: 5-line block ×3, first 2 shown]
	s_cbranch_vccz .LBB55_959
; %bb.907:
	v_cmp_eq_u16_e64 s0, s3, 46
	s_delay_alu instid0(VALU_DEP_1)
	s_and_b32 vcc_lo, exec_lo, s0
	s_mov_b32 s0, -1
	s_cbranch_vccz .LBB55_909
; %bb.908:
	s_bfe_u32 s0, s2, 0x10010
	v_cmp_o_f32_e64 s1, s2, s2
	s_add_i32 s0, s2, s0
	s_delay_alu instid0(SALU_CYCLE_1) | instskip(NEXT) | instid1(SALU_CYCLE_1)
	s_addk_i32 s0, 0x7fff
	s_lshr_b32 s0, s0, 16
	s_delay_alu instid0(VALU_DEP_1) | instskip(SKIP_1) | instid1(SALU_CYCLE_1)
	s_and_b32 s1, s1, exec_lo
	s_cselect_b32 s0, s0, 0x7fc0
	v_mov_b32_e32 v2, s0
	s_mov_b32 s0, 0
	global_store_b32 v[0:1], v2, off
.LBB55_909:
	s_mov_b32 s1, 0
	s_branch .LBB55_960
.LBB55_910:
	s_mov_b32 s0, 0
	s_mov_b32 s5, 0
                                        ; implicit-def: $sgpr3
                                        ; implicit-def: $vgpr0_vgpr1
.LBB55_911:
	s_and_b32 s8, s0, exec_lo
	s_and_not1_b32 s0, s6, exec_lo
	s_and_b32 s1, s4, exec_lo
	s_and_b32 s22, s5, exec_lo
	s_or_b32 s6, s0, s1
.LBB55_912:
	s_or_b32 exec_lo, exec_lo, s7
	s_and_saveexec_b32 s0, s6
	s_cbranch_execz .LBB55_915
; %bb.913:
	; divergent unreachable
	s_or_b32 exec_lo, exec_lo, s0
	s_and_saveexec_b32 s0, s22
	s_delay_alu instid0(SALU_CYCLE_1)
	s_xor_b32 s0, exec_lo, s0
	s_cbranch_execnz .LBB55_916
.LBB55_914:
	s_or_b32 exec_lo, exec_lo, s0
	s_and_saveexec_b32 s0, s8
	s_cbranch_execnz .LBB55_917
	s_branch .LBB55_954
.LBB55_915:
	s_or_b32 exec_lo, exec_lo, s0
	s_and_saveexec_b32 s0, s22
	s_delay_alu instid0(SALU_CYCLE_1)
	s_xor_b32 s0, exec_lo, s0
	s_cbranch_execz .LBB55_914
.LBB55_916:
	v_cmp_neq_f32_e64 s1, s2, 0
	s_delay_alu instid0(VALU_DEP_1)
	v_cndmask_b32_e64 v2, 0, 1, s1
	global_store_b8 v[0:1], v2, off
	s_or_b32 exec_lo, exec_lo, s0
	s_and_saveexec_b32 s0, s8
	s_cbranch_execz .LBB55_954
.LBB55_917:
	v_cmp_lt_i16_e64 s0, s3, 5
	s_delay_alu instid0(VALU_DEP_1)
	s_and_b32 vcc_lo, exec_lo, s0
	s_mov_b32 s0, -1
	s_cbranch_vccnz .LBB55_938
; %bb.918:
	v_cmp_lt_i16_e64 s0, s3, 8
	s_delay_alu instid0(VALU_DEP_1)
	s_and_b32 vcc_lo, exec_lo, s0
	s_mov_b32 s0, -1
	s_cbranch_vccnz .LBB55_928
; %bb.919:
	;; [unrolled: 6-line block ×3, first 2 shown]
	v_cmp_gt_i16_e64 s0, s3, 9
	s_delay_alu instid0(VALU_DEP_1)
	s_and_b32 vcc_lo, exec_lo, s0
	s_mov_b32 s0, -1
	s_cbranch_vccz .LBB55_922
; %bb.921:
	v_cvt_f64_f32_e32 v[2:3], s2
	v_mov_b32_e32 v4, 0
	s_mov_b32 s0, 0
	s_delay_alu instid0(VALU_DEP_1)
	v_mov_b32_e32 v5, v4
	global_store_b128 v[0:1], v[2:5], off
.LBB55_922:
	s_and_not1_b32 vcc_lo, exec_lo, s0
	s_cbranch_vccnz .LBB55_924
; %bb.923:
	v_dual_mov_b32 v2, s2 :: v_dual_mov_b32 v3, 0
	global_store_b64 v[0:1], v[2:3], off
.LBB55_924:
	s_mov_b32 s0, 0
.LBB55_925:
	s_delay_alu instid0(SALU_CYCLE_1)
	s_and_not1_b32 vcc_lo, exec_lo, s0
	s_cbranch_vccnz .LBB55_927
; %bb.926:
	v_cvt_f16_f32_e32 v2, s2
	s_delay_alu instid0(VALU_DEP_1)
	v_and_b32_e32 v2, 0xffff, v2
	global_store_b32 v[0:1], v2, off
.LBB55_927:
	s_mov_b32 s0, 0
.LBB55_928:
	s_delay_alu instid0(SALU_CYCLE_1)
	s_and_not1_b32 vcc_lo, exec_lo, s0
	s_cbranch_vccnz .LBB55_937
; %bb.929:
	v_cmp_lt_i16_e64 s0, s3, 6
	s_delay_alu instid0(VALU_DEP_1)
	s_and_b32 vcc_lo, exec_lo, s0
	s_mov_b32 s0, -1
	s_cbranch_vccnz .LBB55_935
; %bb.930:
	v_cmp_gt_i16_e64 s0, s3, 6
	s_delay_alu instid0(VALU_DEP_1)
	s_and_b32 vcc_lo, exec_lo, s0
	s_mov_b32 s0, -1
	s_cbranch_vccz .LBB55_932
; %bb.931:
	v_cvt_f64_f32_e32 v[2:3], s2
	s_mov_b32 s0, 0
	global_store_b64 v[0:1], v[2:3], off
.LBB55_932:
	s_and_not1_b32 vcc_lo, exec_lo, s0
	s_cbranch_vccnz .LBB55_934
; %bb.933:
	v_mov_b32_e32 v2, s2
	global_store_b32 v[0:1], v2, off
.LBB55_934:
	s_mov_b32 s0, 0
.LBB55_935:
	s_delay_alu instid0(SALU_CYCLE_1)
	s_and_not1_b32 vcc_lo, exec_lo, s0
	s_cbranch_vccnz .LBB55_937
; %bb.936:
	v_cvt_f16_f32_e32 v2, s2
	global_store_b16 v[0:1], v2, off
.LBB55_937:
	s_mov_b32 s0, 0
.LBB55_938:
	s_delay_alu instid0(SALU_CYCLE_1)
	s_and_not1_b32 vcc_lo, exec_lo, s0
	s_cbranch_vccnz .LBB55_954
; %bb.939:
	v_cmp_lt_i16_e64 s0, s3, 2
	s_delay_alu instid0(VALU_DEP_1)
	s_and_b32 vcc_lo, exec_lo, s0
	s_mov_b32 s0, -1
	s_cbranch_vccnz .LBB55_949
; %bb.940:
	v_cmp_lt_i16_e64 s0, s3, 3
	s_delay_alu instid0(VALU_DEP_1)
	s_and_b32 vcc_lo, exec_lo, s0
	s_mov_b32 s0, -1
	s_cbranch_vccnz .LBB55_946
; %bb.941:
	v_cmp_gt_i16_e64 s0, s3, 3
	s_delay_alu instid0(VALU_DEP_1)
	s_and_b32 vcc_lo, exec_lo, s0
	s_mov_b32 s0, -1
	s_cbranch_vccz .LBB55_943
; %bb.942:
	v_trunc_f32_e32 v2, s2
	s_mov_b32 s0, 0
	s_delay_alu instid0(VALU_DEP_1) | instskip(SKIP_1) | instid1(VALU_DEP_2)
	v_mul_f32_e64 v3, 0x2f800000, |v2|
	v_ashrrev_i32_e32 v5, 31, v2
	v_floor_f32_e32 v3, v3
	s_delay_alu instid0(VALU_DEP_1) | instskip(SKIP_1) | instid1(VALU_DEP_2)
	v_fma_f32 v4, 0xcf800000, v3, |v2|
	v_cvt_u32_f32_e32 v3, v3
	v_cvt_u32_f32_e32 v2, v4
	s_delay_alu instid0(VALU_DEP_2) | instskip(NEXT) | instid1(VALU_DEP_2)
	v_xor_b32_e32 v3, v3, v5
	v_xor_b32_e32 v2, v2, v5
	s_delay_alu instid0(VALU_DEP_1) | instskip(NEXT) | instid1(VALU_DEP_3)
	v_sub_co_u32 v2, vcc_lo, v2, v5
	v_sub_co_ci_u32_e32 v3, vcc_lo, v3, v5, vcc_lo
	global_store_b64 v[0:1], v[2:3], off
.LBB55_943:
	s_and_not1_b32 vcc_lo, exec_lo, s0
	s_cbranch_vccnz .LBB55_945
; %bb.944:
	v_cvt_i32_f32_e32 v2, s2
	global_store_b32 v[0:1], v2, off
.LBB55_945:
	s_mov_b32 s0, 0
.LBB55_946:
	s_delay_alu instid0(SALU_CYCLE_1)
	s_and_not1_b32 vcc_lo, exec_lo, s0
	s_cbranch_vccnz .LBB55_948
; %bb.947:
	v_cvt_i32_f32_e32 v2, s2
	global_store_b16 v[0:1], v2, off
.LBB55_948:
	s_mov_b32 s0, 0
.LBB55_949:
	s_delay_alu instid0(SALU_CYCLE_1)
	s_and_not1_b32 vcc_lo, exec_lo, s0
	s_cbranch_vccnz .LBB55_954
; %bb.950:
	v_cmp_gt_i16_e64 s0, s3, 0
	s_delay_alu instid0(VALU_DEP_1)
	s_and_b32 vcc_lo, exec_lo, s0
	s_mov_b32 s0, -1
	s_cbranch_vccz .LBB55_952
; %bb.951:
	v_cvt_i32_f32_e32 v2, s2
	s_mov_b32 s0, 0
	global_store_b8 v[0:1], v2, off
.LBB55_952:
	s_and_not1_b32 vcc_lo, exec_lo, s0
	s_cbranch_vccnz .LBB55_954
; %bb.953:
	v_trunc_f32_e32 v2, s2
	s_delay_alu instid0(VALU_DEP_1) | instskip(NEXT) | instid1(VALU_DEP_1)
	v_mul_f32_e64 v3, 0x2f800000, |v2|
	v_floor_f32_e32 v3, v3
	s_delay_alu instid0(VALU_DEP_1) | instskip(SKIP_1) | instid1(VALU_DEP_2)
	v_fma_f32 v3, 0xcf800000, v3, |v2|
	v_ashrrev_i32_e32 v2, 31, v2
	v_cvt_u32_f32_e32 v3, v3
	s_delay_alu instid0(VALU_DEP_1) | instskip(NEXT) | instid1(VALU_DEP_1)
	v_xor_b32_e32 v3, v3, v2
	v_sub_nc_u32_e32 v2, v3, v2
	global_store_b8 v[0:1], v2, off
	s_nop 0
	s_sendmsg sendmsg(MSG_DEALLOC_VGPRS)
	s_endpgm
.LBB55_954:
	s_nop 0
	s_sendmsg sendmsg(MSG_DEALLOC_VGPRS)
	s_endpgm
.LBB55_955:
	s_mov_b32 s0, 0
	s_branch .LBB55_970
.LBB55_956:
	s_mov_b32 s0, 0
	s_branch .LBB55_966
.LBB55_957:
	s_cbranch_execnz .LBB55_981
; %bb.958:
	s_or_b32 s4, s4, exec_lo
	s_cbranch_execz .LBB55_860
	s_branch .LBB55_861
.LBB55_959:
	s_mov_b32 s0, 0
.LBB55_960:
	s_and_b32 vcc_lo, exec_lo, s1
	s_cbranch_vccz .LBB55_965
; %bb.961:
	v_cmp_eq_u16_e64 s0, s3, 44
	s_delay_alu instid0(VALU_DEP_1)
	s_and_b32 vcc_lo, exec_lo, s0
	s_mov_b32 s0, -1
	s_cbranch_vccz .LBB55_965
; %bb.962:
	v_mov_b32_e32 v2, 0xff
	s_bfe_u32 s0, s2, 0x80017
	s_delay_alu instid0(SALU_CYCLE_1)
	s_cmpk_eq_i32 s0, 0xff
	s_cbranch_scc1 .LBB55_964
; %bb.963:
	s_lshr_b32 s1, s2, 23
	s_bitcmp1_b32 s2, 22
	s_cselect_b32 s8, -1, 0
	s_and_b32 s9, s2, 0x3fffff
	s_delay_alu instid0(SALU_CYCLE_1) | instskip(NEXT) | instid1(SALU_CYCLE_1)
	s_or_b32 s0, s0, s9
	s_cmp_lg_u32 s0, 0
	s_cselect_b32 s0, -1, 0
	s_delay_alu instid0(SALU_CYCLE_1) | instskip(NEXT) | instid1(SALU_CYCLE_1)
	s_and_b32 s0, s8, s0
	v_cndmask_b32_e64 v2, 0, 1, s0
	s_delay_alu instid0(VALU_DEP_1)
	v_add_nc_u32_e32 v2, s1, v2
.LBB55_964:
	s_mov_b32 s0, 0
	global_store_b8 v[0:1], v2, off
.LBB55_965:
	s_mov_b32 s1, 0
.LBB55_966:
	s_delay_alu instid0(SALU_CYCLE_1)
	s_and_b32 vcc_lo, exec_lo, s1
	s_cbranch_vccz .LBB55_969
; %bb.967:
	v_cmp_eq_u16_e64 s0, s3, 29
	s_delay_alu instid0(VALU_DEP_1)
	s_and_b32 vcc_lo, exec_lo, s0
	s_mov_b32 s0, -1
	s_cbranch_vccz .LBB55_969
; %bb.968:
	v_trunc_f32_e32 v2, s2
	s_mov_b32 s0, 0
	s_delay_alu instid0(VALU_DEP_1) | instskip(NEXT) | instid1(VALU_DEP_1)
	v_mul_f32_e32 v3, 0x2f800000, v2
	v_floor_f32_e32 v3, v3
	s_delay_alu instid0(VALU_DEP_1) | instskip(SKIP_1) | instid1(VALU_DEP_2)
	v_fmamk_f32 v2, v3, 0xcf800000, v2
	v_cvt_u32_f32_e32 v3, v3
	v_cvt_u32_f32_e32 v2, v2
	global_store_b64 v[0:1], v[2:3], off
.LBB55_969:
	s_mov_b32 s1, 0
.LBB55_970:
	s_delay_alu instid0(SALU_CYCLE_1)
	s_and_b32 vcc_lo, exec_lo, s1
	s_cbranch_vccz .LBB55_989
; %bb.971:
	v_cmp_lt_i16_e64 s1, s3, 27
	s_delay_alu instid0(VALU_DEP_1)
	s_and_b32 vcc_lo, exec_lo, s1
	s_mov_b32 s1, -1
	s_cbranch_vccnz .LBB55_977
; %bb.972:
	v_cmp_gt_i16_e64 s1, s3, 27
	v_cvt_u32_f32_e32 v2, s2
	s_delay_alu instid0(VALU_DEP_2)
	s_and_b32 vcc_lo, exec_lo, s1
	s_mov_b32 s1, -1
	s_cbranch_vccz .LBB55_974
; %bb.973:
	s_mov_b32 s1, 0
	global_store_b32 v[0:1], v2, off
.LBB55_974:
	s_and_not1_b32 vcc_lo, exec_lo, s1
	s_cbranch_vccnz .LBB55_976
; %bb.975:
	global_store_b16 v[0:1], v2, off
.LBB55_976:
	s_mov_b32 s1, 0
.LBB55_977:
	s_delay_alu instid0(SALU_CYCLE_1)
	s_and_not1_b32 vcc_lo, exec_lo, s1
	s_cbranch_vccnz .LBB55_989
; %bb.978:
	v_mov_b32_e32 v3, 0x80
	s_and_b32 s1, s2, 0x7fffffff
	s_delay_alu instid0(SALU_CYCLE_1)
	s_cmp_gt_u32 s1, 0x437fffff
	s_cbranch_scc1 .LBB55_988
; %bb.979:
	s_cmp_gt_u32 s1, 0x3bffffff
	s_cbranch_scc0 .LBB55_983
; %bb.980:
	s_bfe_u32 s1, s2, 0x10014
	s_mov_b32 s8, 0
	s_add_i32 s1, s2, s1
	s_delay_alu instid0(SALU_CYCLE_1) | instskip(NEXT) | instid1(SALU_CYCLE_1)
	s_add_i32 s1, s1, 0x487ffff
	s_lshr_b32 s9, s1, 20
	s_mov_b32 s1, -1
	s_branch .LBB55_984
.LBB55_981:
	s_trap 2
	s_sendmsg_rtn_b32 s0, sendmsg(MSG_RTN_GET_DOORBELL)
	s_mov_b32 ttmp2, m0
	s_waitcnt lgkmcnt(0)
	s_and_b32 s0, s0, 0x3ff
	s_delay_alu instid0(SALU_CYCLE_1) | instskip(NEXT) | instid1(SALU_CYCLE_1)
	s_bitset1_b32 s0, 10
	s_mov_b32 m0, s0
	s_sendmsg sendmsg(MSG_INTERRUPT)
	s_mov_b32 m0, ttmp2
.LBB55_982:                             ; =>This Inner Loop Header: Depth=1
	s_sethalt 5
	s_branch .LBB55_982
.LBB55_983:
	s_mov_b32 s8, -1
	s_mov_b32 s1, 0
                                        ; implicit-def: $sgpr9
.LBB55_984:
	v_mov_b32_e32 v2, s9
	s_and_not1_b32 vcc_lo, exec_lo, s8
                                        ; implicit-def: $sgpr8
	s_cbranch_vccnz .LBB55_986
; %bb.985:
	v_add_f32_e64 v2, 0x46000000, |s2|
	s_mov_b32 s8, 0
	s_delay_alu instid0(VALU_DEP_1) | instskip(NEXT) | instid1(VALU_DEP_1)
	v_and_b32_e32 v2, 0xff, v2
	v_cmp_ne_u32_e64 s1, 0, v2
.LBB55_986:
	v_mov_b32_e32 v3, s8
	s_delay_alu instid0(VALU_DEP_2)
	s_and_not1_b32 vcc_lo, exec_lo, s1
	s_cbranch_vccnz .LBB55_988
; %bb.987:
	s_lshr_b32 s1, s2, 24
	s_delay_alu instid0(SALU_CYCLE_1) | instskip(NEXT) | instid1(SALU_CYCLE_1)
	s_and_b32 s1, s1, 0x80
	v_or_b32_e32 v3, s1, v2
.LBB55_988:
	global_store_b8 v[0:1], v3, off
.LBB55_989:
	s_mov_b32 s1, 0
.LBB55_990:
	s_delay_alu instid0(SALU_CYCLE_1)
	s_and_b32 vcc_lo, exec_lo, s1
	s_cbranch_vccz .LBB55_1036
; %bb.991:
	v_cmp_gt_i16_e64 s1, s3, 22
	s_delay_alu instid0(VALU_DEP_1)
	s_and_b32 vcc_lo, exec_lo, s1
	s_mov_b32 s1, -1
	s_cbranch_vccz .LBB55_1029
; %bb.992:
	v_cmp_lt_i16_e64 s1, s3, 24
	s_delay_alu instid0(VALU_DEP_1)
	s_and_b32 vcc_lo, exec_lo, s1
	s_mov_b32 s1, -1
	s_cbranch_vccnz .LBB55_1016
; %bb.993:
	v_cmp_gt_i16_e64 s1, s3, 24
	s_delay_alu instid0(VALU_DEP_1)
	s_and_b32 vcc_lo, exec_lo, s1
	s_mov_b32 s1, -1
	s_cbranch_vccz .LBB55_1003
; %bb.994:
	v_mov_b32_e32 v3, 0x80
	s_and_b32 s1, s2, 0x7fffffff
	s_delay_alu instid0(SALU_CYCLE_1)
	s_cmp_gt_u32 s1, 0x477fffff
	s_cbranch_scc1 .LBB55_1002
; %bb.995:
	s_cmp_gt_u32 s1, 0x37ffffff
	s_cbranch_scc0 .LBB55_997
; %bb.996:
	s_bfe_u32 s1, s2, 0x10015
	s_delay_alu instid0(SALU_CYCLE_1) | instskip(NEXT) | instid1(SALU_CYCLE_1)
	s_add_i32 s1, s2, s1
	s_add_i32 s1, s1, 0x88fffff
	s_delay_alu instid0(SALU_CYCLE_1)
	s_lshr_b32 s8, s1, 21
	s_mov_b32 s1, -1
	s_branch .LBB55_998
.LBB55_997:
	s_mov_b32 s5, -1
	s_mov_b32 s1, 0
                                        ; implicit-def: $sgpr8
.LBB55_998:
	v_mov_b32_e32 v2, s8
	s_and_not1_b32 vcc_lo, exec_lo, s5
                                        ; implicit-def: $sgpr5
	s_cbranch_vccnz .LBB55_1000
; %bb.999:
	v_add_f32_e64 v2, 0x42800000, |s2|
	s_mov_b32 s5, 0
	s_delay_alu instid0(VALU_DEP_1) | instskip(NEXT) | instid1(VALU_DEP_1)
	v_and_b32_e32 v2, 0xff, v2
	v_cmp_ne_u32_e64 s1, 0, v2
.LBB55_1000:
	v_mov_b32_e32 v3, s5
	s_delay_alu instid0(VALU_DEP_2)
	s_and_not1_b32 vcc_lo, exec_lo, s1
	s_cbranch_vccnz .LBB55_1002
; %bb.1001:
	s_lshr_b32 s1, s2, 24
	s_delay_alu instid0(SALU_CYCLE_1) | instskip(NEXT) | instid1(SALU_CYCLE_1)
	s_and_b32 s1, s1, 0x80
	v_or_b32_e32 v3, s1, v2
.LBB55_1002:
	s_mov_b32 s1, 0
	global_store_b8 v[0:1], v3, off
.LBB55_1003:
	s_and_b32 vcc_lo, exec_lo, s1
	s_cbranch_vccz .LBB55_1015
; %bb.1004:
	s_and_b32 s1, s2, 0x7fffffff
	s_delay_alu instid0(SALU_CYCLE_1)
	s_cmp_lt_u32 s1, 0x43f00000
	s_cbranch_scc0 .LBB55_1007
; %bb.1005:
	s_cmp_gt_u32 s1, 0x3c7fffff
	s_cbranch_scc0 .LBB55_1008
; %bb.1006:
	s_bfe_u32 s5, s2, 0x10014
	s_delay_alu instid0(SALU_CYCLE_1) | instskip(NEXT) | instid1(SALU_CYCLE_1)
	s_add_i32 s5, s2, s5
	s_add_i32 s5, s5, 0x407ffff
	s_delay_alu instid0(SALU_CYCLE_1)
	s_and_b32 s8, s5, 0xff00000
	s_lshr_b32 s5, s5, 20
	s_cmp_lg_u32 s8, 0x7f00000
	s_cselect_b32 s8, s5, 0x7e
	s_mov_b32 s5, 0
	s_branch .LBB55_1009
.LBB55_1007:
	s_mov_b32 s5, -1
                                        ; implicit-def: $vgpr2
	s_branch .LBB55_1012
.LBB55_1008:
	s_mov_b32 s5, -1
                                        ; implicit-def: $sgpr8
.LBB55_1009:
	v_mov_b32_e32 v2, s8
	s_and_not1_b32 vcc_lo, exec_lo, s5
	s_cbranch_vccnz .LBB55_1011
; %bb.1010:
	v_add_f32_e64 v2, 0x46800000, |s2|
.LBB55_1011:
	s_mov_b32 s5, 0
.LBB55_1012:
	s_delay_alu instid0(SALU_CYCLE_1)
	s_and_not1_b32 vcc_lo, exec_lo, s5
	s_cbranch_vccnz .LBB55_1014
; %bb.1013:
	s_cmp_gt_u32 s1, 0x7f800000
	s_movk_i32 s1, 0x7f
	s_delay_alu instid0(SALU_CYCLE_1) | instskip(NEXT) | instid1(SALU_CYCLE_1)
	s_cselect_b32 s1, s1, 0x7e
	v_mov_b32_e32 v2, s1
.LBB55_1014:
	s_lshr_b32 s1, s2, 24
	s_delay_alu instid0(SALU_CYCLE_1)
	s_and_b32 s1, s1, 0x80
	s_delay_alu instid0(VALU_DEP_1) | instid1(SALU_CYCLE_1)
	v_or_b32_e32 v2, s1, v2
	global_store_b8 v[0:1], v2, off
.LBB55_1015:
	s_mov_b32 s1, 0
.LBB55_1016:
	s_delay_alu instid0(SALU_CYCLE_1)
	s_and_not1_b32 vcc_lo, exec_lo, s1
	s_cbranch_vccnz .LBB55_1028
; %bb.1017:
	s_and_b32 s1, s2, 0x7fffffff
	s_delay_alu instid0(SALU_CYCLE_1)
	s_cmp_lt_u32 s1, 0x47800000
	s_cbranch_scc0 .LBB55_1020
; %bb.1018:
	s_cmp_gt_u32 s1, 0x387fffff
	s_cbranch_scc0 .LBB55_1021
; %bb.1019:
	s_bfe_u32 s5, s2, 0x10015
	s_delay_alu instid0(SALU_CYCLE_1) | instskip(NEXT) | instid1(SALU_CYCLE_1)
	s_add_i32 s5, s2, s5
	s_add_i32 s5, s5, 0x80fffff
	s_delay_alu instid0(SALU_CYCLE_1)
	s_lshr_b32 s8, s5, 21
	s_mov_b32 s5, 0
	s_branch .LBB55_1022
.LBB55_1020:
	s_mov_b32 s5, -1
                                        ; implicit-def: $vgpr2
	s_branch .LBB55_1025
.LBB55_1021:
	s_mov_b32 s5, -1
                                        ; implicit-def: $sgpr8
.LBB55_1022:
	v_mov_b32_e32 v2, s8
	s_and_not1_b32 vcc_lo, exec_lo, s5
	s_cbranch_vccnz .LBB55_1024
; %bb.1023:
	v_add_f32_e64 v2, 0x43000000, |s2|
.LBB55_1024:
	s_mov_b32 s5, 0
.LBB55_1025:
	s_delay_alu instid0(SALU_CYCLE_1)
	s_and_not1_b32 vcc_lo, exec_lo, s5
	s_cbranch_vccnz .LBB55_1027
; %bb.1026:
	s_cmp_gt_u32 s1, 0x7f800000
	s_movk_i32 s1, 0x7f
	s_delay_alu instid0(SALU_CYCLE_1) | instskip(NEXT) | instid1(SALU_CYCLE_1)
	s_cselect_b32 s1, s1, 0x7c
	v_mov_b32_e32 v2, s1
.LBB55_1027:
	s_lshr_b32 s1, s2, 24
	s_delay_alu instid0(SALU_CYCLE_1)
	s_and_b32 s1, s1, 0x80
	s_delay_alu instid0(VALU_DEP_1) | instid1(SALU_CYCLE_1)
	v_or_b32_e32 v2, s1, v2
	global_store_b8 v[0:1], v2, off
.LBB55_1028:
	s_mov_b32 s1, 0
.LBB55_1029:
	s_delay_alu instid0(SALU_CYCLE_1)
	s_and_not1_b32 vcc_lo, exec_lo, s1
	s_mov_b32 s5, 0
	s_cbranch_vccnz .LBB55_1036
; %bb.1030:
	v_cmp_gt_i16_e64 s1, s3, 14
	s_delay_alu instid0(VALU_DEP_1)
	s_and_b32 vcc_lo, exec_lo, s1
	s_mov_b32 s1, -1
	s_cbranch_vccz .LBB55_1034
; %bb.1031:
	v_cmp_eq_u16_e64 s0, s3, 15
	s_delay_alu instid0(VALU_DEP_1)
	s_and_b32 vcc_lo, exec_lo, s0
	s_mov_b32 s0, -1
	s_cbranch_vccz .LBB55_1033
; %bb.1032:
	s_bfe_u32 s0, s2, 0x10010
	v_cmp_o_f32_e64 s1, s2, s2
	s_add_i32 s0, s2, s0
	s_delay_alu instid0(SALU_CYCLE_1) | instskip(NEXT) | instid1(SALU_CYCLE_1)
	s_addk_i32 s0, 0x7fff
	s_lshr_b32 s0, s0, 16
	s_delay_alu instid0(VALU_DEP_1) | instskip(SKIP_1) | instid1(SALU_CYCLE_1)
	s_and_b32 s1, s1, exec_lo
	s_cselect_b32 s0, s0, 0x7fc0
	v_mov_b32_e32 v2, s0
	s_mov_b32 s0, 0
	global_store_b16 v[0:1], v2, off
.LBB55_1033:
	s_mov_b32 s1, 0
.LBB55_1034:
	s_delay_alu instid0(SALU_CYCLE_1)
	s_and_b32 vcc_lo, exec_lo, s1
	s_cbranch_vccz .LBB55_1036
; %bb.1035:
	v_cmp_ne_u16_e64 s0, s3, 11
	s_mov_b32 s5, -1
.LBB55_1036:
	s_delay_alu instid0(VALU_DEP_1)
	s_and_b32 vcc_lo, exec_lo, s0
	s_cbranch_vccnz .LBB55_1038
.LBB55_1037:
	s_mov_b32 s0, 0
	s_branch .LBB55_911
.LBB55_1038:
	s_cbranch_execnz .LBB55_1040
; %bb.1039:
	s_mov_b32 s5, 0
	s_or_b32 s4, s4, exec_lo
	s_branch .LBB55_1037
.LBB55_1040:
	s_trap 2
	s_sendmsg_rtn_b32 s0, sendmsg(MSG_RTN_GET_DOORBELL)
	s_mov_b32 ttmp2, m0
	s_waitcnt lgkmcnt(0)
	s_and_b32 s0, s0, 0x3ff
	s_delay_alu instid0(SALU_CYCLE_1) | instskip(NEXT) | instid1(SALU_CYCLE_1)
	s_bitset1_b32 s0, 10
	s_mov_b32 m0, s0
	s_sendmsg sendmsg(MSG_INTERRUPT)
	s_mov_b32 m0, ttmp2
.LBB55_1041:                            ; =>This Inner Loop Header: Depth=1
	s_sethalt 5
	s_branch .LBB55_1041
	.section	.rodata,"a",@progbits
	.p2align	6, 0x0
	.amdhsa_kernel _ZN2at6native32elementwise_kernel_manual_unrollILi128ELi4EZNS0_15gpu_kernel_implINS0_11FillFunctorIfEEEEvRNS_18TensorIteratorBaseERKT_EUlibE0_EEviT1_
		.amdhsa_group_segment_fixed_size 0
		.amdhsa_private_segment_fixed_size 0
		.amdhsa_kernarg_size 288
		.amdhsa_user_sgpr_count 15
		.amdhsa_user_sgpr_dispatch_ptr 0
		.amdhsa_user_sgpr_queue_ptr 0
		.amdhsa_user_sgpr_kernarg_segment_ptr 1
		.amdhsa_user_sgpr_dispatch_id 0
		.amdhsa_user_sgpr_private_segment_size 0
		.amdhsa_wavefront_size32 1
		.amdhsa_uses_dynamic_stack 0
		.amdhsa_enable_private_segment 0
		.amdhsa_system_sgpr_workgroup_id_x 1
		.amdhsa_system_sgpr_workgroup_id_y 0
		.amdhsa_system_sgpr_workgroup_id_z 0
		.amdhsa_system_sgpr_workgroup_info 0
		.amdhsa_system_vgpr_workitem_id 0
		.amdhsa_next_free_vgpr 22
		.amdhsa_next_free_sgpr 80
		.amdhsa_reserve_vcc 1
		.amdhsa_float_round_mode_32 0
		.amdhsa_float_round_mode_16_64 0
		.amdhsa_float_denorm_mode_32 3
		.amdhsa_float_denorm_mode_16_64 3
		.amdhsa_dx10_clamp 1
		.amdhsa_ieee_mode 1
		.amdhsa_fp16_overflow 0
		.amdhsa_workgroup_processor_mode 1
		.amdhsa_memory_ordered 1
		.amdhsa_forward_progress 0
		.amdhsa_shared_vgpr_count 0
		.amdhsa_exception_fp_ieee_invalid_op 0
		.amdhsa_exception_fp_denorm_src 0
		.amdhsa_exception_fp_ieee_div_zero 0
		.amdhsa_exception_fp_ieee_overflow 0
		.amdhsa_exception_fp_ieee_underflow 0
		.amdhsa_exception_fp_ieee_inexact 0
		.amdhsa_exception_int_div_zero 0
	.end_amdhsa_kernel
	.section	.text._ZN2at6native32elementwise_kernel_manual_unrollILi128ELi4EZNS0_15gpu_kernel_implINS0_11FillFunctorIfEEEEvRNS_18TensorIteratorBaseERKT_EUlibE0_EEviT1_,"axG",@progbits,_ZN2at6native32elementwise_kernel_manual_unrollILi128ELi4EZNS0_15gpu_kernel_implINS0_11FillFunctorIfEEEEvRNS_18TensorIteratorBaseERKT_EUlibE0_EEviT1_,comdat
.Lfunc_end55:
	.size	_ZN2at6native32elementwise_kernel_manual_unrollILi128ELi4EZNS0_15gpu_kernel_implINS0_11FillFunctorIfEEEEvRNS_18TensorIteratorBaseERKT_EUlibE0_EEviT1_, .Lfunc_end55-_ZN2at6native32elementwise_kernel_manual_unrollILi128ELi4EZNS0_15gpu_kernel_implINS0_11FillFunctorIfEEEEvRNS_18TensorIteratorBaseERKT_EUlibE0_EEviT1_
                                        ; -- End function
	.section	.AMDGPU.csdata,"",@progbits
; Kernel info:
; codeLenInByte = 21028
; NumSgprs: 82
; NumVgprs: 22
; ScratchSize: 0
; MemoryBound: 0
; FloatMode: 240
; IeeeMode: 1
; LDSByteSize: 0 bytes/workgroup (compile time only)
; SGPRBlocks: 10
; VGPRBlocks: 2
; NumSGPRsForWavesPerEU: 82
; NumVGPRsForWavesPerEU: 22
; Occupancy: 16
; WaveLimiterHint : 1
; COMPUTE_PGM_RSRC2:SCRATCH_EN: 0
; COMPUTE_PGM_RSRC2:USER_SGPR: 15
; COMPUTE_PGM_RSRC2:TRAP_HANDLER: 0
; COMPUTE_PGM_RSRC2:TGID_X_EN: 1
; COMPUTE_PGM_RSRC2:TGID_Y_EN: 0
; COMPUTE_PGM_RSRC2:TGID_Z_EN: 0
; COMPUTE_PGM_RSRC2:TIDIG_COMP_CNT: 0
	.section	.text._ZN2at6native29vectorized_elementwise_kernelILi16ENS0_11FillFunctorIN3c107complexIdEEEESt5arrayIPcLm1EEEEviT0_T1_,"axG",@progbits,_ZN2at6native29vectorized_elementwise_kernelILi16ENS0_11FillFunctorIN3c107complexIdEEEESt5arrayIPcLm1EEEEviT0_T1_,comdat
	.protected	_ZN2at6native29vectorized_elementwise_kernelILi16ENS0_11FillFunctorIN3c107complexIdEEEESt5arrayIPcLm1EEEEviT0_T1_ ; -- Begin function _ZN2at6native29vectorized_elementwise_kernelILi16ENS0_11FillFunctorIN3c107complexIdEEEESt5arrayIPcLm1EEEEviT0_T1_
	.globl	_ZN2at6native29vectorized_elementwise_kernelILi16ENS0_11FillFunctorIN3c107complexIdEEEESt5arrayIPcLm1EEEEviT0_T1_
	.p2align	8
	.type	_ZN2at6native29vectorized_elementwise_kernelILi16ENS0_11FillFunctorIN3c107complexIdEEEESt5arrayIPcLm1EEEEviT0_T1_,@function
_ZN2at6native29vectorized_elementwise_kernelILi16ENS0_11FillFunctorIN3c107complexIdEEEESt5arrayIPcLm1EEEEviT0_T1_: ; @_ZN2at6native29vectorized_elementwise_kernelILi16ENS0_11FillFunctorIN3c107complexIdEEEESt5arrayIPcLm1EEEEviT0_T1_
; %bb.0:
	s_clause 0x2
	s_load_b32 s3, s[0:1], 0x0
	s_load_b128 s[4:7], s[0:1], 0x10
	s_load_b64 s[0:1], s[0:1], 0x20
	s_lshl_b32 s2, s15, 10
	s_waitcnt lgkmcnt(0)
	s_sub_i32 s8, s3, s2
	s_mov_b32 s3, -1
	s_cmpk_gt_i32 s8, 0x3ff
	s_cbranch_scc0 .LBB56_2
; %bb.1:
	s_ashr_i32 s3, s2, 31
	v_dual_mov_b32 v1, s4 :: v_dual_mov_b32 v4, s7
	v_dual_mov_b32 v2, s5 :: v_dual_lshlrev_b32 v5, 6, v0
	v_mov_b32_e32 v3, s6
	s_lshl_b64 s[10:11], s[2:3], 4
	s_mov_b32 s3, 0
	s_add_u32 s10, s0, s10
	s_addc_u32 s11, s1, s11
	s_clause 0x3
	global_store_b128 v5, v[1:4], s[10:11]
	global_store_b128 v5, v[1:4], s[10:11] offset:16
	global_store_b128 v5, v[1:4], s[10:11] offset:32
	global_store_b128 v5, v[1:4], s[10:11] offset:48
.LBB56_2:
	s_and_not1_b32 vcc_lo, exec_lo, s3
	s_cbranch_vccnz .LBB56_8
; %bb.3:
	v_or_b32_e32 v2, 0x100, v0
	v_mov_b32_e32 v1, v0
	s_mov_b32 s3, exec_lo
	v_cmpx_gt_i32_e64 s8, v0
	s_cbranch_execnz .LBB56_9
; %bb.4:
	s_or_b32 exec_lo, exec_lo, s3
	s_delay_alu instid0(SALU_CYCLE_1)
	s_mov_b32 s3, exec_lo
	v_cmpx_gt_i32_e64 s8, v1
	s_cbranch_execnz .LBB56_10
.LBB56_5:
	s_or_b32 exec_lo, exec_lo, s3
	s_delay_alu instid0(SALU_CYCLE_1)
	s_mov_b32 s3, exec_lo
	v_cmpx_gt_i32_e64 s8, v1
	s_cbranch_execnz .LBB56_11
.LBB56_6:
	s_or_b32 exec_lo, exec_lo, s3
	s_delay_alu instid0(SALU_CYCLE_1)
	s_mov_b32 s3, exec_lo
	v_cmpx_gt_i32_e64 s8, v1
	s_cbranch_execz .LBB56_8
.LBB56_7:
	v_or_b32_e32 v2, 0x300, v0
	v_dual_mov_b32 v1, 0 :: v_dual_add_nc_u32 v0, s2, v1
	s_delay_alu instid0(VALU_DEP_2) | instskip(NEXT) | instid1(VALU_DEP_2)
	v_cmp_gt_i32_e32 vcc_lo, s8, v2
	v_lshlrev_b64 v[4:5], 4, v[0:1]
	v_cndmask_b32_e64 v3, 0, s7, vcc_lo
	v_cndmask_b32_e64 v2, 0, s6, vcc_lo
	;; [unrolled: 1-line block ×4, first 2 shown]
	v_add_co_u32 v4, vcc_lo, s0, v4
	v_add_co_ci_u32_e32 v5, vcc_lo, s1, v5, vcc_lo
	global_store_b128 v[4:5], v[0:3], off
.LBB56_8:
	s_nop 0
	s_sendmsg sendmsg(MSG_DEALLOC_VGPRS)
	s_endpgm
.LBB56_9:
	v_or_b32_e32 v3, s2, v0
	v_dual_mov_b32 v4, 0 :: v_dual_mov_b32 v5, s6
	v_mov_b32_e32 v1, v2
	s_delay_alu instid0(VALU_DEP_2) | instskip(SKIP_1) | instid1(VALU_DEP_2)
	v_lshlrev_b64 v[6:7], 4, v[3:4]
	v_dual_mov_b32 v3, s4 :: v_dual_mov_b32 v4, s5
	v_add_co_u32 v8, vcc_lo, s0, v6
	s_delay_alu instid0(VALU_DEP_3) | instskip(SKIP_3) | instid1(SALU_CYCLE_1)
	v_add_co_ci_u32_e32 v9, vcc_lo, s1, v7, vcc_lo
	v_mov_b32_e32 v6, s7
	global_store_b128 v[8:9], v[3:6], off
	s_or_b32 exec_lo, exec_lo, s3
	s_mov_b32 s3, exec_lo
	v_cmpx_gt_i32_e64 s8, v1
	s_cbranch_execz .LBB56_5
.LBB56_10:
	v_dual_mov_b32 v4, 0 :: v_dual_add_nc_u32 v3, s2, v1
	v_cmp_gt_i32_e32 vcc_lo, s8, v2
	v_add_nc_u32_e32 v1, 0x100, v1
	s_delay_alu instid0(VALU_DEP_3)
	v_lshlrev_b64 v[6:7], 4, v[3:4]
	v_cndmask_b32_e64 v5, 0, s7, vcc_lo
	v_cndmask_b32_e64 v4, 0, s6, vcc_lo
	;; [unrolled: 1-line block ×4, first 2 shown]
	v_add_co_u32 v6, vcc_lo, s0, v6
	v_add_co_ci_u32_e32 v7, vcc_lo, s1, v7, vcc_lo
	global_store_b128 v[6:7], v[2:5], off
	s_or_b32 exec_lo, exec_lo, s3
	s_delay_alu instid0(SALU_CYCLE_1)
	s_mov_b32 s3, exec_lo
	v_cmpx_gt_i32_e64 s8, v1
	s_cbranch_execz .LBB56_6
.LBB56_11:
	v_dual_mov_b32 v3, 0 :: v_dual_add_nc_u32 v2, s2, v1
	v_or_b32_e32 v4, 0x200, v0
	v_add_nc_u32_e32 v1, 0x100, v1
	s_delay_alu instid0(VALU_DEP_3) | instskip(NEXT) | instid1(VALU_DEP_3)
	v_lshlrev_b64 v[6:7], 4, v[2:3]
	v_cmp_gt_i32_e32 vcc_lo, s8, v4
	v_cndmask_b32_e64 v5, 0, s7, vcc_lo
	v_cndmask_b32_e64 v4, 0, s6, vcc_lo
	;; [unrolled: 1-line block ×4, first 2 shown]
	v_add_co_u32 v6, vcc_lo, s0, v6
	v_add_co_ci_u32_e32 v7, vcc_lo, s1, v7, vcc_lo
	global_store_b128 v[6:7], v[2:5], off
	s_or_b32 exec_lo, exec_lo, s3
	s_delay_alu instid0(SALU_CYCLE_1)
	s_mov_b32 s3, exec_lo
	v_cmpx_gt_i32_e64 s8, v1
	s_cbranch_execnz .LBB56_7
	s_branch .LBB56_8
	.section	.rodata,"a",@progbits
	.p2align	6, 0x0
	.amdhsa_kernel _ZN2at6native29vectorized_elementwise_kernelILi16ENS0_11FillFunctorIN3c107complexIdEEEESt5arrayIPcLm1EEEEviT0_T1_
		.amdhsa_group_segment_fixed_size 0
		.amdhsa_private_segment_fixed_size 0
		.amdhsa_kernarg_size 40
		.amdhsa_user_sgpr_count 15
		.amdhsa_user_sgpr_dispatch_ptr 0
		.amdhsa_user_sgpr_queue_ptr 0
		.amdhsa_user_sgpr_kernarg_segment_ptr 1
		.amdhsa_user_sgpr_dispatch_id 0
		.amdhsa_user_sgpr_private_segment_size 0
		.amdhsa_wavefront_size32 1
		.amdhsa_uses_dynamic_stack 0
		.amdhsa_enable_private_segment 0
		.amdhsa_system_sgpr_workgroup_id_x 1
		.amdhsa_system_sgpr_workgroup_id_y 0
		.amdhsa_system_sgpr_workgroup_id_z 0
		.amdhsa_system_sgpr_workgroup_info 0
		.amdhsa_system_vgpr_workitem_id 0
		.amdhsa_next_free_vgpr 10
		.amdhsa_next_free_sgpr 16
		.amdhsa_reserve_vcc 1
		.amdhsa_float_round_mode_32 0
		.amdhsa_float_round_mode_16_64 0
		.amdhsa_float_denorm_mode_32 3
		.amdhsa_float_denorm_mode_16_64 3
		.amdhsa_dx10_clamp 1
		.amdhsa_ieee_mode 1
		.amdhsa_fp16_overflow 0
		.amdhsa_workgroup_processor_mode 1
		.amdhsa_memory_ordered 1
		.amdhsa_forward_progress 0
		.amdhsa_shared_vgpr_count 0
		.amdhsa_exception_fp_ieee_invalid_op 0
		.amdhsa_exception_fp_denorm_src 0
		.amdhsa_exception_fp_ieee_div_zero 0
		.amdhsa_exception_fp_ieee_overflow 0
		.amdhsa_exception_fp_ieee_underflow 0
		.amdhsa_exception_fp_ieee_inexact 0
		.amdhsa_exception_int_div_zero 0
	.end_amdhsa_kernel
	.section	.text._ZN2at6native29vectorized_elementwise_kernelILi16ENS0_11FillFunctorIN3c107complexIdEEEESt5arrayIPcLm1EEEEviT0_T1_,"axG",@progbits,_ZN2at6native29vectorized_elementwise_kernelILi16ENS0_11FillFunctorIN3c107complexIdEEEESt5arrayIPcLm1EEEEviT0_T1_,comdat
.Lfunc_end56:
	.size	_ZN2at6native29vectorized_elementwise_kernelILi16ENS0_11FillFunctorIN3c107complexIdEEEESt5arrayIPcLm1EEEEviT0_T1_, .Lfunc_end56-_ZN2at6native29vectorized_elementwise_kernelILi16ENS0_11FillFunctorIN3c107complexIdEEEESt5arrayIPcLm1EEEEviT0_T1_
                                        ; -- End function
	.section	.AMDGPU.csdata,"",@progbits
; Kernel info:
; codeLenInByte = 644
; NumSgprs: 18
; NumVgprs: 10
; ScratchSize: 0
; MemoryBound: 0
; FloatMode: 240
; IeeeMode: 1
; LDSByteSize: 0 bytes/workgroup (compile time only)
; SGPRBlocks: 2
; VGPRBlocks: 1
; NumSGPRsForWavesPerEU: 18
; NumVGPRsForWavesPerEU: 10
; Occupancy: 16
; WaveLimiterHint : 0
; COMPUTE_PGM_RSRC2:SCRATCH_EN: 0
; COMPUTE_PGM_RSRC2:USER_SGPR: 15
; COMPUTE_PGM_RSRC2:TRAP_HANDLER: 0
; COMPUTE_PGM_RSRC2:TGID_X_EN: 1
; COMPUTE_PGM_RSRC2:TGID_Y_EN: 0
; COMPUTE_PGM_RSRC2:TGID_Z_EN: 0
; COMPUTE_PGM_RSRC2:TIDIG_COMP_CNT: 0
	.section	.text._ZN2at6native29vectorized_elementwise_kernelILi8ENS0_11FillFunctorIN3c107complexIdEEEESt5arrayIPcLm1EEEEviT0_T1_,"axG",@progbits,_ZN2at6native29vectorized_elementwise_kernelILi8ENS0_11FillFunctorIN3c107complexIdEEEESt5arrayIPcLm1EEEEviT0_T1_,comdat
	.protected	_ZN2at6native29vectorized_elementwise_kernelILi8ENS0_11FillFunctorIN3c107complexIdEEEESt5arrayIPcLm1EEEEviT0_T1_ ; -- Begin function _ZN2at6native29vectorized_elementwise_kernelILi8ENS0_11FillFunctorIN3c107complexIdEEEESt5arrayIPcLm1EEEEviT0_T1_
	.globl	_ZN2at6native29vectorized_elementwise_kernelILi8ENS0_11FillFunctorIN3c107complexIdEEEESt5arrayIPcLm1EEEEviT0_T1_
	.p2align	8
	.type	_ZN2at6native29vectorized_elementwise_kernelILi8ENS0_11FillFunctorIN3c107complexIdEEEESt5arrayIPcLm1EEEEviT0_T1_,@function
_ZN2at6native29vectorized_elementwise_kernelILi8ENS0_11FillFunctorIN3c107complexIdEEEESt5arrayIPcLm1EEEEviT0_T1_: ; @_ZN2at6native29vectorized_elementwise_kernelILi8ENS0_11FillFunctorIN3c107complexIdEEEESt5arrayIPcLm1EEEEviT0_T1_
; %bb.0:
	s_clause 0x2
	s_load_b32 s3, s[0:1], 0x0
	s_load_b128 s[4:7], s[0:1], 0x10
	s_load_b64 s[0:1], s[0:1], 0x20
	s_lshl_b32 s2, s15, 10
	s_waitcnt lgkmcnt(0)
	s_sub_i32 s8, s3, s2
	s_mov_b32 s3, -1
	s_cmpk_gt_i32 s8, 0x3ff
	s_cbranch_scc0 .LBB57_2
; %bb.1:
	s_ashr_i32 s3, s2, 31
	v_dual_mov_b32 v1, s4 :: v_dual_mov_b32 v4, s7
	v_dual_mov_b32 v2, s5 :: v_dual_lshlrev_b32 v5, 6, v0
	v_mov_b32_e32 v3, s6
	s_lshl_b64 s[10:11], s[2:3], 4
	s_mov_b32 s3, 0
	s_add_u32 s10, s0, s10
	s_addc_u32 s11, s1, s11
	s_clause 0x3
	global_store_b128 v5, v[1:4], s[10:11]
	global_store_b128 v5, v[1:4], s[10:11] offset:16
	global_store_b128 v5, v[1:4], s[10:11] offset:32
	;; [unrolled: 1-line block ×3, first 2 shown]
.LBB57_2:
	s_and_not1_b32 vcc_lo, exec_lo, s3
	s_cbranch_vccnz .LBB57_8
; %bb.3:
	v_or_b32_e32 v2, 0x100, v0
	v_mov_b32_e32 v1, v0
	s_mov_b32 s3, exec_lo
	v_cmpx_gt_i32_e64 s8, v0
	s_cbranch_execnz .LBB57_9
; %bb.4:
	s_or_b32 exec_lo, exec_lo, s3
	s_delay_alu instid0(SALU_CYCLE_1)
	s_mov_b32 s3, exec_lo
	v_cmpx_gt_i32_e64 s8, v1
	s_cbranch_execnz .LBB57_10
.LBB57_5:
	s_or_b32 exec_lo, exec_lo, s3
	s_delay_alu instid0(SALU_CYCLE_1)
	s_mov_b32 s3, exec_lo
	v_cmpx_gt_i32_e64 s8, v1
	s_cbranch_execnz .LBB57_11
.LBB57_6:
	s_or_b32 exec_lo, exec_lo, s3
	s_delay_alu instid0(SALU_CYCLE_1)
	s_mov_b32 s3, exec_lo
	v_cmpx_gt_i32_e64 s8, v1
	s_cbranch_execz .LBB57_8
.LBB57_7:
	v_or_b32_e32 v2, 0x300, v0
	v_dual_mov_b32 v1, 0 :: v_dual_add_nc_u32 v0, s2, v1
	s_delay_alu instid0(VALU_DEP_2) | instskip(NEXT) | instid1(VALU_DEP_2)
	v_cmp_gt_i32_e32 vcc_lo, s8, v2
	v_lshlrev_b64 v[4:5], 4, v[0:1]
	v_cndmask_b32_e64 v3, 0, s7, vcc_lo
	v_cndmask_b32_e64 v2, 0, s6, vcc_lo
	;; [unrolled: 1-line block ×4, first 2 shown]
	v_add_co_u32 v4, vcc_lo, s0, v4
	v_add_co_ci_u32_e32 v5, vcc_lo, s1, v5, vcc_lo
	global_store_b128 v[4:5], v[0:3], off
.LBB57_8:
	s_nop 0
	s_sendmsg sendmsg(MSG_DEALLOC_VGPRS)
	s_endpgm
.LBB57_9:
	v_or_b32_e32 v3, s2, v0
	v_dual_mov_b32 v4, 0 :: v_dual_mov_b32 v5, s6
	v_mov_b32_e32 v1, v2
	s_delay_alu instid0(VALU_DEP_2) | instskip(SKIP_1) | instid1(VALU_DEP_2)
	v_lshlrev_b64 v[6:7], 4, v[3:4]
	v_dual_mov_b32 v3, s4 :: v_dual_mov_b32 v4, s5
	v_add_co_u32 v8, vcc_lo, s0, v6
	s_delay_alu instid0(VALU_DEP_3) | instskip(SKIP_3) | instid1(SALU_CYCLE_1)
	v_add_co_ci_u32_e32 v9, vcc_lo, s1, v7, vcc_lo
	v_mov_b32_e32 v6, s7
	global_store_b128 v[8:9], v[3:6], off
	s_or_b32 exec_lo, exec_lo, s3
	s_mov_b32 s3, exec_lo
	v_cmpx_gt_i32_e64 s8, v1
	s_cbranch_execz .LBB57_5
.LBB57_10:
	v_dual_mov_b32 v4, 0 :: v_dual_add_nc_u32 v3, s2, v1
	v_cmp_gt_i32_e32 vcc_lo, s8, v2
	v_add_nc_u32_e32 v1, 0x100, v1
	s_delay_alu instid0(VALU_DEP_3)
	v_lshlrev_b64 v[6:7], 4, v[3:4]
	v_cndmask_b32_e64 v5, 0, s7, vcc_lo
	v_cndmask_b32_e64 v4, 0, s6, vcc_lo
	;; [unrolled: 1-line block ×4, first 2 shown]
	v_add_co_u32 v6, vcc_lo, s0, v6
	v_add_co_ci_u32_e32 v7, vcc_lo, s1, v7, vcc_lo
	global_store_b128 v[6:7], v[2:5], off
	s_or_b32 exec_lo, exec_lo, s3
	s_delay_alu instid0(SALU_CYCLE_1)
	s_mov_b32 s3, exec_lo
	v_cmpx_gt_i32_e64 s8, v1
	s_cbranch_execz .LBB57_6
.LBB57_11:
	v_dual_mov_b32 v3, 0 :: v_dual_add_nc_u32 v2, s2, v1
	v_or_b32_e32 v4, 0x200, v0
	v_add_nc_u32_e32 v1, 0x100, v1
	s_delay_alu instid0(VALU_DEP_3) | instskip(NEXT) | instid1(VALU_DEP_3)
	v_lshlrev_b64 v[6:7], 4, v[2:3]
	v_cmp_gt_i32_e32 vcc_lo, s8, v4
	v_cndmask_b32_e64 v5, 0, s7, vcc_lo
	v_cndmask_b32_e64 v4, 0, s6, vcc_lo
	;; [unrolled: 1-line block ×4, first 2 shown]
	v_add_co_u32 v6, vcc_lo, s0, v6
	v_add_co_ci_u32_e32 v7, vcc_lo, s1, v7, vcc_lo
	global_store_b128 v[6:7], v[2:5], off
	s_or_b32 exec_lo, exec_lo, s3
	s_delay_alu instid0(SALU_CYCLE_1)
	s_mov_b32 s3, exec_lo
	v_cmpx_gt_i32_e64 s8, v1
	s_cbranch_execnz .LBB57_7
	s_branch .LBB57_8
	.section	.rodata,"a",@progbits
	.p2align	6, 0x0
	.amdhsa_kernel _ZN2at6native29vectorized_elementwise_kernelILi8ENS0_11FillFunctorIN3c107complexIdEEEESt5arrayIPcLm1EEEEviT0_T1_
		.amdhsa_group_segment_fixed_size 0
		.amdhsa_private_segment_fixed_size 0
		.amdhsa_kernarg_size 40
		.amdhsa_user_sgpr_count 15
		.amdhsa_user_sgpr_dispatch_ptr 0
		.amdhsa_user_sgpr_queue_ptr 0
		.amdhsa_user_sgpr_kernarg_segment_ptr 1
		.amdhsa_user_sgpr_dispatch_id 0
		.amdhsa_user_sgpr_private_segment_size 0
		.amdhsa_wavefront_size32 1
		.amdhsa_uses_dynamic_stack 0
		.amdhsa_enable_private_segment 0
		.amdhsa_system_sgpr_workgroup_id_x 1
		.amdhsa_system_sgpr_workgroup_id_y 0
		.amdhsa_system_sgpr_workgroup_id_z 0
		.amdhsa_system_sgpr_workgroup_info 0
		.amdhsa_system_vgpr_workitem_id 0
		.amdhsa_next_free_vgpr 10
		.amdhsa_next_free_sgpr 16
		.amdhsa_reserve_vcc 1
		.amdhsa_float_round_mode_32 0
		.amdhsa_float_round_mode_16_64 0
		.amdhsa_float_denorm_mode_32 3
		.amdhsa_float_denorm_mode_16_64 3
		.amdhsa_dx10_clamp 1
		.amdhsa_ieee_mode 1
		.amdhsa_fp16_overflow 0
		.amdhsa_workgroup_processor_mode 1
		.amdhsa_memory_ordered 1
		.amdhsa_forward_progress 0
		.amdhsa_shared_vgpr_count 0
		.amdhsa_exception_fp_ieee_invalid_op 0
		.amdhsa_exception_fp_denorm_src 0
		.amdhsa_exception_fp_ieee_div_zero 0
		.amdhsa_exception_fp_ieee_overflow 0
		.amdhsa_exception_fp_ieee_underflow 0
		.amdhsa_exception_fp_ieee_inexact 0
		.amdhsa_exception_int_div_zero 0
	.end_amdhsa_kernel
	.section	.text._ZN2at6native29vectorized_elementwise_kernelILi8ENS0_11FillFunctorIN3c107complexIdEEEESt5arrayIPcLm1EEEEviT0_T1_,"axG",@progbits,_ZN2at6native29vectorized_elementwise_kernelILi8ENS0_11FillFunctorIN3c107complexIdEEEESt5arrayIPcLm1EEEEviT0_T1_,comdat
.Lfunc_end57:
	.size	_ZN2at6native29vectorized_elementwise_kernelILi8ENS0_11FillFunctorIN3c107complexIdEEEESt5arrayIPcLm1EEEEviT0_T1_, .Lfunc_end57-_ZN2at6native29vectorized_elementwise_kernelILi8ENS0_11FillFunctorIN3c107complexIdEEEESt5arrayIPcLm1EEEEviT0_T1_
                                        ; -- End function
	.section	.AMDGPU.csdata,"",@progbits
; Kernel info:
; codeLenInByte = 644
; NumSgprs: 18
; NumVgprs: 10
; ScratchSize: 0
; MemoryBound: 0
; FloatMode: 240
; IeeeMode: 1
; LDSByteSize: 0 bytes/workgroup (compile time only)
; SGPRBlocks: 2
; VGPRBlocks: 1
; NumSGPRsForWavesPerEU: 18
; NumVGPRsForWavesPerEU: 10
; Occupancy: 16
; WaveLimiterHint : 0
; COMPUTE_PGM_RSRC2:SCRATCH_EN: 0
; COMPUTE_PGM_RSRC2:USER_SGPR: 15
; COMPUTE_PGM_RSRC2:TRAP_HANDLER: 0
; COMPUTE_PGM_RSRC2:TGID_X_EN: 1
; COMPUTE_PGM_RSRC2:TGID_Y_EN: 0
; COMPUTE_PGM_RSRC2:TGID_Z_EN: 0
; COMPUTE_PGM_RSRC2:TIDIG_COMP_CNT: 0
	.section	.text._ZN2at6native29vectorized_elementwise_kernelILi4ENS0_11FillFunctorIN3c107complexIdEEEESt5arrayIPcLm1EEEEviT0_T1_,"axG",@progbits,_ZN2at6native29vectorized_elementwise_kernelILi4ENS0_11FillFunctorIN3c107complexIdEEEESt5arrayIPcLm1EEEEviT0_T1_,comdat
	.protected	_ZN2at6native29vectorized_elementwise_kernelILi4ENS0_11FillFunctorIN3c107complexIdEEEESt5arrayIPcLm1EEEEviT0_T1_ ; -- Begin function _ZN2at6native29vectorized_elementwise_kernelILi4ENS0_11FillFunctorIN3c107complexIdEEEESt5arrayIPcLm1EEEEviT0_T1_
	.globl	_ZN2at6native29vectorized_elementwise_kernelILi4ENS0_11FillFunctorIN3c107complexIdEEEESt5arrayIPcLm1EEEEviT0_T1_
	.p2align	8
	.type	_ZN2at6native29vectorized_elementwise_kernelILi4ENS0_11FillFunctorIN3c107complexIdEEEESt5arrayIPcLm1EEEEviT0_T1_,@function
_ZN2at6native29vectorized_elementwise_kernelILi4ENS0_11FillFunctorIN3c107complexIdEEEESt5arrayIPcLm1EEEEviT0_T1_: ; @_ZN2at6native29vectorized_elementwise_kernelILi4ENS0_11FillFunctorIN3c107complexIdEEEESt5arrayIPcLm1EEEEviT0_T1_
; %bb.0:
	s_clause 0x2
	s_load_b32 s3, s[0:1], 0x0
	s_load_b128 s[4:7], s[0:1], 0x10
	s_load_b64 s[0:1], s[0:1], 0x20
	s_lshl_b32 s2, s15, 10
	s_waitcnt lgkmcnt(0)
	s_sub_i32 s8, s3, s2
	s_mov_b32 s3, -1
	s_cmpk_gt_i32 s8, 0x3ff
	s_cbranch_scc0 .LBB58_2
; %bb.1:
	s_ashr_i32 s3, s2, 31
	v_dual_mov_b32 v1, s4 :: v_dual_mov_b32 v4, s7
	v_dual_mov_b32 v2, s5 :: v_dual_lshlrev_b32 v5, 6, v0
	v_mov_b32_e32 v3, s6
	s_lshl_b64 s[10:11], s[2:3], 4
	s_mov_b32 s3, 0
	s_add_u32 s10, s0, s10
	s_addc_u32 s11, s1, s11
	s_clause 0x3
	global_store_b128 v5, v[1:4], s[10:11]
	global_store_b128 v5, v[1:4], s[10:11] offset:16
	global_store_b128 v5, v[1:4], s[10:11] offset:32
	global_store_b128 v5, v[1:4], s[10:11] offset:48
.LBB58_2:
	s_and_not1_b32 vcc_lo, exec_lo, s3
	s_cbranch_vccnz .LBB58_8
; %bb.3:
	v_or_b32_e32 v2, 0x100, v0
	v_mov_b32_e32 v1, v0
	s_mov_b32 s3, exec_lo
	v_cmpx_gt_i32_e64 s8, v0
	s_cbranch_execnz .LBB58_9
; %bb.4:
	s_or_b32 exec_lo, exec_lo, s3
	s_delay_alu instid0(SALU_CYCLE_1)
	s_mov_b32 s3, exec_lo
	v_cmpx_gt_i32_e64 s8, v1
	s_cbranch_execnz .LBB58_10
.LBB58_5:
	s_or_b32 exec_lo, exec_lo, s3
	s_delay_alu instid0(SALU_CYCLE_1)
	s_mov_b32 s3, exec_lo
	v_cmpx_gt_i32_e64 s8, v1
	s_cbranch_execnz .LBB58_11
.LBB58_6:
	s_or_b32 exec_lo, exec_lo, s3
	s_delay_alu instid0(SALU_CYCLE_1)
	s_mov_b32 s3, exec_lo
	v_cmpx_gt_i32_e64 s8, v1
	s_cbranch_execz .LBB58_8
.LBB58_7:
	v_or_b32_e32 v2, 0x300, v0
	v_dual_mov_b32 v1, 0 :: v_dual_add_nc_u32 v0, s2, v1
	s_delay_alu instid0(VALU_DEP_2) | instskip(NEXT) | instid1(VALU_DEP_2)
	v_cmp_gt_i32_e32 vcc_lo, s8, v2
	v_lshlrev_b64 v[4:5], 4, v[0:1]
	v_cndmask_b32_e64 v3, 0, s7, vcc_lo
	v_cndmask_b32_e64 v2, 0, s6, vcc_lo
	;; [unrolled: 1-line block ×4, first 2 shown]
	v_add_co_u32 v4, vcc_lo, s0, v4
	v_add_co_ci_u32_e32 v5, vcc_lo, s1, v5, vcc_lo
	global_store_b128 v[4:5], v[0:3], off
.LBB58_8:
	s_nop 0
	s_sendmsg sendmsg(MSG_DEALLOC_VGPRS)
	s_endpgm
.LBB58_9:
	v_or_b32_e32 v3, s2, v0
	v_dual_mov_b32 v4, 0 :: v_dual_mov_b32 v5, s6
	v_mov_b32_e32 v1, v2
	s_delay_alu instid0(VALU_DEP_2) | instskip(SKIP_1) | instid1(VALU_DEP_2)
	v_lshlrev_b64 v[6:7], 4, v[3:4]
	v_dual_mov_b32 v3, s4 :: v_dual_mov_b32 v4, s5
	v_add_co_u32 v8, vcc_lo, s0, v6
	s_delay_alu instid0(VALU_DEP_3) | instskip(SKIP_3) | instid1(SALU_CYCLE_1)
	v_add_co_ci_u32_e32 v9, vcc_lo, s1, v7, vcc_lo
	v_mov_b32_e32 v6, s7
	global_store_b128 v[8:9], v[3:6], off
	s_or_b32 exec_lo, exec_lo, s3
	s_mov_b32 s3, exec_lo
	v_cmpx_gt_i32_e64 s8, v1
	s_cbranch_execz .LBB58_5
.LBB58_10:
	v_dual_mov_b32 v4, 0 :: v_dual_add_nc_u32 v3, s2, v1
	v_cmp_gt_i32_e32 vcc_lo, s8, v2
	v_add_nc_u32_e32 v1, 0x100, v1
	s_delay_alu instid0(VALU_DEP_3)
	v_lshlrev_b64 v[6:7], 4, v[3:4]
	v_cndmask_b32_e64 v5, 0, s7, vcc_lo
	v_cndmask_b32_e64 v4, 0, s6, vcc_lo
	;; [unrolled: 1-line block ×4, first 2 shown]
	v_add_co_u32 v6, vcc_lo, s0, v6
	v_add_co_ci_u32_e32 v7, vcc_lo, s1, v7, vcc_lo
	global_store_b128 v[6:7], v[2:5], off
	s_or_b32 exec_lo, exec_lo, s3
	s_delay_alu instid0(SALU_CYCLE_1)
	s_mov_b32 s3, exec_lo
	v_cmpx_gt_i32_e64 s8, v1
	s_cbranch_execz .LBB58_6
.LBB58_11:
	v_dual_mov_b32 v3, 0 :: v_dual_add_nc_u32 v2, s2, v1
	v_or_b32_e32 v4, 0x200, v0
	v_add_nc_u32_e32 v1, 0x100, v1
	s_delay_alu instid0(VALU_DEP_3) | instskip(NEXT) | instid1(VALU_DEP_3)
	v_lshlrev_b64 v[6:7], 4, v[2:3]
	v_cmp_gt_i32_e32 vcc_lo, s8, v4
	v_cndmask_b32_e64 v5, 0, s7, vcc_lo
	v_cndmask_b32_e64 v4, 0, s6, vcc_lo
	;; [unrolled: 1-line block ×4, first 2 shown]
	v_add_co_u32 v6, vcc_lo, s0, v6
	v_add_co_ci_u32_e32 v7, vcc_lo, s1, v7, vcc_lo
	global_store_b128 v[6:7], v[2:5], off
	s_or_b32 exec_lo, exec_lo, s3
	s_delay_alu instid0(SALU_CYCLE_1)
	s_mov_b32 s3, exec_lo
	v_cmpx_gt_i32_e64 s8, v1
	s_cbranch_execnz .LBB58_7
	s_branch .LBB58_8
	.section	.rodata,"a",@progbits
	.p2align	6, 0x0
	.amdhsa_kernel _ZN2at6native29vectorized_elementwise_kernelILi4ENS0_11FillFunctorIN3c107complexIdEEEESt5arrayIPcLm1EEEEviT0_T1_
		.amdhsa_group_segment_fixed_size 0
		.amdhsa_private_segment_fixed_size 0
		.amdhsa_kernarg_size 40
		.amdhsa_user_sgpr_count 15
		.amdhsa_user_sgpr_dispatch_ptr 0
		.amdhsa_user_sgpr_queue_ptr 0
		.amdhsa_user_sgpr_kernarg_segment_ptr 1
		.amdhsa_user_sgpr_dispatch_id 0
		.amdhsa_user_sgpr_private_segment_size 0
		.amdhsa_wavefront_size32 1
		.amdhsa_uses_dynamic_stack 0
		.amdhsa_enable_private_segment 0
		.amdhsa_system_sgpr_workgroup_id_x 1
		.amdhsa_system_sgpr_workgroup_id_y 0
		.amdhsa_system_sgpr_workgroup_id_z 0
		.amdhsa_system_sgpr_workgroup_info 0
		.amdhsa_system_vgpr_workitem_id 0
		.amdhsa_next_free_vgpr 10
		.amdhsa_next_free_sgpr 16
		.amdhsa_reserve_vcc 1
		.amdhsa_float_round_mode_32 0
		.amdhsa_float_round_mode_16_64 0
		.amdhsa_float_denorm_mode_32 3
		.amdhsa_float_denorm_mode_16_64 3
		.amdhsa_dx10_clamp 1
		.amdhsa_ieee_mode 1
		.amdhsa_fp16_overflow 0
		.amdhsa_workgroup_processor_mode 1
		.amdhsa_memory_ordered 1
		.amdhsa_forward_progress 0
		.amdhsa_shared_vgpr_count 0
		.amdhsa_exception_fp_ieee_invalid_op 0
		.amdhsa_exception_fp_denorm_src 0
		.amdhsa_exception_fp_ieee_div_zero 0
		.amdhsa_exception_fp_ieee_overflow 0
		.amdhsa_exception_fp_ieee_underflow 0
		.amdhsa_exception_fp_ieee_inexact 0
		.amdhsa_exception_int_div_zero 0
	.end_amdhsa_kernel
	.section	.text._ZN2at6native29vectorized_elementwise_kernelILi4ENS0_11FillFunctorIN3c107complexIdEEEESt5arrayIPcLm1EEEEviT0_T1_,"axG",@progbits,_ZN2at6native29vectorized_elementwise_kernelILi4ENS0_11FillFunctorIN3c107complexIdEEEESt5arrayIPcLm1EEEEviT0_T1_,comdat
.Lfunc_end58:
	.size	_ZN2at6native29vectorized_elementwise_kernelILi4ENS0_11FillFunctorIN3c107complexIdEEEESt5arrayIPcLm1EEEEviT0_T1_, .Lfunc_end58-_ZN2at6native29vectorized_elementwise_kernelILi4ENS0_11FillFunctorIN3c107complexIdEEEESt5arrayIPcLm1EEEEviT0_T1_
                                        ; -- End function
	.section	.AMDGPU.csdata,"",@progbits
; Kernel info:
; codeLenInByte = 644
; NumSgprs: 18
; NumVgprs: 10
; ScratchSize: 0
; MemoryBound: 0
; FloatMode: 240
; IeeeMode: 1
; LDSByteSize: 0 bytes/workgroup (compile time only)
; SGPRBlocks: 2
; VGPRBlocks: 1
; NumSGPRsForWavesPerEU: 18
; NumVGPRsForWavesPerEU: 10
; Occupancy: 16
; WaveLimiterHint : 0
; COMPUTE_PGM_RSRC2:SCRATCH_EN: 0
; COMPUTE_PGM_RSRC2:USER_SGPR: 15
; COMPUTE_PGM_RSRC2:TRAP_HANDLER: 0
; COMPUTE_PGM_RSRC2:TGID_X_EN: 1
; COMPUTE_PGM_RSRC2:TGID_Y_EN: 0
; COMPUTE_PGM_RSRC2:TGID_Z_EN: 0
; COMPUTE_PGM_RSRC2:TIDIG_COMP_CNT: 0
	.section	.text._ZN2at6native29vectorized_elementwise_kernelILi2ENS0_11FillFunctorIN3c107complexIdEEEESt5arrayIPcLm1EEEEviT0_T1_,"axG",@progbits,_ZN2at6native29vectorized_elementwise_kernelILi2ENS0_11FillFunctorIN3c107complexIdEEEESt5arrayIPcLm1EEEEviT0_T1_,comdat
	.protected	_ZN2at6native29vectorized_elementwise_kernelILi2ENS0_11FillFunctorIN3c107complexIdEEEESt5arrayIPcLm1EEEEviT0_T1_ ; -- Begin function _ZN2at6native29vectorized_elementwise_kernelILi2ENS0_11FillFunctorIN3c107complexIdEEEESt5arrayIPcLm1EEEEviT0_T1_
	.globl	_ZN2at6native29vectorized_elementwise_kernelILi2ENS0_11FillFunctorIN3c107complexIdEEEESt5arrayIPcLm1EEEEviT0_T1_
	.p2align	8
	.type	_ZN2at6native29vectorized_elementwise_kernelILi2ENS0_11FillFunctorIN3c107complexIdEEEESt5arrayIPcLm1EEEEviT0_T1_,@function
_ZN2at6native29vectorized_elementwise_kernelILi2ENS0_11FillFunctorIN3c107complexIdEEEESt5arrayIPcLm1EEEEviT0_T1_: ; @_ZN2at6native29vectorized_elementwise_kernelILi2ENS0_11FillFunctorIN3c107complexIdEEEESt5arrayIPcLm1EEEEviT0_T1_
; %bb.0:
	s_clause 0x2
	s_load_b32 s3, s[0:1], 0x0
	s_load_b128 s[4:7], s[0:1], 0x10
	s_load_b64 s[0:1], s[0:1], 0x20
	s_lshl_b32 s2, s15, 10
	s_waitcnt lgkmcnt(0)
	s_sub_i32 s8, s3, s2
	s_mov_b32 s3, -1
	s_cmpk_gt_i32 s8, 0x3ff
	s_cbranch_scc0 .LBB59_2
; %bb.1:
	s_ashr_i32 s3, s2, 31
	v_lshlrev_b32_e32 v7, 5, v0
	s_lshl_b64 s[10:11], s[2:3], 4
	v_dual_mov_b32 v1, s4 :: v_dual_mov_b32 v4, s7
	s_add_u32 s10, s0, s10
	s_addc_u32 s11, s1, s11
	v_mov_b32_e32 v2, s5
	v_add_co_u32 v5, s3, s10, v7
	s_delay_alu instid0(VALU_DEP_1) | instskip(SKIP_1) | instid1(VALU_DEP_3)
	v_add_co_ci_u32_e64 v6, null, s11, 0, s3
	v_mov_b32_e32 v3, s6
	v_add_co_u32 v5, vcc_lo, 0x2000, v5
	s_delay_alu instid0(VALU_DEP_3)
	v_add_co_ci_u32_e32 v6, vcc_lo, 0, v6, vcc_lo
	s_mov_b32 s3, 0
	s_clause 0x3
	global_store_b128 v7, v[1:4], s[10:11]
	global_store_b128 v7, v[1:4], s[10:11] offset:16
	global_store_b128 v[5:6], v[1:4], off
	global_store_b128 v[5:6], v[1:4], off offset:16
.LBB59_2:
	s_and_not1_b32 vcc_lo, exec_lo, s3
	s_cbranch_vccnz .LBB59_8
; %bb.3:
	v_or_b32_e32 v2, 0x100, v0
	v_mov_b32_e32 v1, v0
	s_mov_b32 s3, exec_lo
	v_cmpx_gt_i32_e64 s8, v0
	s_cbranch_execnz .LBB59_9
; %bb.4:
	s_or_b32 exec_lo, exec_lo, s3
	s_delay_alu instid0(SALU_CYCLE_1)
	s_mov_b32 s3, exec_lo
	v_cmpx_gt_i32_e64 s8, v1
	s_cbranch_execnz .LBB59_10
.LBB59_5:
	s_or_b32 exec_lo, exec_lo, s3
	s_delay_alu instid0(SALU_CYCLE_1)
	s_mov_b32 s3, exec_lo
	v_cmpx_gt_i32_e64 s8, v1
	s_cbranch_execnz .LBB59_11
.LBB59_6:
	s_or_b32 exec_lo, exec_lo, s3
	s_delay_alu instid0(SALU_CYCLE_1)
	s_mov_b32 s3, exec_lo
	v_cmpx_gt_i32_e64 s8, v1
	s_cbranch_execz .LBB59_8
.LBB59_7:
	v_or_b32_e32 v2, 0x300, v0
	v_dual_mov_b32 v1, 0 :: v_dual_add_nc_u32 v0, s2, v1
	s_delay_alu instid0(VALU_DEP_2) | instskip(NEXT) | instid1(VALU_DEP_2)
	v_cmp_gt_i32_e32 vcc_lo, s8, v2
	v_lshlrev_b64 v[4:5], 4, v[0:1]
	v_cndmask_b32_e64 v3, 0, s7, vcc_lo
	v_cndmask_b32_e64 v2, 0, s6, vcc_lo
	;; [unrolled: 1-line block ×4, first 2 shown]
	v_add_co_u32 v4, vcc_lo, s0, v4
	v_add_co_ci_u32_e32 v5, vcc_lo, s1, v5, vcc_lo
	global_store_b128 v[4:5], v[0:3], off
.LBB59_8:
	s_nop 0
	s_sendmsg sendmsg(MSG_DEALLOC_VGPRS)
	s_endpgm
.LBB59_9:
	v_or_b32_e32 v3, s2, v0
	v_dual_mov_b32 v4, 0 :: v_dual_mov_b32 v5, s6
	v_mov_b32_e32 v1, v2
	s_delay_alu instid0(VALU_DEP_2) | instskip(SKIP_1) | instid1(VALU_DEP_2)
	v_lshlrev_b64 v[6:7], 4, v[3:4]
	v_dual_mov_b32 v3, s4 :: v_dual_mov_b32 v4, s5
	v_add_co_u32 v8, vcc_lo, s0, v6
	s_delay_alu instid0(VALU_DEP_3) | instskip(SKIP_3) | instid1(SALU_CYCLE_1)
	v_add_co_ci_u32_e32 v9, vcc_lo, s1, v7, vcc_lo
	v_mov_b32_e32 v6, s7
	global_store_b128 v[8:9], v[3:6], off
	s_or_b32 exec_lo, exec_lo, s3
	s_mov_b32 s3, exec_lo
	v_cmpx_gt_i32_e64 s8, v1
	s_cbranch_execz .LBB59_5
.LBB59_10:
	v_dual_mov_b32 v4, 0 :: v_dual_add_nc_u32 v3, s2, v1
	v_cmp_gt_i32_e32 vcc_lo, s8, v2
	v_add_nc_u32_e32 v1, 0x100, v1
	s_delay_alu instid0(VALU_DEP_3)
	v_lshlrev_b64 v[6:7], 4, v[3:4]
	v_cndmask_b32_e64 v5, 0, s7, vcc_lo
	v_cndmask_b32_e64 v4, 0, s6, vcc_lo
	;; [unrolled: 1-line block ×4, first 2 shown]
	v_add_co_u32 v6, vcc_lo, s0, v6
	v_add_co_ci_u32_e32 v7, vcc_lo, s1, v7, vcc_lo
	global_store_b128 v[6:7], v[2:5], off
	s_or_b32 exec_lo, exec_lo, s3
	s_delay_alu instid0(SALU_CYCLE_1)
	s_mov_b32 s3, exec_lo
	v_cmpx_gt_i32_e64 s8, v1
	s_cbranch_execz .LBB59_6
.LBB59_11:
	v_dual_mov_b32 v3, 0 :: v_dual_add_nc_u32 v2, s2, v1
	v_or_b32_e32 v4, 0x200, v0
	v_add_nc_u32_e32 v1, 0x100, v1
	s_delay_alu instid0(VALU_DEP_3) | instskip(NEXT) | instid1(VALU_DEP_3)
	v_lshlrev_b64 v[6:7], 4, v[2:3]
	v_cmp_gt_i32_e32 vcc_lo, s8, v4
	v_cndmask_b32_e64 v5, 0, s7, vcc_lo
	v_cndmask_b32_e64 v4, 0, s6, vcc_lo
	v_cndmask_b32_e64 v3, 0, s5, vcc_lo
	v_cndmask_b32_e64 v2, 0, s4, vcc_lo
	v_add_co_u32 v6, vcc_lo, s0, v6
	v_add_co_ci_u32_e32 v7, vcc_lo, s1, v7, vcc_lo
	global_store_b128 v[6:7], v[2:5], off
	s_or_b32 exec_lo, exec_lo, s3
	s_delay_alu instid0(SALU_CYCLE_1)
	s_mov_b32 s3, exec_lo
	v_cmpx_gt_i32_e64 s8, v1
	s_cbranch_execnz .LBB59_7
	s_branch .LBB59_8
	.section	.rodata,"a",@progbits
	.p2align	6, 0x0
	.amdhsa_kernel _ZN2at6native29vectorized_elementwise_kernelILi2ENS0_11FillFunctorIN3c107complexIdEEEESt5arrayIPcLm1EEEEviT0_T1_
		.amdhsa_group_segment_fixed_size 0
		.amdhsa_private_segment_fixed_size 0
		.amdhsa_kernarg_size 40
		.amdhsa_user_sgpr_count 15
		.amdhsa_user_sgpr_dispatch_ptr 0
		.amdhsa_user_sgpr_queue_ptr 0
		.amdhsa_user_sgpr_kernarg_segment_ptr 1
		.amdhsa_user_sgpr_dispatch_id 0
		.amdhsa_user_sgpr_private_segment_size 0
		.amdhsa_wavefront_size32 1
		.amdhsa_uses_dynamic_stack 0
		.amdhsa_enable_private_segment 0
		.amdhsa_system_sgpr_workgroup_id_x 1
		.amdhsa_system_sgpr_workgroup_id_y 0
		.amdhsa_system_sgpr_workgroup_id_z 0
		.amdhsa_system_sgpr_workgroup_info 0
		.amdhsa_system_vgpr_workitem_id 0
		.amdhsa_next_free_vgpr 10
		.amdhsa_next_free_sgpr 16
		.amdhsa_reserve_vcc 1
		.amdhsa_float_round_mode_32 0
		.amdhsa_float_round_mode_16_64 0
		.amdhsa_float_denorm_mode_32 3
		.amdhsa_float_denorm_mode_16_64 3
		.amdhsa_dx10_clamp 1
		.amdhsa_ieee_mode 1
		.amdhsa_fp16_overflow 0
		.amdhsa_workgroup_processor_mode 1
		.amdhsa_memory_ordered 1
		.amdhsa_forward_progress 0
		.amdhsa_shared_vgpr_count 0
		.amdhsa_exception_fp_ieee_invalid_op 0
		.amdhsa_exception_fp_denorm_src 0
		.amdhsa_exception_fp_ieee_div_zero 0
		.amdhsa_exception_fp_ieee_overflow 0
		.amdhsa_exception_fp_ieee_underflow 0
		.amdhsa_exception_fp_ieee_inexact 0
		.amdhsa_exception_int_div_zero 0
	.end_amdhsa_kernel
	.section	.text._ZN2at6native29vectorized_elementwise_kernelILi2ENS0_11FillFunctorIN3c107complexIdEEEESt5arrayIPcLm1EEEEviT0_T1_,"axG",@progbits,_ZN2at6native29vectorized_elementwise_kernelILi2ENS0_11FillFunctorIN3c107complexIdEEEESt5arrayIPcLm1EEEEviT0_T1_,comdat
.Lfunc_end59:
	.size	_ZN2at6native29vectorized_elementwise_kernelILi2ENS0_11FillFunctorIN3c107complexIdEEEESt5arrayIPcLm1EEEEviT0_T1_, .Lfunc_end59-_ZN2at6native29vectorized_elementwise_kernelILi2ENS0_11FillFunctorIN3c107complexIdEEEESt5arrayIPcLm1EEEEviT0_T1_
                                        ; -- End function
	.section	.AMDGPU.csdata,"",@progbits
; Kernel info:
; codeLenInByte = 684
; NumSgprs: 18
; NumVgprs: 10
; ScratchSize: 0
; MemoryBound: 0
; FloatMode: 240
; IeeeMode: 1
; LDSByteSize: 0 bytes/workgroup (compile time only)
; SGPRBlocks: 2
; VGPRBlocks: 1
; NumSGPRsForWavesPerEU: 18
; NumVGPRsForWavesPerEU: 10
; Occupancy: 16
; WaveLimiterHint : 1
; COMPUTE_PGM_RSRC2:SCRATCH_EN: 0
; COMPUTE_PGM_RSRC2:USER_SGPR: 15
; COMPUTE_PGM_RSRC2:TRAP_HANDLER: 0
; COMPUTE_PGM_RSRC2:TGID_X_EN: 1
; COMPUTE_PGM_RSRC2:TGID_Y_EN: 0
; COMPUTE_PGM_RSRC2:TGID_Z_EN: 0
; COMPUTE_PGM_RSRC2:TIDIG_COMP_CNT: 0
	.section	.text._ZN2at6native27unrolled_elementwise_kernelINS0_11FillFunctorIN3c107complexIdEEEESt5arrayIPcLm1EELi4E23TrivialOffsetCalculatorILi0EjESA_ILi1EjENS0_6memory15LoadWithoutCastENSD_16StoreWithoutCastEEEviT_T0_T2_T3_T4_T5_,"axG",@progbits,_ZN2at6native27unrolled_elementwise_kernelINS0_11FillFunctorIN3c107complexIdEEEESt5arrayIPcLm1EELi4E23TrivialOffsetCalculatorILi0EjESA_ILi1EjENS0_6memory15LoadWithoutCastENSD_16StoreWithoutCastEEEviT_T0_T2_T3_T4_T5_,comdat
	.protected	_ZN2at6native27unrolled_elementwise_kernelINS0_11FillFunctorIN3c107complexIdEEEESt5arrayIPcLm1EELi4E23TrivialOffsetCalculatorILi0EjESA_ILi1EjENS0_6memory15LoadWithoutCastENSD_16StoreWithoutCastEEEviT_T0_T2_T3_T4_T5_ ; -- Begin function _ZN2at6native27unrolled_elementwise_kernelINS0_11FillFunctorIN3c107complexIdEEEESt5arrayIPcLm1EELi4E23TrivialOffsetCalculatorILi0EjESA_ILi1EjENS0_6memory15LoadWithoutCastENSD_16StoreWithoutCastEEEviT_T0_T2_T3_T4_T5_
	.globl	_ZN2at6native27unrolled_elementwise_kernelINS0_11FillFunctorIN3c107complexIdEEEESt5arrayIPcLm1EELi4E23TrivialOffsetCalculatorILi0EjESA_ILi1EjENS0_6memory15LoadWithoutCastENSD_16StoreWithoutCastEEEviT_T0_T2_T3_T4_T5_
	.p2align	8
	.type	_ZN2at6native27unrolled_elementwise_kernelINS0_11FillFunctorIN3c107complexIdEEEESt5arrayIPcLm1EELi4E23TrivialOffsetCalculatorILi0EjESA_ILi1EjENS0_6memory15LoadWithoutCastENSD_16StoreWithoutCastEEEviT_T0_T2_T3_T4_T5_,@function
_ZN2at6native27unrolled_elementwise_kernelINS0_11FillFunctorIN3c107complexIdEEEESt5arrayIPcLm1EELi4E23TrivialOffsetCalculatorILi0EjESA_ILi1EjENS0_6memory15LoadWithoutCastENSD_16StoreWithoutCastEEEviT_T0_T2_T3_T4_T5_: ; @_ZN2at6native27unrolled_elementwise_kernelINS0_11FillFunctorIN3c107complexIdEEEESt5arrayIPcLm1EELi4E23TrivialOffsetCalculatorILi0EjESA_ILi1EjENS0_6memory15LoadWithoutCastENSD_16StoreWithoutCastEEEviT_T0_T2_T3_T4_T5_
; %bb.0:
	s_clause 0x2
	s_load_b32 s2, s[0:1], 0x0
	s_load_b128 s[4:7], s[0:1], 0x10
	s_load_b64 s[0:1], s[0:1], 0x20
	v_or_b32_e32 v2, 0x100, v0
	v_mov_b32_e32 v1, v0
	s_lshl_b32 s3, s15, 10
	s_mov_b32 s8, exec_lo
	s_waitcnt lgkmcnt(0)
	s_sub_i32 s2, s2, s3
	s_delay_alu instid0(SALU_CYCLE_1)
	v_cmpx_gt_i32_e64 s2, v0
	s_cbranch_execnz .LBB60_5
; %bb.1:
	s_or_b32 exec_lo, exec_lo, s8
	s_delay_alu instid0(SALU_CYCLE_1)
	s_mov_b32 s8, exec_lo
	v_cmpx_gt_i32_e64 s2, v1
	s_cbranch_execnz .LBB60_6
.LBB60_2:
	s_or_b32 exec_lo, exec_lo, s8
	s_delay_alu instid0(SALU_CYCLE_1)
	s_mov_b32 s8, exec_lo
	v_cmpx_gt_i32_e64 s2, v1
	s_cbranch_execnz .LBB60_7
.LBB60_3:
	s_or_b32 exec_lo, exec_lo, s8
	s_delay_alu instid0(SALU_CYCLE_1)
	s_mov_b32 s8, exec_lo
	v_cmpx_gt_i32_e64 s2, v1
	s_cbranch_execnz .LBB60_8
.LBB60_4:
	s_nop 0
	s_sendmsg sendmsg(MSG_DEALLOC_VGPRS)
	s_endpgm
.LBB60_5:
	v_or_b32_e32 v3, s3, v0
	v_dual_mov_b32 v4, 0 :: v_dual_mov_b32 v5, s6
	v_mov_b32_e32 v1, v2
	s_delay_alu instid0(VALU_DEP_2) | instskip(SKIP_1) | instid1(VALU_DEP_2)
	v_lshlrev_b64 v[6:7], 4, v[3:4]
	v_dual_mov_b32 v3, s4 :: v_dual_mov_b32 v4, s5
	v_add_co_u32 v8, vcc_lo, s0, v6
	s_delay_alu instid0(VALU_DEP_3) | instskip(SKIP_3) | instid1(SALU_CYCLE_1)
	v_add_co_ci_u32_e32 v9, vcc_lo, s1, v7, vcc_lo
	v_mov_b32_e32 v6, s7
	global_store_b128 v[8:9], v[3:6], off
	s_or_b32 exec_lo, exec_lo, s8
	s_mov_b32 s8, exec_lo
	v_cmpx_gt_i32_e64 s2, v1
	s_cbranch_execz .LBB60_2
.LBB60_6:
	v_dual_mov_b32 v4, 0 :: v_dual_add_nc_u32 v3, s3, v1
	v_cmp_gt_i32_e32 vcc_lo, s2, v2
	v_add_nc_u32_e32 v1, 0x100, v1
	s_delay_alu instid0(VALU_DEP_3)
	v_lshlrev_b64 v[6:7], 4, v[3:4]
	v_cndmask_b32_e64 v5, 0, s7, vcc_lo
	v_cndmask_b32_e64 v4, 0, s6, vcc_lo
	;; [unrolled: 1-line block ×4, first 2 shown]
	v_add_co_u32 v6, vcc_lo, s0, v6
	v_add_co_ci_u32_e32 v7, vcc_lo, s1, v7, vcc_lo
	global_store_b128 v[6:7], v[2:5], off
	s_or_b32 exec_lo, exec_lo, s8
	s_delay_alu instid0(SALU_CYCLE_1)
	s_mov_b32 s8, exec_lo
	v_cmpx_gt_i32_e64 s2, v1
	s_cbranch_execz .LBB60_3
.LBB60_7:
	v_dual_mov_b32 v3, 0 :: v_dual_add_nc_u32 v2, s3, v1
	v_or_b32_e32 v4, 0x200, v0
	v_add_nc_u32_e32 v1, 0x100, v1
	s_delay_alu instid0(VALU_DEP_3) | instskip(NEXT) | instid1(VALU_DEP_3)
	v_lshlrev_b64 v[6:7], 4, v[2:3]
	v_cmp_gt_i32_e32 vcc_lo, s2, v4
	v_cndmask_b32_e64 v5, 0, s7, vcc_lo
	v_cndmask_b32_e64 v4, 0, s6, vcc_lo
	;; [unrolled: 1-line block ×4, first 2 shown]
	v_add_co_u32 v6, vcc_lo, s0, v6
	v_add_co_ci_u32_e32 v7, vcc_lo, s1, v7, vcc_lo
	global_store_b128 v[6:7], v[2:5], off
	s_or_b32 exec_lo, exec_lo, s8
	s_delay_alu instid0(SALU_CYCLE_1)
	s_mov_b32 s8, exec_lo
	v_cmpx_gt_i32_e64 s2, v1
	s_cbranch_execz .LBB60_4
.LBB60_8:
	v_or_b32_e32 v2, 0x300, v0
	v_dual_mov_b32 v1, 0 :: v_dual_add_nc_u32 v0, s3, v1
	s_delay_alu instid0(VALU_DEP_2) | instskip(NEXT) | instid1(VALU_DEP_2)
	v_cmp_gt_i32_e32 vcc_lo, s2, v2
	v_lshlrev_b64 v[4:5], 4, v[0:1]
	v_cndmask_b32_e64 v3, 0, s7, vcc_lo
	v_cndmask_b32_e64 v2, 0, s6, vcc_lo
	;; [unrolled: 1-line block ×4, first 2 shown]
	v_add_co_u32 v4, vcc_lo, s0, v4
	v_add_co_ci_u32_e32 v5, vcc_lo, s1, v5, vcc_lo
	global_store_b128 v[4:5], v[0:3], off
	s_nop 0
	s_sendmsg sendmsg(MSG_DEALLOC_VGPRS)
	s_endpgm
	.section	.rodata,"a",@progbits
	.p2align	6, 0x0
	.amdhsa_kernel _ZN2at6native27unrolled_elementwise_kernelINS0_11FillFunctorIN3c107complexIdEEEESt5arrayIPcLm1EELi4E23TrivialOffsetCalculatorILi0EjESA_ILi1EjENS0_6memory15LoadWithoutCastENSD_16StoreWithoutCastEEEviT_T0_T2_T3_T4_T5_
		.amdhsa_group_segment_fixed_size 0
		.amdhsa_private_segment_fixed_size 0
		.amdhsa_kernarg_size 44
		.amdhsa_user_sgpr_count 15
		.amdhsa_user_sgpr_dispatch_ptr 0
		.amdhsa_user_sgpr_queue_ptr 0
		.amdhsa_user_sgpr_kernarg_segment_ptr 1
		.amdhsa_user_sgpr_dispatch_id 0
		.amdhsa_user_sgpr_private_segment_size 0
		.amdhsa_wavefront_size32 1
		.amdhsa_uses_dynamic_stack 0
		.amdhsa_enable_private_segment 0
		.amdhsa_system_sgpr_workgroup_id_x 1
		.amdhsa_system_sgpr_workgroup_id_y 0
		.amdhsa_system_sgpr_workgroup_id_z 0
		.amdhsa_system_sgpr_workgroup_info 0
		.amdhsa_system_vgpr_workitem_id 0
		.amdhsa_next_free_vgpr 10
		.amdhsa_next_free_sgpr 16
		.amdhsa_reserve_vcc 1
		.amdhsa_float_round_mode_32 0
		.amdhsa_float_round_mode_16_64 0
		.amdhsa_float_denorm_mode_32 3
		.amdhsa_float_denorm_mode_16_64 3
		.amdhsa_dx10_clamp 1
		.amdhsa_ieee_mode 1
		.amdhsa_fp16_overflow 0
		.amdhsa_workgroup_processor_mode 1
		.amdhsa_memory_ordered 1
		.amdhsa_forward_progress 0
		.amdhsa_shared_vgpr_count 0
		.amdhsa_exception_fp_ieee_invalid_op 0
		.amdhsa_exception_fp_denorm_src 0
		.amdhsa_exception_fp_ieee_div_zero 0
		.amdhsa_exception_fp_ieee_overflow 0
		.amdhsa_exception_fp_ieee_underflow 0
		.amdhsa_exception_fp_ieee_inexact 0
		.amdhsa_exception_int_div_zero 0
	.end_amdhsa_kernel
	.section	.text._ZN2at6native27unrolled_elementwise_kernelINS0_11FillFunctorIN3c107complexIdEEEESt5arrayIPcLm1EELi4E23TrivialOffsetCalculatorILi0EjESA_ILi1EjENS0_6memory15LoadWithoutCastENSD_16StoreWithoutCastEEEviT_T0_T2_T3_T4_T5_,"axG",@progbits,_ZN2at6native27unrolled_elementwise_kernelINS0_11FillFunctorIN3c107complexIdEEEESt5arrayIPcLm1EELi4E23TrivialOffsetCalculatorILi0EjESA_ILi1EjENS0_6memory15LoadWithoutCastENSD_16StoreWithoutCastEEEviT_T0_T2_T3_T4_T5_,comdat
.Lfunc_end60:
	.size	_ZN2at6native27unrolled_elementwise_kernelINS0_11FillFunctorIN3c107complexIdEEEESt5arrayIPcLm1EELi4E23TrivialOffsetCalculatorILi0EjESA_ILi1EjENS0_6memory15LoadWithoutCastENSD_16StoreWithoutCastEEEviT_T0_T2_T3_T4_T5_, .Lfunc_end60-_ZN2at6native27unrolled_elementwise_kernelINS0_11FillFunctorIN3c107complexIdEEEESt5arrayIPcLm1EELi4E23TrivialOffsetCalculatorILi0EjESA_ILi1EjENS0_6memory15LoadWithoutCastENSD_16StoreWithoutCastEEEviT_T0_T2_T3_T4_T5_
                                        ; -- End function
	.section	.AMDGPU.csdata,"",@progbits
; Kernel info:
; codeLenInByte = 560
; NumSgprs: 18
; NumVgprs: 10
; ScratchSize: 0
; MemoryBound: 0
; FloatMode: 240
; IeeeMode: 1
; LDSByteSize: 0 bytes/workgroup (compile time only)
; SGPRBlocks: 2
; VGPRBlocks: 1
; NumSGPRsForWavesPerEU: 18
; NumVGPRsForWavesPerEU: 10
; Occupancy: 16
; WaveLimiterHint : 0
; COMPUTE_PGM_RSRC2:SCRATCH_EN: 0
; COMPUTE_PGM_RSRC2:USER_SGPR: 15
; COMPUTE_PGM_RSRC2:TRAP_HANDLER: 0
; COMPUTE_PGM_RSRC2:TGID_X_EN: 1
; COMPUTE_PGM_RSRC2:TGID_Y_EN: 0
; COMPUTE_PGM_RSRC2:TGID_Z_EN: 0
; COMPUTE_PGM_RSRC2:TIDIG_COMP_CNT: 0
	.section	.text._ZN2at6native32elementwise_kernel_manual_unrollILi128ELi4EZNS0_22gpu_kernel_impl_nocastINS0_11FillFunctorIN3c107complexIdEEEEEEvRNS_18TensorIteratorBaseERKT_EUlibE_EEviT1_,"axG",@progbits,_ZN2at6native32elementwise_kernel_manual_unrollILi128ELi4EZNS0_22gpu_kernel_impl_nocastINS0_11FillFunctorIN3c107complexIdEEEEEEvRNS_18TensorIteratorBaseERKT_EUlibE_EEviT1_,comdat
	.protected	_ZN2at6native32elementwise_kernel_manual_unrollILi128ELi4EZNS0_22gpu_kernel_impl_nocastINS0_11FillFunctorIN3c107complexIdEEEEEEvRNS_18TensorIteratorBaseERKT_EUlibE_EEviT1_ ; -- Begin function _ZN2at6native32elementwise_kernel_manual_unrollILi128ELi4EZNS0_22gpu_kernel_impl_nocastINS0_11FillFunctorIN3c107complexIdEEEEEEvRNS_18TensorIteratorBaseERKT_EUlibE_EEviT1_
	.globl	_ZN2at6native32elementwise_kernel_manual_unrollILi128ELi4EZNS0_22gpu_kernel_impl_nocastINS0_11FillFunctorIN3c107complexIdEEEEEEvRNS_18TensorIteratorBaseERKT_EUlibE_EEviT1_
	.p2align	8
	.type	_ZN2at6native32elementwise_kernel_manual_unrollILi128ELi4EZNS0_22gpu_kernel_impl_nocastINS0_11FillFunctorIN3c107complexIdEEEEEEvRNS_18TensorIteratorBaseERKT_EUlibE_EEviT1_,@function
_ZN2at6native32elementwise_kernel_manual_unrollILi128ELi4EZNS0_22gpu_kernel_impl_nocastINS0_11FillFunctorIN3c107complexIdEEEEEEvRNS_18TensorIteratorBaseERKT_EUlibE_EEviT1_: ; @_ZN2at6native32elementwise_kernel_manual_unrollILi128ELi4EZNS0_22gpu_kernel_impl_nocastINS0_11FillFunctorIN3c107complexIdEEEEEEvRNS_18TensorIteratorBaseERKT_EUlibE_EEviT1_
; %bb.0:
	s_clause 0x1
	s_load_b32 s22, s[0:1], 0x10
	s_load_b32 s27, s[0:1], 0x0
	v_lshl_or_b32 v2, s15, 9, v0
	s_add_u32 s8, s0, 16
	s_addc_u32 s9, s1, 0
	s_mov_b32 s4, 0
                                        ; implicit-def: $sgpr10_sgpr11
                                        ; implicit-def: $vgpr4_vgpr5
	s_mov_b32 s0, exec_lo
	v_or_b32_e32 v8, 0x180, v2
	s_waitcnt lgkmcnt(0)
	s_add_i32 s23, s22, -1
	s_delay_alu instid0(SALU_CYCLE_1)
	s_cmp_gt_u32 s23, 1
	s_cselect_b32 s24, -1, 0
	v_cmpx_le_i32_e64 s27, v8
	s_xor_b32 s25, exec_lo, s0
	s_cbranch_execz .LBB61_62
; %bb.1:
	s_clause 0x4
	s_load_b128 s[4:7], s[8:9], 0x4
	s_load_b64 s[12:13], s[8:9], 0x14
	s_load_b64 s[10:11], s[8:9], 0x118
	;; [unrolled: 1-line block ×3, first 2 shown]
	s_load_b128 s[0:3], s[8:9], 0x108
	s_cmp_lg_u32 s22, 0
	s_mov_b32 s30, exec_lo
	s_cselect_b32 s29, -1, 0
	s_add_u32 s16, s8, 0xc4
	s_addc_u32 s17, s9, 0
	s_min_u32 s28, s23, 15
	s_cmp_gt_u32 s22, 1
	s_cselect_b32 s26, -1, 0
	v_cmpx_gt_i32_e64 s27, v2
	s_cbranch_execnz .LBB61_4
; %bb.2:
	s_or_b32 exec_lo, exec_lo, s30
	s_delay_alu instid0(SALU_CYCLE_1)
	s_mov_b32 s30, exec_lo
	v_cmpx_gt_i32_e64 s27, v2
	s_cbranch_execnz .LBB61_18
.LBB61_3:
	s_or_b32 exec_lo, exec_lo, s30
	s_delay_alu instid0(SALU_CYCLE_1)
	s_mov_b32 s30, exec_lo
	v_cmpx_gt_i32_e64 s27, v2
	s_cbranch_execnz .LBB61_32
	s_branch .LBB61_46
.LBB61_4:
	s_and_not1_b32 vcc_lo, exec_lo, s24
	s_cbranch_vccnz .LBB61_9
; %bb.5:
	v_mov_b32_e32 v0, 0
	s_and_not1_b32 vcc_lo, exec_lo, s29
	s_cbranch_vccnz .LBB61_14
; %bb.6:
	s_add_i32 s33, s28, 1
	s_cmp_eq_u32 s23, 2
	s_mov_b32 s31, 0
	s_cbranch_scc1 .LBB61_10
; %bb.7:
	v_dual_mov_b32 v0, 0 :: v_dual_mov_b32 v1, v2
	s_and_b32 s31, s33, 28
	s_mov_b32 s34, 0
	s_mov_b64 s[18:19], s[8:9]
	s_mov_b64 s[20:21], s[16:17]
.LBB61_8:                               ; =>This Inner Loop Header: Depth=1
	s_clause 0x1
	s_load_b256 s[36:43], s[18:19], 0x4
	s_load_b128 s[44:47], s[18:19], 0x24
	s_load_b128 s[48:51], s[20:21], 0x0
	s_add_u32 s18, s18, 48
	s_addc_u32 s19, s19, 0
	s_add_i32 s34, s34, 4
	s_add_u32 s20, s20, 16
	s_addc_u32 s21, s21, 0
	s_cmp_lg_u32 s31, s34
	s_waitcnt lgkmcnt(0)
	v_mul_hi_u32 v3, s37, v1
	s_delay_alu instid0(VALU_DEP_1) | instskip(NEXT) | instid1(VALU_DEP_1)
	v_add_nc_u32_e32 v3, v1, v3
	v_lshrrev_b32_e32 v3, s38, v3
	s_delay_alu instid0(VALU_DEP_1) | instskip(SKIP_1) | instid1(VALU_DEP_2)
	v_mul_hi_u32 v4, s40, v3
	v_mul_lo_u32 v7, v3, s36
	v_add_nc_u32_e32 v4, v3, v4
	s_delay_alu instid0(VALU_DEP_2) | instskip(NEXT) | instid1(VALU_DEP_2)
	v_sub_nc_u32_e32 v7, v1, v7
	v_lshrrev_b32_e32 v4, s41, v4
	s_delay_alu instid0(VALU_DEP_2) | instskip(NEXT) | instid1(VALU_DEP_2)
	v_mul_lo_u32 v7, v7, s48
	v_mul_hi_u32 v5, s43, v4
	v_mul_lo_u32 v8, v4, s39
	s_delay_alu instid0(VALU_DEP_2) | instskip(NEXT) | instid1(VALU_DEP_2)
	v_add_nc_u32_e32 v5, v4, v5
	v_sub_nc_u32_e32 v3, v3, v8
	s_delay_alu instid0(VALU_DEP_2) | instskip(NEXT) | instid1(VALU_DEP_2)
	v_lshrrev_b32_e32 v5, s44, v5
	v_mul_lo_u32 v3, v3, s49
	s_delay_alu instid0(VALU_DEP_2) | instskip(NEXT) | instid1(VALU_DEP_2)
	v_mul_hi_u32 v6, s46, v5
	v_add3_u32 v0, v7, v0, v3
	s_delay_alu instid0(VALU_DEP_2) | instskip(NEXT) | instid1(VALU_DEP_1)
	v_add_nc_u32_e32 v6, v5, v6
	v_lshrrev_b32_e32 v1, s47, v6
	v_mul_lo_u32 v6, v5, s42
	s_delay_alu instid0(VALU_DEP_2) | instskip(NEXT) | instid1(VALU_DEP_2)
	v_mul_lo_u32 v9, v1, s45
	v_sub_nc_u32_e32 v4, v4, v6
	s_delay_alu instid0(VALU_DEP_2) | instskip(NEXT) | instid1(VALU_DEP_2)
	v_sub_nc_u32_e32 v5, v5, v9
	v_mul_lo_u32 v4, v4, s50
	s_delay_alu instid0(VALU_DEP_2) | instskip(NEXT) | instid1(VALU_DEP_1)
	v_mul_lo_u32 v5, v5, s51
	v_add3_u32 v0, v4, v0, v5
	s_cbranch_scc1 .LBB61_8
	s_branch .LBB61_11
.LBB61_9:
                                        ; implicit-def: $vgpr0
	s_branch .LBB61_15
.LBB61_10:
	v_mov_b32_e32 v1, v2
.LBB61_11:
	s_and_b32 s33, s33, 3
	s_delay_alu instid0(SALU_CYCLE_1)
	s_cmp_eq_u32 s33, 0
	s_cbranch_scc1 .LBB61_14
; %bb.12:
	s_lshl_b32 s18, s31, 2
	s_mul_i32 s20, s31, 12
	s_add_u32 s18, s18, s8
	s_addc_u32 s19, s9, 0
	s_add_u32 s18, s18, 0xc4
	s_addc_u32 s19, s19, 0
	;; [unrolled: 2-line block ×3, first 2 shown]
	.p2align	6
.LBB61_13:                              ; =>This Inner Loop Header: Depth=1
	s_clause 0x1
	s_load_b64 s[34:35], s[20:21], 0x4
	s_load_b32 s31, s[20:21], 0xc
	s_add_u32 s20, s20, 12
	s_addc_u32 s21, s21, 0
	s_waitcnt lgkmcnt(0)
	v_mul_hi_u32 v3, s35, v1
	s_load_b32 s35, s[18:19], 0x0
	s_add_u32 s18, s18, 4
	s_addc_u32 s19, s19, 0
	s_add_i32 s33, s33, -1
	s_delay_alu instid0(SALU_CYCLE_1) | instskip(NEXT) | instid1(VALU_DEP_1)
	s_cmp_lg_u32 s33, 0
	v_add_nc_u32_e32 v3, v1, v3
	s_delay_alu instid0(VALU_DEP_1) | instskip(NEXT) | instid1(VALU_DEP_1)
	v_lshrrev_b32_e32 v5, s31, v3
	v_mul_lo_u32 v3, v5, s34
	s_delay_alu instid0(VALU_DEP_1) | instskip(SKIP_1) | instid1(VALU_DEP_1)
	v_sub_nc_u32_e32 v1, v1, v3
	s_waitcnt lgkmcnt(0)
	v_mad_u64_u32 v[3:4], null, v1, s35, v[0:1]
	s_delay_alu instid0(VALU_DEP_1)
	v_dual_mov_b32 v1, v5 :: v_dual_mov_b32 v0, v3
	s_cbranch_scc1 .LBB61_13
.LBB61_14:
	s_cbranch_execnz .LBB61_17
.LBB61_15:
	s_waitcnt lgkmcnt(0)
	v_mul_hi_u32 v0, s5, v2
	s_and_not1_b32 vcc_lo, exec_lo, s26
	s_delay_alu instid0(VALU_DEP_1) | instskip(NEXT) | instid1(VALU_DEP_1)
	v_add_nc_u32_e32 v0, v2, v0
	v_lshrrev_b32_e32 v1, s6, v0
	s_delay_alu instid0(VALU_DEP_1) | instskip(NEXT) | instid1(VALU_DEP_1)
	v_mul_lo_u32 v0, v1, s4
	v_sub_nc_u32_e32 v0, v2, v0
	s_delay_alu instid0(VALU_DEP_1)
	v_mul_lo_u32 v0, v0, s14
	s_cbranch_vccnz .LBB61_17
; %bb.16:
	v_mul_hi_u32 v3, s12, v1
	s_delay_alu instid0(VALU_DEP_1) | instskip(NEXT) | instid1(VALU_DEP_1)
	v_add_nc_u32_e32 v3, v1, v3
	v_lshrrev_b32_e32 v3, s13, v3
	s_delay_alu instid0(VALU_DEP_1) | instskip(NEXT) | instid1(VALU_DEP_1)
	v_mul_lo_u32 v3, v3, s7
	v_sub_nc_u32_e32 v1, v1, v3
	s_delay_alu instid0(VALU_DEP_1) | instskip(NEXT) | instid1(VALU_DEP_1)
	v_mad_u64_u32 v[3:4], null, v1, s15, v[0:1]
	v_mov_b32_e32 v0, v3
.LBB61_17:
	s_waitcnt lgkmcnt(0)
	v_dual_mov_b32 v3, s2 :: v_dual_mov_b32 v4, s3
	v_dual_mov_b32 v5, s10 :: v_dual_mov_b32 v6, s11
	v_add_nc_u32_e32 v2, 0x80, v2
	global_store_b128 v0, v[3:6], s[0:1]
	s_or_b32 exec_lo, exec_lo, s30
	s_delay_alu instid0(SALU_CYCLE_1)
	s_mov_b32 s30, exec_lo
	v_cmpx_gt_i32_e64 s27, v2
	s_cbranch_execz .LBB61_3
.LBB61_18:
	s_and_not1_b32 vcc_lo, exec_lo, s24
	s_cbranch_vccnz .LBB61_23
; %bb.19:
	v_mov_b32_e32 v0, 0
	s_and_not1_b32 vcc_lo, exec_lo, s29
	s_cbranch_vccnz .LBB61_28
; %bb.20:
	s_add_i32 s33, s28, 1
	s_cmp_eq_u32 s23, 2
	s_mov_b32 s31, 0
	s_cbranch_scc1 .LBB61_24
; %bb.21:
	v_dual_mov_b32 v0, 0 :: v_dual_mov_b32 v1, v2
	s_and_b32 s31, s33, 28
	s_mov_b32 s34, 0
	s_mov_b64 s[18:19], s[8:9]
	s_mov_b64 s[20:21], s[16:17]
.LBB61_22:                              ; =>This Inner Loop Header: Depth=1
	s_clause 0x1
	s_load_b256 s[36:43], s[18:19], 0x4
	s_load_b128 s[44:47], s[18:19], 0x24
	s_load_b128 s[48:51], s[20:21], 0x0
	s_add_u32 s18, s18, 48
	s_addc_u32 s19, s19, 0
	s_add_i32 s34, s34, 4
	s_add_u32 s20, s20, 16
	s_addc_u32 s21, s21, 0
	s_cmp_eq_u32 s31, s34
	s_waitcnt lgkmcnt(0)
	v_mul_hi_u32 v3, s37, v1
	s_delay_alu instid0(VALU_DEP_1) | instskip(NEXT) | instid1(VALU_DEP_1)
	v_add_nc_u32_e32 v3, v1, v3
	v_lshrrev_b32_e32 v3, s38, v3
	s_delay_alu instid0(VALU_DEP_1) | instskip(SKIP_1) | instid1(VALU_DEP_2)
	v_mul_hi_u32 v4, s40, v3
	v_mul_lo_u32 v7, v3, s36
	v_add_nc_u32_e32 v4, v3, v4
	s_delay_alu instid0(VALU_DEP_2) | instskip(NEXT) | instid1(VALU_DEP_2)
	v_sub_nc_u32_e32 v7, v1, v7
	v_lshrrev_b32_e32 v4, s41, v4
	s_delay_alu instid0(VALU_DEP_2) | instskip(NEXT) | instid1(VALU_DEP_2)
	v_mul_lo_u32 v7, v7, s48
	v_mul_hi_u32 v5, s43, v4
	v_mul_lo_u32 v8, v4, s39
	s_delay_alu instid0(VALU_DEP_2) | instskip(NEXT) | instid1(VALU_DEP_2)
	v_add_nc_u32_e32 v5, v4, v5
	v_sub_nc_u32_e32 v3, v3, v8
	s_delay_alu instid0(VALU_DEP_2) | instskip(NEXT) | instid1(VALU_DEP_2)
	v_lshrrev_b32_e32 v5, s44, v5
	v_mul_lo_u32 v3, v3, s49
	s_delay_alu instid0(VALU_DEP_2) | instskip(NEXT) | instid1(VALU_DEP_2)
	v_mul_hi_u32 v6, s46, v5
	v_add3_u32 v0, v7, v0, v3
	s_delay_alu instid0(VALU_DEP_2) | instskip(NEXT) | instid1(VALU_DEP_1)
	v_add_nc_u32_e32 v6, v5, v6
	v_lshrrev_b32_e32 v1, s47, v6
	v_mul_lo_u32 v6, v5, s42
	s_delay_alu instid0(VALU_DEP_2) | instskip(NEXT) | instid1(VALU_DEP_2)
	v_mul_lo_u32 v9, v1, s45
	v_sub_nc_u32_e32 v4, v4, v6
	s_delay_alu instid0(VALU_DEP_2) | instskip(NEXT) | instid1(VALU_DEP_2)
	v_sub_nc_u32_e32 v5, v5, v9
	v_mul_lo_u32 v4, v4, s50
	s_delay_alu instid0(VALU_DEP_2) | instskip(NEXT) | instid1(VALU_DEP_1)
	v_mul_lo_u32 v5, v5, s51
	v_add3_u32 v0, v4, v0, v5
	s_cbranch_scc0 .LBB61_22
	s_branch .LBB61_25
.LBB61_23:
                                        ; implicit-def: $vgpr0
	s_branch .LBB61_29
.LBB61_24:
	v_mov_b32_e32 v1, v2
.LBB61_25:
	s_and_b32 s33, s33, 3
	s_delay_alu instid0(SALU_CYCLE_1)
	s_cmp_eq_u32 s33, 0
	s_cbranch_scc1 .LBB61_28
; %bb.26:
	s_lshl_b32 s18, s31, 2
	s_mul_i32 s20, s31, 12
	s_add_u32 s18, s18, s8
	s_addc_u32 s19, s9, 0
	s_add_u32 s18, s18, 0xc4
	s_addc_u32 s19, s19, 0
	;; [unrolled: 2-line block ×3, first 2 shown]
	.p2align	6
.LBB61_27:                              ; =>This Inner Loop Header: Depth=1
	s_clause 0x1
	s_load_b64 s[34:35], s[20:21], 0x4
	s_load_b32 s31, s[20:21], 0xc
	s_add_u32 s20, s20, 12
	s_addc_u32 s21, s21, 0
	s_waitcnt lgkmcnt(0)
	v_mul_hi_u32 v3, s35, v1
	s_load_b32 s35, s[18:19], 0x0
	s_add_u32 s18, s18, 4
	s_addc_u32 s19, s19, 0
	s_add_i32 s33, s33, -1
	s_delay_alu instid0(SALU_CYCLE_1) | instskip(NEXT) | instid1(VALU_DEP_1)
	s_cmp_lg_u32 s33, 0
	v_add_nc_u32_e32 v3, v1, v3
	s_delay_alu instid0(VALU_DEP_1) | instskip(NEXT) | instid1(VALU_DEP_1)
	v_lshrrev_b32_e32 v5, s31, v3
	v_mul_lo_u32 v3, v5, s34
	s_delay_alu instid0(VALU_DEP_1) | instskip(SKIP_1) | instid1(VALU_DEP_1)
	v_sub_nc_u32_e32 v1, v1, v3
	s_waitcnt lgkmcnt(0)
	v_mad_u64_u32 v[3:4], null, v1, s35, v[0:1]
	s_delay_alu instid0(VALU_DEP_1)
	v_dual_mov_b32 v1, v5 :: v_dual_mov_b32 v0, v3
	s_cbranch_scc1 .LBB61_27
.LBB61_28:
	s_cbranch_execnz .LBB61_31
.LBB61_29:
	s_waitcnt lgkmcnt(0)
	v_mul_hi_u32 v0, s5, v2
	s_and_not1_b32 vcc_lo, exec_lo, s26
	s_delay_alu instid0(VALU_DEP_1) | instskip(NEXT) | instid1(VALU_DEP_1)
	v_add_nc_u32_e32 v0, v2, v0
	v_lshrrev_b32_e32 v1, s6, v0
	s_delay_alu instid0(VALU_DEP_1) | instskip(NEXT) | instid1(VALU_DEP_1)
	v_mul_lo_u32 v0, v1, s4
	v_sub_nc_u32_e32 v0, v2, v0
	s_delay_alu instid0(VALU_DEP_1)
	v_mul_lo_u32 v0, v0, s14
	s_cbranch_vccnz .LBB61_31
; %bb.30:
	v_mul_hi_u32 v3, s12, v1
	s_delay_alu instid0(VALU_DEP_1) | instskip(NEXT) | instid1(VALU_DEP_1)
	v_add_nc_u32_e32 v3, v1, v3
	v_lshrrev_b32_e32 v3, s13, v3
	s_delay_alu instid0(VALU_DEP_1) | instskip(NEXT) | instid1(VALU_DEP_1)
	v_mul_lo_u32 v3, v3, s7
	v_sub_nc_u32_e32 v1, v1, v3
	s_delay_alu instid0(VALU_DEP_1) | instskip(NEXT) | instid1(VALU_DEP_1)
	v_mad_u64_u32 v[3:4], null, v1, s15, v[0:1]
	v_mov_b32_e32 v0, v3
.LBB61_31:
	s_waitcnt lgkmcnt(0)
	v_dual_mov_b32 v3, s2 :: v_dual_mov_b32 v4, s3
	v_dual_mov_b32 v5, s10 :: v_dual_mov_b32 v6, s11
	v_add_nc_u32_e32 v2, 0x80, v2
	global_store_b128 v0, v[3:6], s[0:1]
	s_or_b32 exec_lo, exec_lo, s30
	s_delay_alu instid0(SALU_CYCLE_1)
	s_mov_b32 s30, exec_lo
	v_cmpx_gt_i32_e64 s27, v2
	s_cbranch_execz .LBB61_46
.LBB61_32:
	s_and_not1_b32 vcc_lo, exec_lo, s24
	s_cbranch_vccnz .LBB61_37
; %bb.33:
	v_mov_b32_e32 v0, 0
	s_and_not1_b32 vcc_lo, exec_lo, s29
	s_cbranch_vccnz .LBB61_42
; %bb.34:
	s_add_i32 s33, s28, 1
	s_cmp_eq_u32 s23, 2
	s_mov_b32 s31, 0
	s_cbranch_scc1 .LBB61_38
; %bb.35:
	v_dual_mov_b32 v0, 0 :: v_dual_mov_b32 v1, v2
	s_and_b32 s31, s33, 28
	s_mov_b32 s34, 0
	s_mov_b64 s[18:19], s[8:9]
	s_mov_b64 s[20:21], s[16:17]
.LBB61_36:                              ; =>This Inner Loop Header: Depth=1
	s_clause 0x1
	s_load_b256 s[36:43], s[18:19], 0x4
	s_load_b128 s[44:47], s[18:19], 0x24
	s_load_b128 s[48:51], s[20:21], 0x0
	s_add_u32 s18, s18, 48
	s_addc_u32 s19, s19, 0
	s_add_i32 s34, s34, 4
	s_add_u32 s20, s20, 16
	s_addc_u32 s21, s21, 0
	s_cmp_eq_u32 s31, s34
	s_waitcnt lgkmcnt(0)
	v_mul_hi_u32 v3, s37, v1
	s_delay_alu instid0(VALU_DEP_1) | instskip(NEXT) | instid1(VALU_DEP_1)
	v_add_nc_u32_e32 v3, v1, v3
	v_lshrrev_b32_e32 v3, s38, v3
	s_delay_alu instid0(VALU_DEP_1) | instskip(SKIP_1) | instid1(VALU_DEP_2)
	v_mul_hi_u32 v4, s40, v3
	v_mul_lo_u32 v7, v3, s36
	v_add_nc_u32_e32 v4, v3, v4
	s_delay_alu instid0(VALU_DEP_2) | instskip(NEXT) | instid1(VALU_DEP_2)
	v_sub_nc_u32_e32 v7, v1, v7
	v_lshrrev_b32_e32 v4, s41, v4
	s_delay_alu instid0(VALU_DEP_2) | instskip(NEXT) | instid1(VALU_DEP_2)
	v_mul_lo_u32 v7, v7, s48
	v_mul_hi_u32 v5, s43, v4
	v_mul_lo_u32 v8, v4, s39
	s_delay_alu instid0(VALU_DEP_2) | instskip(NEXT) | instid1(VALU_DEP_2)
	v_add_nc_u32_e32 v5, v4, v5
	v_sub_nc_u32_e32 v3, v3, v8
	s_delay_alu instid0(VALU_DEP_2) | instskip(NEXT) | instid1(VALU_DEP_2)
	v_lshrrev_b32_e32 v5, s44, v5
	v_mul_lo_u32 v3, v3, s49
	s_delay_alu instid0(VALU_DEP_2) | instskip(NEXT) | instid1(VALU_DEP_2)
	v_mul_hi_u32 v6, s46, v5
	v_add3_u32 v0, v7, v0, v3
	s_delay_alu instid0(VALU_DEP_2) | instskip(NEXT) | instid1(VALU_DEP_1)
	v_add_nc_u32_e32 v6, v5, v6
	v_lshrrev_b32_e32 v1, s47, v6
	v_mul_lo_u32 v6, v5, s42
	s_delay_alu instid0(VALU_DEP_2) | instskip(NEXT) | instid1(VALU_DEP_2)
	v_mul_lo_u32 v9, v1, s45
	v_sub_nc_u32_e32 v4, v4, v6
	s_delay_alu instid0(VALU_DEP_2) | instskip(NEXT) | instid1(VALU_DEP_2)
	v_sub_nc_u32_e32 v5, v5, v9
	v_mul_lo_u32 v4, v4, s50
	s_delay_alu instid0(VALU_DEP_2) | instskip(NEXT) | instid1(VALU_DEP_1)
	v_mul_lo_u32 v5, v5, s51
	v_add3_u32 v0, v4, v0, v5
	s_cbranch_scc0 .LBB61_36
	s_branch .LBB61_39
.LBB61_37:
                                        ; implicit-def: $vgpr0
	s_branch .LBB61_43
.LBB61_38:
	v_mov_b32_e32 v1, v2
.LBB61_39:
	s_and_b32 s33, s33, 3
	s_delay_alu instid0(SALU_CYCLE_1)
	s_cmp_eq_u32 s33, 0
	s_cbranch_scc1 .LBB61_42
; %bb.40:
	s_lshl_b32 s18, s31, 2
	s_mul_i32 s20, s31, 12
	s_add_u32 s18, s18, s8
	s_addc_u32 s19, s9, 0
	s_add_u32 s18, s18, 0xc4
	s_addc_u32 s19, s19, 0
	;; [unrolled: 2-line block ×3, first 2 shown]
	.p2align	6
.LBB61_41:                              ; =>This Inner Loop Header: Depth=1
	s_clause 0x1
	s_load_b64 s[34:35], s[20:21], 0x4
	s_load_b32 s31, s[20:21], 0xc
	s_add_u32 s20, s20, 12
	s_addc_u32 s21, s21, 0
	s_waitcnt lgkmcnt(0)
	v_mul_hi_u32 v3, s35, v1
	s_load_b32 s35, s[18:19], 0x0
	s_add_u32 s18, s18, 4
	s_addc_u32 s19, s19, 0
	s_add_i32 s33, s33, -1
	s_delay_alu instid0(SALU_CYCLE_1) | instskip(NEXT) | instid1(VALU_DEP_1)
	s_cmp_lg_u32 s33, 0
	v_add_nc_u32_e32 v3, v1, v3
	s_delay_alu instid0(VALU_DEP_1) | instskip(NEXT) | instid1(VALU_DEP_1)
	v_lshrrev_b32_e32 v5, s31, v3
	v_mul_lo_u32 v3, v5, s34
	s_delay_alu instid0(VALU_DEP_1) | instskip(SKIP_1) | instid1(VALU_DEP_1)
	v_sub_nc_u32_e32 v1, v1, v3
	s_waitcnt lgkmcnt(0)
	v_mad_u64_u32 v[3:4], null, v1, s35, v[0:1]
	s_delay_alu instid0(VALU_DEP_1)
	v_dual_mov_b32 v1, v5 :: v_dual_mov_b32 v0, v3
	s_cbranch_scc1 .LBB61_41
.LBB61_42:
	s_cbranch_execnz .LBB61_45
.LBB61_43:
	s_waitcnt lgkmcnt(0)
	v_mul_hi_u32 v0, s5, v2
	s_and_not1_b32 vcc_lo, exec_lo, s26
	s_delay_alu instid0(VALU_DEP_1) | instskip(NEXT) | instid1(VALU_DEP_1)
	v_add_nc_u32_e32 v0, v2, v0
	v_lshrrev_b32_e32 v1, s6, v0
	s_delay_alu instid0(VALU_DEP_1) | instskip(NEXT) | instid1(VALU_DEP_1)
	v_mul_lo_u32 v0, v1, s4
	v_sub_nc_u32_e32 v0, v2, v0
	s_delay_alu instid0(VALU_DEP_1)
	v_mul_lo_u32 v0, v0, s14
	s_cbranch_vccnz .LBB61_45
; %bb.44:
	v_mul_hi_u32 v3, s12, v1
	s_delay_alu instid0(VALU_DEP_1) | instskip(NEXT) | instid1(VALU_DEP_1)
	v_add_nc_u32_e32 v3, v1, v3
	v_lshrrev_b32_e32 v3, s13, v3
	s_delay_alu instid0(VALU_DEP_1) | instskip(NEXT) | instid1(VALU_DEP_1)
	v_mul_lo_u32 v3, v3, s7
	v_sub_nc_u32_e32 v1, v1, v3
	s_delay_alu instid0(VALU_DEP_1) | instskip(NEXT) | instid1(VALU_DEP_1)
	v_mad_u64_u32 v[3:4], null, v1, s15, v[0:1]
	v_mov_b32_e32 v0, v3
.LBB61_45:
	s_waitcnt lgkmcnt(0)
	v_dual_mov_b32 v3, s2 :: v_dual_mov_b32 v4, s3
	v_dual_mov_b32 v5, s10 :: v_dual_mov_b32 v6, s11
	v_add_nc_u32_e32 v2, 0x80, v2
	global_store_b128 v0, v[3:6], s[0:1]
.LBB61_46:
	s_or_b32 exec_lo, exec_lo, s30
	s_mov_b32 s18, 0
	s_mov_b32 s20, exec_lo
                                        ; implicit-def: $vgpr4_vgpr5
	v_cmpx_gt_i32_e64 s27, v2
	s_cbranch_execz .LBB61_61
; %bb.47:
	s_and_not1_b32 vcc_lo, exec_lo, s24
	s_cbranch_vccnz .LBB61_52
; %bb.48:
	v_mov_b32_e32 v0, 0
	s_and_not1_b32 vcc_lo, exec_lo, s29
	s_cbranch_vccnz .LBB61_57
; %bb.49:
	s_add_i32 s28, s28, 1
	s_cmp_eq_u32 s23, 2
	s_mov_b32 s21, 0
	s_cbranch_scc1 .LBB61_53
; %bb.50:
	v_dual_mov_b32 v0, 0 :: v_dual_mov_b32 v1, v2
	s_and_b32 s21, s28, 28
	s_mov_b32 s27, 0
	s_mov_b64 s[18:19], s[8:9]
.LBB61_51:                              ; =>This Inner Loop Header: Depth=1
	s_clause 0x1
	s_load_b256 s[36:43], s[18:19], 0x4
	s_load_b128 s[44:47], s[18:19], 0x24
	s_load_b128 s[48:51], s[16:17], 0x0
	s_add_u32 s18, s18, 48
	s_addc_u32 s19, s19, 0
	s_add_i32 s27, s27, 4
	s_add_u32 s16, s16, 16
	s_addc_u32 s17, s17, 0
	s_cmp_eq_u32 s21, s27
	s_waitcnt lgkmcnt(0)
	v_mul_hi_u32 v3, s37, v1
	s_delay_alu instid0(VALU_DEP_1) | instskip(NEXT) | instid1(VALU_DEP_1)
	v_add_nc_u32_e32 v3, v1, v3
	v_lshrrev_b32_e32 v3, s38, v3
	s_delay_alu instid0(VALU_DEP_1) | instskip(SKIP_1) | instid1(VALU_DEP_2)
	v_mul_hi_u32 v4, s40, v3
	v_mul_lo_u32 v7, v3, s36
	v_add_nc_u32_e32 v4, v3, v4
	s_delay_alu instid0(VALU_DEP_2) | instskip(NEXT) | instid1(VALU_DEP_2)
	v_sub_nc_u32_e32 v7, v1, v7
	v_lshrrev_b32_e32 v4, s41, v4
	s_delay_alu instid0(VALU_DEP_2) | instskip(NEXT) | instid1(VALU_DEP_2)
	v_mul_lo_u32 v7, v7, s48
	v_mul_hi_u32 v5, s43, v4
	v_mul_lo_u32 v8, v4, s39
	s_delay_alu instid0(VALU_DEP_2) | instskip(NEXT) | instid1(VALU_DEP_2)
	v_add_nc_u32_e32 v5, v4, v5
	v_sub_nc_u32_e32 v3, v3, v8
	s_delay_alu instid0(VALU_DEP_2) | instskip(NEXT) | instid1(VALU_DEP_2)
	v_lshrrev_b32_e32 v5, s44, v5
	v_mul_lo_u32 v3, v3, s49
	s_delay_alu instid0(VALU_DEP_2) | instskip(NEXT) | instid1(VALU_DEP_2)
	v_mul_hi_u32 v6, s46, v5
	v_add3_u32 v0, v7, v0, v3
	s_delay_alu instid0(VALU_DEP_2) | instskip(NEXT) | instid1(VALU_DEP_1)
	v_add_nc_u32_e32 v6, v5, v6
	v_lshrrev_b32_e32 v1, s47, v6
	v_mul_lo_u32 v6, v5, s42
	s_delay_alu instid0(VALU_DEP_2) | instskip(NEXT) | instid1(VALU_DEP_2)
	v_mul_lo_u32 v9, v1, s45
	v_sub_nc_u32_e32 v4, v4, v6
	s_delay_alu instid0(VALU_DEP_2) | instskip(NEXT) | instid1(VALU_DEP_2)
	v_sub_nc_u32_e32 v5, v5, v9
	v_mul_lo_u32 v4, v4, s50
	s_delay_alu instid0(VALU_DEP_2) | instskip(NEXT) | instid1(VALU_DEP_1)
	v_mul_lo_u32 v5, v5, s51
	v_add3_u32 v0, v4, v0, v5
	s_cbranch_scc0 .LBB61_51
	s_branch .LBB61_54
.LBB61_52:
                                        ; implicit-def: $vgpr0
	s_branch .LBB61_58
.LBB61_53:
	v_mov_b32_e32 v1, v2
.LBB61_54:
	s_and_b32 s27, s28, 3
	s_delay_alu instid0(SALU_CYCLE_1)
	s_cmp_eq_u32 s27, 0
	s_cbranch_scc1 .LBB61_57
; %bb.55:
	s_lshl_b32 s16, s21, 2
	s_mul_i32 s18, s21, 12
	s_add_u32 s16, s16, s8
	s_addc_u32 s17, s9, 0
	s_add_u32 s16, s16, 0xc4
	s_addc_u32 s17, s17, 0
	;; [unrolled: 2-line block ×3, first 2 shown]
	.p2align	6
.LBB61_56:                              ; =>This Inner Loop Header: Depth=1
	s_clause 0x1
	s_load_b64 s[28:29], s[18:19], 0x4
	s_load_b32 s21, s[18:19], 0xc
	s_add_u32 s18, s18, 12
	s_addc_u32 s19, s19, 0
	s_waitcnt lgkmcnt(0)
	v_mul_hi_u32 v3, s29, v1
	s_load_b32 s29, s[16:17], 0x0
	s_add_u32 s16, s16, 4
	s_addc_u32 s17, s17, 0
	s_add_i32 s27, s27, -1
	s_delay_alu instid0(SALU_CYCLE_1) | instskip(NEXT) | instid1(VALU_DEP_1)
	s_cmp_lg_u32 s27, 0
	v_add_nc_u32_e32 v3, v1, v3
	s_delay_alu instid0(VALU_DEP_1) | instskip(NEXT) | instid1(VALU_DEP_1)
	v_lshrrev_b32_e32 v5, s21, v3
	v_mul_lo_u32 v3, v5, s28
	s_delay_alu instid0(VALU_DEP_1) | instskip(SKIP_1) | instid1(VALU_DEP_1)
	v_sub_nc_u32_e32 v1, v1, v3
	s_waitcnt lgkmcnt(0)
	v_mad_u64_u32 v[3:4], null, v1, s29, v[0:1]
	s_delay_alu instid0(VALU_DEP_1)
	v_dual_mov_b32 v1, v5 :: v_dual_mov_b32 v0, v3
	s_cbranch_scc1 .LBB61_56
.LBB61_57:
	s_cbranch_execnz .LBB61_60
.LBB61_58:
	s_waitcnt lgkmcnt(0)
	v_mul_hi_u32 v0, s5, v2
	s_and_not1_b32 vcc_lo, exec_lo, s26
	s_delay_alu instid0(VALU_DEP_1) | instskip(NEXT) | instid1(VALU_DEP_1)
	v_add_nc_u32_e32 v0, v2, v0
	v_lshrrev_b32_e32 v1, s6, v0
	s_delay_alu instid0(VALU_DEP_1) | instskip(NEXT) | instid1(VALU_DEP_1)
	v_mul_lo_u32 v0, v1, s4
	v_sub_nc_u32_e32 v0, v2, v0
	s_delay_alu instid0(VALU_DEP_1)
	v_mul_lo_u32 v0, v0, s14
	s_cbranch_vccnz .LBB61_60
; %bb.59:
	v_mul_hi_u32 v2, s12, v1
	s_delay_alu instid0(VALU_DEP_1) | instskip(NEXT) | instid1(VALU_DEP_1)
	v_add_nc_u32_e32 v2, v1, v2
	v_lshrrev_b32_e32 v2, s13, v2
	s_delay_alu instid0(VALU_DEP_1) | instskip(NEXT) | instid1(VALU_DEP_1)
	v_mul_lo_u32 v2, v2, s7
	v_sub_nc_u32_e32 v3, v1, v2
	s_delay_alu instid0(VALU_DEP_1) | instskip(NEXT) | instid1(VALU_DEP_1)
	v_mad_u64_u32 v[1:2], null, v3, s15, v[0:1]
	v_mov_b32_e32 v0, v1
.LBB61_60:
	s_waitcnt lgkmcnt(0)
	v_dual_mov_b32 v1, s2 :: v_dual_mov_b32 v2, s3
	s_delay_alu instid0(VALU_DEP_2) | instskip(NEXT) | instid1(VALU_DEP_1)
	v_add_co_u32 v4, s2, s0, v0
	v_add_co_ci_u32_e64 v5, null, s1, 0, s2
	s_mov_b32 s18, exec_lo
	global_store_b64 v0, v[1:2], s[0:1]
.LBB61_61:
	s_or_b32 exec_lo, exec_lo, s20
	s_waitcnt lgkmcnt(0)
	s_and_b32 s4, s18, exec_lo
                                        ; implicit-def: $vgpr8
                                        ; implicit-def: $vgpr2
.LBB61_62:
	s_or_saveexec_b32 s5, s25
	v_dual_mov_b32 v6, s10 :: v_dual_mov_b32 v7, s11
	s_xor_b32 exec_lo, exec_lo, s5
	s_cbranch_execnz .LBB61_65
; %bb.63:
	s_or_b32 exec_lo, exec_lo, s5
	s_and_saveexec_b32 s0, s4
	s_cbranch_execnz .LBB61_118
.LBB61_64:
	s_nop 0
	s_sendmsg sendmsg(MSG_DEALLOC_VGPRS)
	s_endpgm
.LBB61_65:
	v_cndmask_b32_e64 v3, 0, 1, s24
	s_and_not1_b32 vcc_lo, exec_lo, s24
	s_cbranch_vccnz .LBB61_71
; %bb.66:
	v_mov_b32_e32 v0, 0
	s_cmp_eq_u32 s22, 0
	s_mov_b32 s6, 0
	s_cbranch_scc1 .LBB61_75
; %bb.67:
	s_min_u32 s7, s23, 15
	v_mov_b32_e32 v0, 0
	s_add_i32 s7, s7, 1
	s_cmp_eq_u32 s23, 2
	s_mov_b32 s10, 0
	s_cbranch_scc1 .LBB61_72
; %bb.68:
	v_dual_mov_b32 v0, 0 :: v_dual_mov_b32 v1, v2
	s_add_u32 s0, s8, 0xc4
	s_addc_u32 s1, s9, 0
	s_and_b32 s10, s7, 28
	s_mov_b32 s11, 0
	s_mov_b64 s[2:3], s[8:9]
.LBB61_69:                              ; =>This Inner Loop Header: Depth=1
	s_clause 0x1
	s_load_b256 s[12:19], s[2:3], 0x4
	s_load_b128 s[24:27], s[2:3], 0x24
	s_load_b128 s[28:31], s[0:1], 0x0
	s_add_u32 s2, s2, 48
	s_addc_u32 s3, s3, 0
	s_add_i32 s11, s11, 4
	s_add_u32 s0, s0, 16
	s_addc_u32 s1, s1, 0
	s_cmp_lg_u32 s10, s11
	s_waitcnt lgkmcnt(0)
	v_mul_hi_u32 v4, s13, v1
	s_delay_alu instid0(VALU_DEP_1) | instskip(NEXT) | instid1(VALU_DEP_1)
	v_add_nc_u32_e32 v4, v1, v4
	v_lshrrev_b32_e32 v4, s14, v4
	s_delay_alu instid0(VALU_DEP_1) | instskip(SKIP_1) | instid1(VALU_DEP_2)
	v_mul_hi_u32 v5, s16, v4
	v_mul_lo_u32 v9, v4, s12
	v_add_nc_u32_e32 v5, v4, v5
	s_delay_alu instid0(VALU_DEP_2) | instskip(NEXT) | instid1(VALU_DEP_2)
	v_sub_nc_u32_e32 v9, v1, v9
	v_lshrrev_b32_e32 v5, s17, v5
	s_delay_alu instid0(VALU_DEP_2) | instskip(NEXT) | instid1(VALU_DEP_2)
	v_mul_lo_u32 v9, v9, s28
	v_mul_hi_u32 v6, s19, v5
	v_mul_lo_u32 v10, v5, s15
	s_delay_alu instid0(VALU_DEP_2) | instskip(NEXT) | instid1(VALU_DEP_2)
	v_add_nc_u32_e32 v6, v5, v6
	v_sub_nc_u32_e32 v4, v4, v10
	s_delay_alu instid0(VALU_DEP_2) | instskip(NEXT) | instid1(VALU_DEP_2)
	v_lshrrev_b32_e32 v6, s24, v6
	v_mul_lo_u32 v4, v4, s29
	s_delay_alu instid0(VALU_DEP_2) | instskip(NEXT) | instid1(VALU_DEP_2)
	v_mul_hi_u32 v7, s26, v6
	v_add3_u32 v0, v9, v0, v4
	s_delay_alu instid0(VALU_DEP_2) | instskip(NEXT) | instid1(VALU_DEP_1)
	v_add_nc_u32_e32 v7, v6, v7
	v_lshrrev_b32_e32 v1, s27, v7
	v_mul_lo_u32 v7, v6, s18
	s_delay_alu instid0(VALU_DEP_2) | instskip(NEXT) | instid1(VALU_DEP_2)
	v_mul_lo_u32 v11, v1, s25
	v_sub_nc_u32_e32 v5, v5, v7
	s_delay_alu instid0(VALU_DEP_2) | instskip(NEXT) | instid1(VALU_DEP_2)
	v_sub_nc_u32_e32 v6, v6, v11
	v_mul_lo_u32 v5, v5, s30
	s_delay_alu instid0(VALU_DEP_2) | instskip(NEXT) | instid1(VALU_DEP_1)
	v_mul_lo_u32 v6, v6, s31
	v_add3_u32 v0, v5, v0, v6
	s_cbranch_scc1 .LBB61_69
; %bb.70:
	s_and_b32 s7, s7, 3
	s_delay_alu instid0(SALU_CYCLE_1)
	s_cmp_eq_u32 s7, 0
	s_cbranch_scc0 .LBB61_73
	s_branch .LBB61_75
.LBB61_71:
	s_mov_b32 s6, -1
                                        ; implicit-def: $vgpr0
	s_branch .LBB61_75
.LBB61_72:
	v_mov_b32_e32 v1, v2
	s_and_b32 s7, s7, 3
	s_delay_alu instid0(SALU_CYCLE_1)
	s_cmp_eq_u32 s7, 0
	s_cbranch_scc1 .LBB61_75
.LBB61_73:
	s_lshl_b32 s0, s10, 2
	s_mul_i32 s2, s10, 12
	s_add_u32 s0, s0, s8
	s_addc_u32 s1, 0, s9
	s_add_u32 s0, s0, 0xc4
	s_addc_u32 s1, s1, 0
	;; [unrolled: 2-line block ×3, first 2 shown]
	.p2align	6
.LBB61_74:                              ; =>This Inner Loop Header: Depth=1
	s_clause 0x1
	s_load_b64 s[10:11], s[2:3], 0x4
	s_load_b32 s12, s[2:3], 0xc
	s_add_u32 s2, s2, 12
	s_addc_u32 s3, s3, 0
	s_waitcnt lgkmcnt(0)
	v_mul_hi_u32 v4, s11, v1
	s_load_b32 s11, s[0:1], 0x0
	s_add_u32 s0, s0, 4
	s_addc_u32 s1, s1, 0
	s_add_i32 s7, s7, -1
	s_delay_alu instid0(SALU_CYCLE_1) | instskip(NEXT) | instid1(VALU_DEP_1)
	s_cmp_lg_u32 s7, 0
	v_add_nc_u32_e32 v4, v1, v4
	s_delay_alu instid0(VALU_DEP_1) | instskip(NEXT) | instid1(VALU_DEP_1)
	v_lshrrev_b32_e32 v6, s12, v4
	v_mul_lo_u32 v4, v6, s10
	s_delay_alu instid0(VALU_DEP_1) | instskip(SKIP_1) | instid1(VALU_DEP_1)
	v_sub_nc_u32_e32 v1, v1, v4
	s_waitcnt lgkmcnt(0)
	v_mad_u64_u32 v[4:5], null, v1, s11, v[0:1]
	s_delay_alu instid0(VALU_DEP_1)
	v_dual_mov_b32 v1, v6 :: v_dual_mov_b32 v0, v4
	s_cbranch_scc1 .LBB61_74
.LBB61_75:
	s_and_not1_b32 vcc_lo, exec_lo, s6
	s_cbranch_vccnz .LBB61_78
; %bb.76:
	s_load_b128 s[0:3], s[8:9], 0x4
	s_waitcnt lgkmcnt(0)
	s_load_b32 s3, s[8:9], 0xc4
	s_cmp_lt_u32 s22, 2
	v_mul_hi_u32 v0, s1, v2
	s_delay_alu instid0(VALU_DEP_1) | instskip(NEXT) | instid1(VALU_DEP_1)
	v_add_nc_u32_e32 v0, v2, v0
	v_lshrrev_b32_e32 v1, s2, v0
	s_delay_alu instid0(VALU_DEP_1) | instskip(NEXT) | instid1(VALU_DEP_1)
	v_mul_lo_u32 v0, v1, s0
	v_sub_nc_u32_e32 v0, v2, v0
	s_waitcnt lgkmcnt(0)
	s_delay_alu instid0(VALU_DEP_1)
	v_mul_lo_u32 v0, v0, s3
	s_cbranch_scc1 .LBB61_78
; %bb.77:
	s_load_b128 s[0:3], s[8:9], 0x10
	s_waitcnt lgkmcnt(0)
	s_load_b32 s3, s[8:9], 0xc8
	v_mul_hi_u32 v4, s1, v1
	s_delay_alu instid0(VALU_DEP_1) | instskip(NEXT) | instid1(VALU_DEP_1)
	v_add_nc_u32_e32 v4, v1, v4
	v_lshrrev_b32_e32 v4, s2, v4
	s_delay_alu instid0(VALU_DEP_1) | instskip(NEXT) | instid1(VALU_DEP_1)
	v_mul_lo_u32 v4, v4, s0
	v_sub_nc_u32_e32 v1, v1, v4
	s_waitcnt lgkmcnt(0)
	s_delay_alu instid0(VALU_DEP_1) | instskip(NEXT) | instid1(VALU_DEP_1)
	v_mad_u64_u32 v[4:5], null, v1, s3, v[0:1]
	v_mov_b32_e32 v0, v4
.LBB61_78:
	v_cmp_ne_u32_e32 vcc_lo, 1, v3
	v_add_nc_u32_e32 v4, 0x80, v2
	s_cbranch_vccnz .LBB61_84
; %bb.79:
	v_mov_b32_e32 v1, 0
	s_cmp_eq_u32 s22, 0
	s_mov_b32 s6, 0
	s_cbranch_scc1 .LBB61_88
; %bb.80:
	s_min_u32 s7, s23, 15
	v_mov_b32_e32 v1, 0
	s_add_i32 s7, s7, 1
	s_cmp_eq_u32 s23, 2
	s_mov_b32 s10, 0
	s_cbranch_scc1 .LBB61_85
; %bb.81:
	v_mov_b32_e32 v1, 0
	v_mov_b32_e32 v5, v4
	s_add_u32 s0, s8, 0xc4
	s_addc_u32 s1, s9, 0
	s_and_b32 s10, s7, 28
	s_mov_b32 s11, 0
	s_mov_b64 s[2:3], s[8:9]
.LBB61_82:                              ; =>This Inner Loop Header: Depth=1
	s_clause 0x1
	s_load_b256 s[12:19], s[2:3], 0x4
	s_load_b128 s[24:27], s[2:3], 0x24
	s_load_b128 s[28:31], s[0:1], 0x0
	s_add_u32 s2, s2, 48
	s_addc_u32 s3, s3, 0
	s_add_i32 s11, s11, 4
	s_add_u32 s0, s0, 16
	s_addc_u32 s1, s1, 0
	s_cmp_lg_u32 s10, s11
	s_waitcnt lgkmcnt(0)
	v_mul_hi_u32 v6, s13, v5
	s_delay_alu instid0(VALU_DEP_1) | instskip(NEXT) | instid1(VALU_DEP_1)
	v_add_nc_u32_e32 v6, v5, v6
	v_lshrrev_b32_e32 v6, s14, v6
	s_delay_alu instid0(VALU_DEP_1) | instskip(SKIP_1) | instid1(VALU_DEP_2)
	v_mul_hi_u32 v7, s16, v6
	v_mul_lo_u32 v11, v6, s12
	v_add_nc_u32_e32 v7, v6, v7
	s_delay_alu instid0(VALU_DEP_2) | instskip(NEXT) | instid1(VALU_DEP_2)
	v_sub_nc_u32_e32 v11, v5, v11
	v_lshrrev_b32_e32 v7, s17, v7
	s_delay_alu instid0(VALU_DEP_2) | instskip(NEXT) | instid1(VALU_DEP_2)
	v_mul_lo_u32 v11, v11, s28
	v_mul_hi_u32 v9, s19, v7
	v_mul_lo_u32 v12, v7, s15
	s_delay_alu instid0(VALU_DEP_2) | instskip(NEXT) | instid1(VALU_DEP_2)
	v_add_nc_u32_e32 v9, v7, v9
	v_sub_nc_u32_e32 v6, v6, v12
	s_delay_alu instid0(VALU_DEP_2) | instskip(NEXT) | instid1(VALU_DEP_2)
	v_lshrrev_b32_e32 v9, s24, v9
	v_mul_lo_u32 v6, v6, s29
	s_delay_alu instid0(VALU_DEP_2) | instskip(NEXT) | instid1(VALU_DEP_2)
	v_mul_hi_u32 v10, s26, v9
	v_add3_u32 v1, v11, v1, v6
	s_delay_alu instid0(VALU_DEP_2) | instskip(NEXT) | instid1(VALU_DEP_1)
	v_add_nc_u32_e32 v10, v9, v10
	v_lshrrev_b32_e32 v5, s27, v10
	v_mul_lo_u32 v10, v9, s18
	s_delay_alu instid0(VALU_DEP_2) | instskip(NEXT) | instid1(VALU_DEP_2)
	v_mul_lo_u32 v13, v5, s25
	v_sub_nc_u32_e32 v7, v7, v10
	s_delay_alu instid0(VALU_DEP_2) | instskip(NEXT) | instid1(VALU_DEP_2)
	v_sub_nc_u32_e32 v9, v9, v13
	v_mul_lo_u32 v7, v7, s30
	s_delay_alu instid0(VALU_DEP_2) | instskip(NEXT) | instid1(VALU_DEP_1)
	v_mul_lo_u32 v9, v9, s31
	v_add3_u32 v1, v7, v1, v9
	s_cbranch_scc1 .LBB61_82
; %bb.83:
	s_and_b32 s7, s7, 3
	s_delay_alu instid0(SALU_CYCLE_1)
	s_cmp_eq_u32 s7, 0
	s_cbranch_scc0 .LBB61_86
	s_branch .LBB61_88
.LBB61_84:
	s_mov_b32 s6, -1
                                        ; implicit-def: $vgpr1
	s_branch .LBB61_88
.LBB61_85:
	v_mov_b32_e32 v5, v4
	s_and_b32 s7, s7, 3
	s_delay_alu instid0(SALU_CYCLE_1)
	s_cmp_eq_u32 s7, 0
	s_cbranch_scc1 .LBB61_88
.LBB61_86:
	s_lshl_b32 s0, s10, 2
	s_mul_i32 s2, s10, 12
	s_add_u32 s0, s0, s8
	s_addc_u32 s1, 0, s9
	s_add_u32 s0, s0, 0xc4
	s_addc_u32 s1, s1, 0
	;; [unrolled: 2-line block ×3, first 2 shown]
	.p2align	6
.LBB61_87:                              ; =>This Inner Loop Header: Depth=1
	s_clause 0x1
	s_load_b64 s[10:11], s[2:3], 0x4
	s_load_b32 s12, s[2:3], 0xc
	s_add_u32 s2, s2, 12
	s_addc_u32 s3, s3, 0
	s_waitcnt lgkmcnt(0)
	v_mul_hi_u32 v6, s11, v5
	s_load_b32 s11, s[0:1], 0x0
	s_add_u32 s0, s0, 4
	s_addc_u32 s1, s1, 0
	s_add_i32 s7, s7, -1
	s_delay_alu instid0(SALU_CYCLE_1) | instskip(NEXT) | instid1(VALU_DEP_1)
	s_cmp_lg_u32 s7, 0
	v_add_nc_u32_e32 v6, v5, v6
	s_delay_alu instid0(VALU_DEP_1) | instskip(NEXT) | instid1(VALU_DEP_1)
	v_lshrrev_b32_e32 v9, s12, v6
	v_mul_lo_u32 v6, v9, s10
	s_delay_alu instid0(VALU_DEP_1) | instskip(SKIP_1) | instid1(VALU_DEP_1)
	v_sub_nc_u32_e32 v5, v5, v6
	s_waitcnt lgkmcnt(0)
	v_mad_u64_u32 v[6:7], null, v5, s11, v[1:2]
	v_mov_b32_e32 v5, v9
	s_delay_alu instid0(VALU_DEP_2)
	v_mov_b32_e32 v1, v6
	s_cbranch_scc1 .LBB61_87
.LBB61_88:
	s_and_not1_b32 vcc_lo, exec_lo, s6
	s_cbranch_vccnz .LBB61_91
; %bb.89:
	s_load_b128 s[0:3], s[8:9], 0x4
	s_waitcnt lgkmcnt(0)
	s_load_b32 s3, s[8:9], 0xc4
	s_cmp_lt_u32 s22, 2
	v_mul_hi_u32 v1, s1, v4
	s_delay_alu instid0(VALU_DEP_1) | instskip(NEXT) | instid1(VALU_DEP_1)
	v_add_nc_u32_e32 v1, v4, v1
	v_lshrrev_b32_e32 v5, s2, v1
	s_delay_alu instid0(VALU_DEP_1) | instskip(NEXT) | instid1(VALU_DEP_1)
	v_mul_lo_u32 v1, v5, s0
	v_sub_nc_u32_e32 v1, v4, v1
	s_waitcnt lgkmcnt(0)
	s_delay_alu instid0(VALU_DEP_1)
	v_mul_lo_u32 v1, v1, s3
	s_cbranch_scc1 .LBB61_91
; %bb.90:
	s_load_b128 s[0:3], s[8:9], 0x10
	s_waitcnt lgkmcnt(0)
	s_load_b32 s3, s[8:9], 0xc8
	v_mul_hi_u32 v4, s1, v5
	s_delay_alu instid0(VALU_DEP_1) | instskip(NEXT) | instid1(VALU_DEP_1)
	v_add_nc_u32_e32 v4, v5, v4
	v_lshrrev_b32_e32 v4, s2, v4
	s_delay_alu instid0(VALU_DEP_1) | instskip(NEXT) | instid1(VALU_DEP_1)
	v_mul_lo_u32 v4, v4, s0
	v_sub_nc_u32_e32 v6, v5, v4
	s_waitcnt lgkmcnt(0)
	s_delay_alu instid0(VALU_DEP_1) | instskip(NEXT) | instid1(VALU_DEP_1)
	v_mad_u64_u32 v[4:5], null, v6, s3, v[1:2]
	v_mov_b32_e32 v1, v4
.LBB61_91:
	v_cmp_ne_u32_e32 vcc_lo, 1, v3
	v_add_nc_u32_e32 v4, 0x100, v2
	s_cbranch_vccnz .LBB61_97
; %bb.92:
	v_mov_b32_e32 v2, 0
	s_cmp_eq_u32 s22, 0
	s_mov_b32 s6, 0
	s_cbranch_scc1 .LBB61_101
; %bb.93:
	s_min_u32 s7, s23, 15
	v_mov_b32_e32 v2, 0
	s_add_i32 s7, s7, 1
	s_cmp_eq_u32 s23, 2
	s_mov_b32 s10, 0
	s_cbranch_scc1 .LBB61_98
; %bb.94:
	v_dual_mov_b32 v2, 0 :: v_dual_mov_b32 v5, v4
	s_add_u32 s0, s8, 0xc4
	s_addc_u32 s1, s9, 0
	s_and_b32 s10, s7, 28
	s_mov_b32 s11, 0
	s_mov_b64 s[2:3], s[8:9]
.LBB61_95:                              ; =>This Inner Loop Header: Depth=1
	s_clause 0x1
	s_load_b256 s[12:19], s[2:3], 0x4
	s_load_b128 s[24:27], s[2:3], 0x24
	s_load_b128 s[28:31], s[0:1], 0x0
	s_add_u32 s2, s2, 48
	s_addc_u32 s3, s3, 0
	s_add_i32 s11, s11, 4
	s_add_u32 s0, s0, 16
	s_addc_u32 s1, s1, 0
	s_cmp_lg_u32 s10, s11
	s_waitcnt lgkmcnt(0)
	v_mul_hi_u32 v6, s13, v5
	s_delay_alu instid0(VALU_DEP_1) | instskip(NEXT) | instid1(VALU_DEP_1)
	v_add_nc_u32_e32 v6, v5, v6
	v_lshrrev_b32_e32 v6, s14, v6
	s_delay_alu instid0(VALU_DEP_1) | instskip(SKIP_1) | instid1(VALU_DEP_2)
	v_mul_hi_u32 v7, s16, v6
	v_mul_lo_u32 v11, v6, s12
	v_add_nc_u32_e32 v7, v6, v7
	s_delay_alu instid0(VALU_DEP_2) | instskip(NEXT) | instid1(VALU_DEP_2)
	v_sub_nc_u32_e32 v11, v5, v11
	v_lshrrev_b32_e32 v7, s17, v7
	s_delay_alu instid0(VALU_DEP_2) | instskip(NEXT) | instid1(VALU_DEP_2)
	v_mul_lo_u32 v11, v11, s28
	v_mul_hi_u32 v9, s19, v7
	v_mul_lo_u32 v12, v7, s15
	s_delay_alu instid0(VALU_DEP_2) | instskip(NEXT) | instid1(VALU_DEP_2)
	v_add_nc_u32_e32 v9, v7, v9
	v_sub_nc_u32_e32 v6, v6, v12
	s_delay_alu instid0(VALU_DEP_2) | instskip(NEXT) | instid1(VALU_DEP_2)
	v_lshrrev_b32_e32 v9, s24, v9
	v_mul_lo_u32 v6, v6, s29
	s_delay_alu instid0(VALU_DEP_2) | instskip(NEXT) | instid1(VALU_DEP_2)
	v_mul_hi_u32 v10, s26, v9
	v_add3_u32 v2, v11, v2, v6
	s_delay_alu instid0(VALU_DEP_2) | instskip(NEXT) | instid1(VALU_DEP_1)
	v_add_nc_u32_e32 v10, v9, v10
	v_lshrrev_b32_e32 v5, s27, v10
	v_mul_lo_u32 v10, v9, s18
	s_delay_alu instid0(VALU_DEP_2) | instskip(NEXT) | instid1(VALU_DEP_2)
	v_mul_lo_u32 v13, v5, s25
	v_sub_nc_u32_e32 v7, v7, v10
	s_delay_alu instid0(VALU_DEP_2) | instskip(NEXT) | instid1(VALU_DEP_2)
	v_sub_nc_u32_e32 v9, v9, v13
	v_mul_lo_u32 v7, v7, s30
	s_delay_alu instid0(VALU_DEP_2) | instskip(NEXT) | instid1(VALU_DEP_1)
	v_mul_lo_u32 v9, v9, s31
	v_add3_u32 v2, v7, v2, v9
	s_cbranch_scc1 .LBB61_95
; %bb.96:
	s_and_b32 s7, s7, 3
	s_delay_alu instid0(SALU_CYCLE_1)
	s_cmp_eq_u32 s7, 0
	s_cbranch_scc0 .LBB61_99
	s_branch .LBB61_101
.LBB61_97:
	s_mov_b32 s6, -1
                                        ; implicit-def: $vgpr2
	s_branch .LBB61_101
.LBB61_98:
	v_mov_b32_e32 v5, v4
	s_and_b32 s7, s7, 3
	s_delay_alu instid0(SALU_CYCLE_1)
	s_cmp_eq_u32 s7, 0
	s_cbranch_scc1 .LBB61_101
.LBB61_99:
	s_lshl_b32 s0, s10, 2
	s_mul_i32 s2, s10, 12
	s_add_u32 s0, s0, s8
	s_addc_u32 s1, 0, s9
	s_add_u32 s0, s0, 0xc4
	s_addc_u32 s1, s1, 0
	;; [unrolled: 2-line block ×3, first 2 shown]
	.p2align	6
.LBB61_100:                             ; =>This Inner Loop Header: Depth=1
	s_clause 0x1
	s_load_b64 s[10:11], s[2:3], 0x4
	s_load_b32 s12, s[2:3], 0xc
	s_add_u32 s2, s2, 12
	s_addc_u32 s3, s3, 0
	s_waitcnt lgkmcnt(0)
	v_mul_hi_u32 v6, s11, v5
	s_load_b32 s11, s[0:1], 0x0
	s_add_u32 s0, s0, 4
	s_addc_u32 s1, s1, 0
	s_add_i32 s7, s7, -1
	s_delay_alu instid0(SALU_CYCLE_1) | instskip(NEXT) | instid1(VALU_DEP_1)
	s_cmp_lg_u32 s7, 0
	v_add_nc_u32_e32 v6, v5, v6
	s_delay_alu instid0(VALU_DEP_1) | instskip(NEXT) | instid1(VALU_DEP_1)
	v_lshrrev_b32_e32 v9, s12, v6
	v_mul_lo_u32 v6, v9, s10
	s_delay_alu instid0(VALU_DEP_1) | instskip(SKIP_1) | instid1(VALU_DEP_1)
	v_sub_nc_u32_e32 v5, v5, v6
	s_waitcnt lgkmcnt(0)
	v_mad_u64_u32 v[6:7], null, v5, s11, v[2:3]
	s_delay_alu instid0(VALU_DEP_1)
	v_dual_mov_b32 v5, v9 :: v_dual_mov_b32 v2, v6
	s_cbranch_scc1 .LBB61_100
.LBB61_101:
	s_and_not1_b32 vcc_lo, exec_lo, s6
	s_cbranch_vccnz .LBB61_104
; %bb.102:
	s_load_b128 s[0:3], s[8:9], 0x4
	s_waitcnt lgkmcnt(0)
	s_load_b32 s3, s[8:9], 0xc4
	s_cmp_lt_u32 s22, 2
	v_mul_hi_u32 v2, s1, v4
	s_delay_alu instid0(VALU_DEP_1) | instskip(NEXT) | instid1(VALU_DEP_1)
	v_add_nc_u32_e32 v2, v4, v2
	v_lshrrev_b32_e32 v5, s2, v2
	s_delay_alu instid0(VALU_DEP_1) | instskip(NEXT) | instid1(VALU_DEP_1)
	v_mul_lo_u32 v2, v5, s0
	v_sub_nc_u32_e32 v2, v4, v2
	s_waitcnt lgkmcnt(0)
	s_delay_alu instid0(VALU_DEP_1)
	v_mul_lo_u32 v2, v2, s3
	s_cbranch_scc1 .LBB61_104
; %bb.103:
	s_load_b128 s[0:3], s[8:9], 0x10
	s_waitcnt lgkmcnt(0)
	s_load_b32 s3, s[8:9], 0xc8
	v_mul_hi_u32 v4, s1, v5
	s_delay_alu instid0(VALU_DEP_1) | instskip(NEXT) | instid1(VALU_DEP_1)
	v_add_nc_u32_e32 v4, v5, v4
	v_lshrrev_b32_e32 v4, s2, v4
	s_delay_alu instid0(VALU_DEP_1) | instskip(NEXT) | instid1(VALU_DEP_1)
	v_mul_lo_u32 v4, v4, s0
	v_sub_nc_u32_e32 v6, v5, v4
	s_waitcnt lgkmcnt(0)
	s_delay_alu instid0(VALU_DEP_1) | instskip(NEXT) | instid1(VALU_DEP_1)
	v_mad_u64_u32 v[4:5], null, v6, s3, v[2:3]
	v_mov_b32_e32 v2, v4
.LBB61_104:
	v_cmp_ne_u32_e32 vcc_lo, 1, v3
	s_cbranch_vccnz .LBB61_110
; %bb.105:
	v_mov_b32_e32 v3, 0
	s_cmp_eq_u32 s22, 0
	s_mov_b32 s6, 0
	s_cbranch_scc1 .LBB61_114
; %bb.106:
	s_min_u32 s7, s23, 15
	v_mov_b32_e32 v3, 0
	s_add_i32 s7, s7, 1
	s_cmp_eq_u32 s23, 2
	s_mov_b32 s10, 0
	s_cbranch_scc1 .LBB61_111
; %bb.107:
	v_dual_mov_b32 v3, 0 :: v_dual_mov_b32 v4, v8
	s_add_u32 s0, s8, 0xc4
	s_addc_u32 s1, s9, 0
	s_and_b32 s10, s7, 28
	s_mov_b32 s11, 0
	s_mov_b64 s[2:3], s[8:9]
.LBB61_108:                             ; =>This Inner Loop Header: Depth=1
	s_clause 0x1
	s_load_b256 s[12:19], s[2:3], 0x4
	s_load_b128 s[24:27], s[2:3], 0x24
	s_load_b128 s[28:31], s[0:1], 0x0
	s_add_u32 s2, s2, 48
	s_addc_u32 s3, s3, 0
	s_add_i32 s11, s11, 4
	s_add_u32 s0, s0, 16
	s_addc_u32 s1, s1, 0
	s_cmp_lg_u32 s10, s11
	s_waitcnt lgkmcnt(0)
	v_mul_hi_u32 v5, s13, v4
	s_delay_alu instid0(VALU_DEP_1) | instskip(NEXT) | instid1(VALU_DEP_1)
	v_add_nc_u32_e32 v5, v4, v5
	v_lshrrev_b32_e32 v5, s14, v5
	s_delay_alu instid0(VALU_DEP_1) | instskip(SKIP_1) | instid1(VALU_DEP_2)
	v_mul_hi_u32 v6, s16, v5
	v_mul_lo_u32 v10, v5, s12
	v_add_nc_u32_e32 v6, v5, v6
	s_delay_alu instid0(VALU_DEP_2) | instskip(NEXT) | instid1(VALU_DEP_2)
	v_sub_nc_u32_e32 v10, v4, v10
	v_lshrrev_b32_e32 v6, s17, v6
	s_delay_alu instid0(VALU_DEP_2) | instskip(NEXT) | instid1(VALU_DEP_2)
	v_mul_lo_u32 v10, v10, s28
	v_mul_hi_u32 v7, s19, v6
	v_mul_lo_u32 v11, v6, s15
	s_delay_alu instid0(VALU_DEP_2) | instskip(NEXT) | instid1(VALU_DEP_2)
	v_add_nc_u32_e32 v7, v6, v7
	v_sub_nc_u32_e32 v5, v5, v11
	s_delay_alu instid0(VALU_DEP_2) | instskip(NEXT) | instid1(VALU_DEP_2)
	v_lshrrev_b32_e32 v7, s24, v7
	v_mul_lo_u32 v5, v5, s29
	s_delay_alu instid0(VALU_DEP_2) | instskip(NEXT) | instid1(VALU_DEP_2)
	v_mul_hi_u32 v9, s26, v7
	v_add3_u32 v3, v10, v3, v5
	s_delay_alu instid0(VALU_DEP_2) | instskip(NEXT) | instid1(VALU_DEP_1)
	v_add_nc_u32_e32 v9, v7, v9
	v_lshrrev_b32_e32 v4, s27, v9
	v_mul_lo_u32 v9, v7, s18
	s_delay_alu instid0(VALU_DEP_2) | instskip(NEXT) | instid1(VALU_DEP_2)
	v_mul_lo_u32 v12, v4, s25
	v_sub_nc_u32_e32 v6, v6, v9
	s_delay_alu instid0(VALU_DEP_2) | instskip(NEXT) | instid1(VALU_DEP_2)
	v_sub_nc_u32_e32 v7, v7, v12
	v_mul_lo_u32 v6, v6, s30
	s_delay_alu instid0(VALU_DEP_2) | instskip(NEXT) | instid1(VALU_DEP_1)
	v_mul_lo_u32 v7, v7, s31
	v_add3_u32 v3, v6, v3, v7
	s_cbranch_scc1 .LBB61_108
; %bb.109:
	s_and_b32 s7, s7, 3
	s_delay_alu instid0(SALU_CYCLE_1)
	s_cmp_eq_u32 s7, 0
	s_cbranch_scc0 .LBB61_112
	s_branch .LBB61_114
.LBB61_110:
	s_mov_b32 s6, -1
                                        ; implicit-def: $vgpr3
	s_branch .LBB61_114
.LBB61_111:
	v_mov_b32_e32 v4, v8
	s_and_b32 s7, s7, 3
	s_delay_alu instid0(SALU_CYCLE_1)
	s_cmp_eq_u32 s7, 0
	s_cbranch_scc1 .LBB61_114
.LBB61_112:
	s_lshl_b32 s0, s10, 2
	s_mul_i32 s2, s10, 12
	s_add_u32 s0, s0, s8
	s_addc_u32 s1, 0, s9
	s_add_u32 s0, s0, 0xc4
	s_addc_u32 s1, s1, 0
	;; [unrolled: 2-line block ×3, first 2 shown]
	.p2align	6
.LBB61_113:                             ; =>This Inner Loop Header: Depth=1
	s_clause 0x1
	s_load_b64 s[10:11], s[2:3], 0x4
	s_load_b32 s12, s[2:3], 0xc
	s_add_u32 s2, s2, 12
	s_addc_u32 s3, s3, 0
	s_waitcnt lgkmcnt(0)
	v_mul_hi_u32 v5, s11, v4
	s_load_b32 s11, s[0:1], 0x0
	s_add_u32 s0, s0, 4
	s_addc_u32 s1, s1, 0
	s_add_i32 s7, s7, -1
	s_delay_alu instid0(SALU_CYCLE_1) | instskip(NEXT) | instid1(VALU_DEP_1)
	s_cmp_lg_u32 s7, 0
	v_add_nc_u32_e32 v5, v4, v5
	s_delay_alu instid0(VALU_DEP_1) | instskip(NEXT) | instid1(VALU_DEP_1)
	v_lshrrev_b32_e32 v7, s12, v5
	v_mul_lo_u32 v5, v7, s10
	s_delay_alu instid0(VALU_DEP_1) | instskip(SKIP_1) | instid1(VALU_DEP_1)
	v_sub_nc_u32_e32 v4, v4, v5
	s_waitcnt lgkmcnt(0)
	v_mad_u64_u32 v[5:6], null, v4, s11, v[3:4]
	s_delay_alu instid0(VALU_DEP_1)
	v_dual_mov_b32 v4, v7 :: v_dual_mov_b32 v3, v5
	s_cbranch_scc1 .LBB61_113
.LBB61_114:
	s_and_not1_b32 vcc_lo, exec_lo, s6
	s_cbranch_vccnz .LBB61_117
; %bb.115:
	s_load_b128 s[0:3], s[8:9], 0x4
	s_waitcnt lgkmcnt(0)
	s_load_b32 s3, s[8:9], 0xc4
	s_cmp_lt_u32 s22, 2
	v_mul_hi_u32 v3, s1, v8
	s_delay_alu instid0(VALU_DEP_1) | instskip(NEXT) | instid1(VALU_DEP_1)
	v_add_nc_u32_e32 v3, v8, v3
	v_lshrrev_b32_e32 v4, s2, v3
	s_delay_alu instid0(VALU_DEP_1) | instskip(NEXT) | instid1(VALU_DEP_1)
	v_mul_lo_u32 v3, v4, s0
	v_sub_nc_u32_e32 v3, v8, v3
	s_waitcnt lgkmcnt(0)
	s_delay_alu instid0(VALU_DEP_1)
	v_mul_lo_u32 v3, v3, s3
	s_cbranch_scc1 .LBB61_117
; %bb.116:
	s_load_b128 s[0:3], s[8:9], 0x10
	s_waitcnt lgkmcnt(0)
	s_load_b32 s3, s[8:9], 0xc8
	v_mul_hi_u32 v5, s1, v4
	s_delay_alu instid0(VALU_DEP_1) | instskip(NEXT) | instid1(VALU_DEP_1)
	v_add_nc_u32_e32 v5, v4, v5
	v_lshrrev_b32_e32 v5, s2, v5
	s_delay_alu instid0(VALU_DEP_1) | instskip(NEXT) | instid1(VALU_DEP_1)
	v_mul_lo_u32 v5, v5, s0
	v_sub_nc_u32_e32 v6, v4, v5
	s_waitcnt lgkmcnt(0)
	s_delay_alu instid0(VALU_DEP_1) | instskip(NEXT) | instid1(VALU_DEP_1)
	v_mad_u64_u32 v[4:5], null, v6, s3, v[3:4]
	v_mov_b32_e32 v3, v4
.LBB61_117:
	s_clause 0x1
	s_load_b128 s[0:3], s[8:9], 0x108
	s_load_b64 s[10:11], s[8:9], 0x118
	s_or_b32 s4, s4, exec_lo
	s_waitcnt lgkmcnt(0)
	s_mov_b32 s8, s2
	v_dual_mov_b32 v12, s2 :: v_dual_mov_b32 v13, s3
	s_mov_b32 s9, s3
	v_add_co_u32 v4, s2, s0, v3
	v_dual_mov_b32 v8, s8 :: v_dual_mov_b32 v9, s9
	v_dual_mov_b32 v10, s10 :: v_dual_mov_b32 v11, s11
	v_add_co_ci_u32_e64 v5, null, s1, 0, s2
	v_dual_mov_b32 v6, s10 :: v_dual_mov_b32 v7, s11
	s_clause 0x3
	global_store_b128 v0, v[8:11], s[0:1]
	global_store_b128 v1, v[8:11], s[0:1]
	;; [unrolled: 1-line block ×3, first 2 shown]
	global_store_b64 v3, v[12:13], s[0:1]
	s_or_b32 exec_lo, exec_lo, s5
	s_and_saveexec_b32 s0, s4
	s_cbranch_execz .LBB61_64
.LBB61_118:
	global_store_b64 v[4:5], v[6:7], off offset:8
	s_nop 0
	s_sendmsg sendmsg(MSG_DEALLOC_VGPRS)
	s_endpgm
	.section	.rodata,"a",@progbits
	.p2align	6, 0x0
	.amdhsa_kernel _ZN2at6native32elementwise_kernel_manual_unrollILi128ELi4EZNS0_22gpu_kernel_impl_nocastINS0_11FillFunctorIN3c107complexIdEEEEEEvRNS_18TensorIteratorBaseERKT_EUlibE_EEviT1_
		.amdhsa_group_segment_fixed_size 0
		.amdhsa_private_segment_fixed_size 0
		.amdhsa_kernarg_size 304
		.amdhsa_user_sgpr_count 15
		.amdhsa_user_sgpr_dispatch_ptr 0
		.amdhsa_user_sgpr_queue_ptr 0
		.amdhsa_user_sgpr_kernarg_segment_ptr 1
		.amdhsa_user_sgpr_dispatch_id 0
		.amdhsa_user_sgpr_private_segment_size 0
		.amdhsa_wavefront_size32 1
		.amdhsa_uses_dynamic_stack 0
		.amdhsa_enable_private_segment 0
		.amdhsa_system_sgpr_workgroup_id_x 1
		.amdhsa_system_sgpr_workgroup_id_y 0
		.amdhsa_system_sgpr_workgroup_id_z 0
		.amdhsa_system_sgpr_workgroup_info 0
		.amdhsa_system_vgpr_workitem_id 0
		.amdhsa_next_free_vgpr 14
		.amdhsa_next_free_sgpr 52
		.amdhsa_reserve_vcc 1
		.amdhsa_float_round_mode_32 0
		.amdhsa_float_round_mode_16_64 0
		.amdhsa_float_denorm_mode_32 3
		.amdhsa_float_denorm_mode_16_64 3
		.amdhsa_dx10_clamp 1
		.amdhsa_ieee_mode 1
		.amdhsa_fp16_overflow 0
		.amdhsa_workgroup_processor_mode 1
		.amdhsa_memory_ordered 1
		.amdhsa_forward_progress 0
		.amdhsa_shared_vgpr_count 0
		.amdhsa_exception_fp_ieee_invalid_op 0
		.amdhsa_exception_fp_denorm_src 0
		.amdhsa_exception_fp_ieee_div_zero 0
		.amdhsa_exception_fp_ieee_overflow 0
		.amdhsa_exception_fp_ieee_underflow 0
		.amdhsa_exception_fp_ieee_inexact 0
		.amdhsa_exception_int_div_zero 0
	.end_amdhsa_kernel
	.section	.text._ZN2at6native32elementwise_kernel_manual_unrollILi128ELi4EZNS0_22gpu_kernel_impl_nocastINS0_11FillFunctorIN3c107complexIdEEEEEEvRNS_18TensorIteratorBaseERKT_EUlibE_EEviT1_,"axG",@progbits,_ZN2at6native32elementwise_kernel_manual_unrollILi128ELi4EZNS0_22gpu_kernel_impl_nocastINS0_11FillFunctorIN3c107complexIdEEEEEEvRNS_18TensorIteratorBaseERKT_EUlibE_EEviT1_,comdat
.Lfunc_end61:
	.size	_ZN2at6native32elementwise_kernel_manual_unrollILi128ELi4EZNS0_22gpu_kernel_impl_nocastINS0_11FillFunctorIN3c107complexIdEEEEEEvRNS_18TensorIteratorBaseERKT_EUlibE_EEviT1_, .Lfunc_end61-_ZN2at6native32elementwise_kernel_manual_unrollILi128ELi4EZNS0_22gpu_kernel_impl_nocastINS0_11FillFunctorIN3c107complexIdEEEEEEvRNS_18TensorIteratorBaseERKT_EUlibE_EEviT1_
                                        ; -- End function
	.section	.AMDGPU.csdata,"",@progbits
; Kernel info:
; codeLenInByte = 6060
; NumSgprs: 54
; NumVgprs: 14
; ScratchSize: 0
; MemoryBound: 0
; FloatMode: 240
; IeeeMode: 1
; LDSByteSize: 0 bytes/workgroup (compile time only)
; SGPRBlocks: 6
; VGPRBlocks: 1
; NumSGPRsForWavesPerEU: 54
; NumVGPRsForWavesPerEU: 14
; Occupancy: 16
; WaveLimiterHint : 1
; COMPUTE_PGM_RSRC2:SCRATCH_EN: 0
; COMPUTE_PGM_RSRC2:USER_SGPR: 15
; COMPUTE_PGM_RSRC2:TRAP_HANDLER: 0
; COMPUTE_PGM_RSRC2:TGID_X_EN: 1
; COMPUTE_PGM_RSRC2:TGID_Y_EN: 0
; COMPUTE_PGM_RSRC2:TGID_Z_EN: 0
; COMPUTE_PGM_RSRC2:TIDIG_COMP_CNT: 0
	.section	.text._ZN2at6native32elementwise_kernel_manual_unrollILi128ELi4EZNS0_15gpu_kernel_implINS0_11FillFunctorIN3c107complexIdEEEEEEvRNS_18TensorIteratorBaseERKT_EUlibE_EEviT1_,"axG",@progbits,_ZN2at6native32elementwise_kernel_manual_unrollILi128ELi4EZNS0_15gpu_kernel_implINS0_11FillFunctorIN3c107complexIdEEEEEEvRNS_18TensorIteratorBaseERKT_EUlibE_EEviT1_,comdat
	.protected	_ZN2at6native32elementwise_kernel_manual_unrollILi128ELi4EZNS0_15gpu_kernel_implINS0_11FillFunctorIN3c107complexIdEEEEEEvRNS_18TensorIteratorBaseERKT_EUlibE_EEviT1_ ; -- Begin function _ZN2at6native32elementwise_kernel_manual_unrollILi128ELi4EZNS0_15gpu_kernel_implINS0_11FillFunctorIN3c107complexIdEEEEEEvRNS_18TensorIteratorBaseERKT_EUlibE_EEviT1_
	.globl	_ZN2at6native32elementwise_kernel_manual_unrollILi128ELi4EZNS0_15gpu_kernel_implINS0_11FillFunctorIN3c107complexIdEEEEEEvRNS_18TensorIteratorBaseERKT_EUlibE_EEviT1_
	.p2align	8
	.type	_ZN2at6native32elementwise_kernel_manual_unrollILi128ELi4EZNS0_15gpu_kernel_implINS0_11FillFunctorIN3c107complexIdEEEEEEvRNS_18TensorIteratorBaseERKT_EUlibE_EEviT1_,@function
_ZN2at6native32elementwise_kernel_manual_unrollILi128ELi4EZNS0_15gpu_kernel_implINS0_11FillFunctorIN3c107complexIdEEEEEEvRNS_18TensorIteratorBaseERKT_EUlibE_EEviT1_: ; @_ZN2at6native32elementwise_kernel_manual_unrollILi128ELi4EZNS0_15gpu_kernel_implINS0_11FillFunctorIN3c107complexIdEEEEEEvRNS_18TensorIteratorBaseERKT_EUlibE_EEviT1_
; %bb.0:
	s_clause 0x4
	s_load_b32 s30, s[0:1], 0x0
	s_load_b64 s[2:3], s[0:1], 0x10
	s_load_b32 s8, s[0:1], 0x18
	s_load_b128 s[4:7], s[0:1], 0x20
	s_load_b32 s11, s[0:1], 0x30
	v_lshl_or_b32 v17, s15, 9, v0
	s_mov_b32 s10, 0
	s_mov_b32 s1, 0
	s_mov_b32 s0, exec_lo
	s_delay_alu instid0(VALU_DEP_1) | instskip(SKIP_1) | instid1(VALU_DEP_1)
	v_or_b32_e32 v0, 0x180, v17
	s_waitcnt lgkmcnt(0)
	v_cmpx_le_i32_e64 s30, v0
	s_xor_b32 s9, exec_lo, s0
	s_cbranch_execz .LBB62_151
; %bb.1:
	v_trunc_f64_e32 v[2:3], s[4:5]
	v_cvt_f32_f64_e32 v0, s[4:5]
	v_cvt_f32_f64_e32 v1, s[6:7]
	v_cmp_neq_f64_e64 s33, s[4:5], 0
	v_cmp_neq_f64_e64 s34, s[6:7], 0
	v_cvt_u32_f64_e32 v16, s[4:5]
	v_cvt_i32_f64_e32 v8, s[4:5]
	s_movk_i32 s18, 0x7f
	s_movk_i32 s31, 0x7c
	v_ldexp_f64 v[4:5], v[2:3], 0xffffffe0
	v_bfe_u32 v7, v0, 23, 8
	v_and_b32_e32 v10, 0x400000, v0
	v_readfirstlane_b32 s15, v0
	v_add_f32_e64 v15, 0x46000000, |v0|
	v_bfe_u32 v19, v0, 16, 1
	v_add_f32_e64 v14, 0x42800000, |v0|
	v_cmp_ne_u32_e32 vcc_lo, 0, v10
	s_and_b32 s23, s15, 0x7fffffff
	v_readfirstlane_b32 s13, v15
	v_cmp_eq_u32_e64 s0, 0xff, v7
	v_readfirstlane_b32 s16, v14
	v_bfe_u32 v20, v1, 16, 1
	v_lshrrev_b32_e32 v11, 24, v0
	v_add_f32_e64 v13, 0x46800000, |v0|
	v_add_f32_e64 v18, 0x43000000, |v0|
	v_cvt_f16_f32_e32 v21, v1
	v_lshrrev_b32_e32 v6, 23, v0
	s_delay_alu instid0(VALU_DEP_4) | instskip(NEXT) | instid1(VALU_DEP_4)
	v_readfirstlane_b32 s14, v13
	v_readfirstlane_b32 s12, v18
	v_floor_f64_e32 v[4:5], v[4:5]
	s_delay_alu instid0(VALU_DEP_1) | instskip(NEXT) | instid1(VALU_DEP_1)
	v_fma_f64 v[2:3], 0xc1f00000, v[4:5], v[2:3]
	v_cvt_u32_f64_e32 v2, v[2:3]
	v_and_b32_e32 v9, 0x3fffff, v0
	v_cvt_u32_f64_e32 v3, v[4:5]
	v_cvt_i32_f64_e32 v5, v[4:5]
	s_delay_alu instid0(VALU_DEP_3) | instskip(SKIP_2) | instid1(VALU_DEP_3)
	v_or_b32_e32 v12, v7, v9
	v_add_nc_u32_e32 v7, v0, v19
	v_cvt_f16_f32_e32 v9, v0
	v_cmp_ne_u32_e64 s1, 0, v12
	s_delay_alu instid0(VALU_DEP_3)
	v_add_nc_u32_e32 v7, 0x7fff, v7
	v_and_b32_e32 v12, 0x80, v11
	v_lshlrev_b32_e32 v11, 16, v21
	v_and_b32_e32 v13, 0xffff, v9
	s_and_b32 s1, vcc_lo, s1
	s_cmp_lt_u32 s23, 0x43800000
	v_lshrrev_b32_e32 v7, 16, v7
	s_cselect_b32 s28, -1, 0
	s_cmp_gt_u32 s23, 0x3bffffff
	v_cmp_o_f32_e32 vcc_lo, v0, v0
	s_cselect_b32 s26, -1, 0
	s_bfe_u32 s17, s15, 0x10014
	s_and_b32 s13, s13, 0xff
	s_add_i32 s21, s15, s17
	v_add_nc_u32_e32 v10, v1, v20
	s_add_i32 s17, s21, 0x487ffff
	v_cndmask_b32_e64 v4, 0, 1, s1
	s_lshr_b32 s27, s17, 20
	s_cmp_lg_u32 s13, 0
	v_add_nc_u32_e32 v18, 0x7fff, v10
	s_cselect_b32 s29, -1, 0
	s_cmp_gt_u32 s23, 0x477fffff
	v_or_b32_e32 v10, v11, v13
	v_cndmask_b32_e32 v13, 0x7fc0, v7, vcc_lo
	s_cselect_b32 s13, -1, 0
	s_cmp_lt_u32 s23, 0x47800000
	v_and_b32_e32 v11, 0xffff0000, v18
	s_cselect_b32 s24, -1, 0
	s_cmp_gt_u32 s23, 0x37ffffff
	v_cmp_o_f32_e32 vcc_lo, v1, v1
	s_cselect_b32 s20, -1, 0
	s_bfe_u32 s17, s15, 0x10015
	v_add_nc_u32_e32 v18, v6, v4
	s_add_i32 s35, s15, s17
	s_and_b32 s15, s16, 0xff
	s_add_i32 s16, s35, 0x88fffff
	v_cndmask_b32_e32 v7, 0x7fc00000, v11, vcc_lo
	s_lshr_b32 s22, s16, 21
	s_cmp_lg_u32 s15, 0
	v_mov_b32_e32 v4, v2
	s_cselect_b32 s25, -1, 0
	s_cmp_gt_u32 s23, 0x43efffff
	v_or_b32_e32 v19, v7, v13
	s_cselect_b32 s17, -1, 0
	s_cmp_lt_u32 s23, 0x3c800000
	s_cselect_b32 s19, -1, 0
	s_add_i32 s21, s21, 0x407ffff
	s_delay_alu instid0(SALU_CYCLE_1)
	s_and_b32 s1, s21, 0xff00000
	s_lshr_b32 s15, s21, 20
	s_cmp_lg_u32 s1, 0x7f00000
	s_cselect_b32 s21, s15, 0x7e
	s_cmp_lt_u32 s23, 0x38800000
	s_cselect_b32 s15, -1, 0
	s_add_i32 s35, s35, 0x80fffff
	s_delay_alu instid0(SALU_CYCLE_1)
	s_lshr_b32 s16, s35, 21
	s_cmp_gt_u32 s23, 0x7f800000
	s_mov_b32 s35, -1
	s_cselect_b32 s23, s18, 0x7e
	s_cselect_b32 s18, 0x7f, s31
	s_or_b32 s1, s33, s34
	s_mov_b32 s34, 0
	v_cndmask_b32_e64 v11, 0, 1, s1
	s_mov_b32 s31, 0
	s_mov_b32 s33, exec_lo
	v_cmpx_gt_i32_e64 s30, v17
	s_cbranch_execz .LBB62_100
; %bb.2:
	v_mul_lo_u32 v6, v17, s8
	v_and_b32_e64 v20, 0xff, s11
	s_delay_alu instid0(VALU_DEP_1) | instskip(NEXT) | instid1(VALU_DEP_3)
	v_cmp_gt_i16_e32 vcc_lo, 11, v20
	v_ashrrev_i32_e32 v7, 31, v6
	v_add_co_u32 v6, s1, s2, v6
	s_delay_alu instid0(VALU_DEP_1)
	v_add_co_ci_u32_e64 v7, s1, s3, v7, s1
	s_cbranch_vccnz .LBB62_9
; %bb.3:
	v_cmp_lt_i16_e32 vcc_lo, 25, v20
	s_cbranch_vccz .LBB62_12
; %bb.4:
	v_cmp_lt_i16_e32 vcc_lo, 28, v20
	s_cbranch_vccz .LBB62_13
	;; [unrolled: 3-line block ×4, first 2 shown]
; %bb.7:
	v_cmp_eq_u16_e32 vcc_lo, 46, v20
	s_mov_b32 s35, 0
	s_mov_b32 s1, -1
	s_cbranch_vccz .LBB62_16
; %bb.8:
	s_mov_b32 s31, -1
	s_mov_b32 s1, 0
	global_store_b32 v[6:7], v19, off
	s_branch .LBB62_16
.LBB62_9:
	s_mov_b32 s1, 0
	s_and_b32 vcc_lo, exec_lo, s35
	s_cbranch_vccnz .LBB62_60
.LBB62_10:
	s_and_not1_b32 vcc_lo, exec_lo, s31
	s_cbranch_vccnz .LBB62_98
.LBB62_11:
	v_add_nc_u32_e32 v17, 0x80, v17
	s_mov_b32 s35, -1
	s_branch .LBB62_99
.LBB62_12:
	s_mov_b32 s1, 0
	s_and_b32 vcc_lo, exec_lo, s35
	s_cbranch_vccnz .LBB62_38
	s_branch .LBB62_59
.LBB62_13:
	s_mov_b32 s1, 0
	s_branch .LBB62_24
.LBB62_14:
	s_mov_b32 s1, 0
	s_branch .LBB62_20
.LBB62_15:
	s_mov_b32 s1, 0
.LBB62_16:
	s_and_b32 vcc_lo, exec_lo, s35
	s_cbranch_vccz .LBB62_19
; %bb.17:
	v_cmp_eq_u16_e32 vcc_lo, 44, v20
	s_mov_b32 s1, -1
	s_cbranch_vccz .LBB62_19
; %bb.18:
	v_cndmask_b32_e64 v21, v18, 0xff, s0
	s_mov_b32 s31, -1
	s_mov_b32 s1, 0
	s_mov_b32 s35, 0
	global_store_b8 v[6:7], v21, off
	s_branch .LBB62_20
.LBB62_19:
	s_mov_b32 s35, 0
.LBB62_20:
	s_delay_alu instid0(SALU_CYCLE_1)
	s_and_b32 vcc_lo, exec_lo, s35
	s_cbranch_vccz .LBB62_23
; %bb.21:
	v_cmp_eq_u16_e32 vcc_lo, 29, v20
	s_mov_b32 s1, -1
	s_cbranch_vccz .LBB62_23
; %bb.22:
	s_mov_b32 s31, -1
	s_mov_b32 s1, 0
	global_store_b64 v[6:7], v[2:3], off
.LBB62_23:
	s_mov_b32 s35, 0
.LBB62_24:
	s_delay_alu instid0(SALU_CYCLE_1)
	s_and_b32 vcc_lo, exec_lo, s35
	s_cbranch_vccz .LBB62_37
; %bb.25:
	v_cmp_gt_i16_e32 vcc_lo, 27, v20
	s_mov_b32 s31, -1
	s_cbranch_vccnz .LBB62_31
; %bb.26:
	v_cmp_lt_i16_e32 vcc_lo, 27, v20
	s_cbranch_vccz .LBB62_28
; %bb.27:
	s_mov_b32 s31, 0
	global_store_b32 v[6:7], v16, off
.LBB62_28:
	s_and_not1_b32 vcc_lo, exec_lo, s31
	s_cbranch_vccnz .LBB62_30
; %bb.29:
	global_store_b16 v[6:7], v16, off
.LBB62_30:
	s_mov_b32 s31, 0
.LBB62_31:
	s_delay_alu instid0(SALU_CYCLE_1)
	s_and_not1_b32 vcc_lo, exec_lo, s31
	s_cbranch_vccnz .LBB62_36
; %bb.32:
	v_mov_b32_e32 v21, 0x80
	s_and_not1_b32 vcc_lo, exec_lo, s28
	s_cbranch_vccnz .LBB62_35
; %bb.33:
	v_mov_b32_e32 v21, 0
	s_or_b32 s31, s26, s29
	s_delay_alu instid0(SALU_CYCLE_1)
	s_and_not1_b32 vcc_lo, exec_lo, s31
	s_cbranch_vccnz .LBB62_35
; %bb.34:
	v_cndmask_b32_e64 v21, v15, s27, s26
	s_delay_alu instid0(VALU_DEP_1)
	v_or_b32_e32 v21, v21, v12
.LBB62_35:
	global_store_b8 v[6:7], v21, off
.LBB62_36:
	s_mov_b32 s31, -1
.LBB62_37:
	s_branch .LBB62_59
.LBB62_38:
	v_cmp_lt_i16_e32 vcc_lo, 22, v20
	s_mov_b32 s35, -1
	s_cbranch_vccz .LBB62_51
; %bb.39:
	v_cmp_gt_i16_e32 vcc_lo, 24, v20
	s_mov_b32 s31, -1
	s_cbranch_vccnz .LBB62_48
; %bb.40:
	v_cmp_lt_i16_e32 vcc_lo, 24, v20
	s_cbranch_vccz .LBB62_45
; %bb.41:
	v_mov_b32_e32 v21, 0x80
	s_and_not1_b32 vcc_lo, exec_lo, s24
	s_cbranch_vccnz .LBB62_44
; %bb.42:
	v_mov_b32_e32 v21, 0
	s_or_b32 s31, s20, s25
	s_delay_alu instid0(SALU_CYCLE_1)
	s_and_not1_b32 vcc_lo, exec_lo, s31
	s_cbranch_vccnz .LBB62_44
; %bb.43:
	v_cndmask_b32_e64 v21, v14, s22, s20
	s_delay_alu instid0(VALU_DEP_1)
	v_or_b32_e32 v21, v21, v12
.LBB62_44:
	s_mov_b32 s31, 0
	global_store_b8 v[6:7], v21, off
.LBB62_45:
	s_and_b32 vcc_lo, exec_lo, s31
	s_cbranch_vccz .LBB62_47
; %bb.46:
	s_and_b32 s31, s19, exec_lo
	s_cselect_b32 s31, s14, s21
	s_and_b32 s35, s17, exec_lo
	s_cselect_b32 s31, s23, s31
	s_delay_alu instid0(SALU_CYCLE_1)
	v_or_b32_e32 v21, s31, v12
	global_store_b8 v[6:7], v21, off
.LBB62_47:
	s_mov_b32 s31, 0
.LBB62_48:
	s_delay_alu instid0(SALU_CYCLE_1)
	s_and_not1_b32 vcc_lo, exec_lo, s31
	s_cbranch_vccnz .LBB62_50
; %bb.49:
	s_and_b32 s31, s15, exec_lo
	s_cselect_b32 s31, s12, s16
	s_and_b32 s35, s13, exec_lo
	s_cselect_b32 s31, s18, s31
	s_delay_alu instid0(SALU_CYCLE_1)
	v_or_b32_e32 v21, s31, v12
	global_store_b8 v[6:7], v21, off
.LBB62_50:
	s_mov_b32 s35, 0
	s_mov_b32 s31, -1
.LBB62_51:
	s_and_not1_b32 vcc_lo, exec_lo, s35
	s_cbranch_vccnz .LBB62_59
; %bb.52:
	v_cmp_lt_i16_e32 vcc_lo, 14, v20
	s_mov_b32 s35, -1
	s_cbranch_vccz .LBB62_56
; %bb.53:
	v_cmp_eq_u16_e32 vcc_lo, 15, v20
	s_mov_b32 s1, -1
	s_cbranch_vccz .LBB62_55
; %bb.54:
	s_mov_b32 s31, -1
	s_mov_b32 s1, 0
	global_store_b16 v[6:7], v13, off
.LBB62_55:
	s_mov_b32 s35, 0
.LBB62_56:
	s_delay_alu instid0(SALU_CYCLE_1)
	s_and_b32 vcc_lo, exec_lo, s35
	s_cbranch_vccz .LBB62_59
; %bb.57:
	v_cmp_eq_u16_e32 vcc_lo, 11, v20
	s_mov_b32 s1, -1
	s_cbranch_vccz .LBB62_59
; %bb.58:
	s_mov_b32 s31, -1
	s_mov_b32 s1, 0
	global_store_b8 v[6:7], v11, off
.LBB62_59:
	s_branch .LBB62_10
.LBB62_60:
	v_cmp_gt_i16_e32 vcc_lo, 5, v20
	s_mov_b32 s31, -1
	s_cbranch_vccnz .LBB62_81
; %bb.61:
	v_cmp_gt_i16_e32 vcc_lo, 8, v20
	s_cbranch_vccnz .LBB62_71
; %bb.62:
	v_cmp_gt_i16_e32 vcc_lo, 9, v20
	s_cbranch_vccnz .LBB62_68
; %bb.63:
	v_cmp_lt_i16_e32 vcc_lo, 9, v20
	s_cbranch_vccz .LBB62_65
; %bb.64:
	v_dual_mov_b32 v21, s4 :: v_dual_mov_b32 v22, s5
	v_dual_mov_b32 v23, s6 :: v_dual_mov_b32 v24, s7
	s_mov_b32 s31, 0
	global_store_b128 v[6:7], v[21:24], off
.LBB62_65:
	s_and_not1_b32 vcc_lo, exec_lo, s31
	s_cbranch_vccnz .LBB62_67
; %bb.66:
	global_store_b64 v[6:7], v[0:1], off
.LBB62_67:
	s_mov_b32 s31, 0
.LBB62_68:
	s_delay_alu instid0(SALU_CYCLE_1)
	s_and_not1_b32 vcc_lo, exec_lo, s31
	s_cbranch_vccnz .LBB62_70
; %bb.69:
	global_store_b32 v[6:7], v10, off
.LBB62_70:
	s_mov_b32 s31, 0
.LBB62_71:
	s_delay_alu instid0(SALU_CYCLE_1)
	s_and_not1_b32 vcc_lo, exec_lo, s31
	s_cbranch_vccnz .LBB62_80
; %bb.72:
	v_cmp_gt_i16_e32 vcc_lo, 6, v20
	s_mov_b32 s31, -1
	s_cbranch_vccnz .LBB62_78
; %bb.73:
	v_cmp_lt_i16_e32 vcc_lo, 6, v20
	s_cbranch_vccz .LBB62_75
; %bb.74:
	v_dual_mov_b32 v22, s5 :: v_dual_mov_b32 v21, s4
	s_mov_b32 s31, 0
	global_store_b64 v[6:7], v[21:22], off
.LBB62_75:
	s_and_not1_b32 vcc_lo, exec_lo, s31
	s_cbranch_vccnz .LBB62_77
; %bb.76:
	global_store_b32 v[6:7], v0, off
.LBB62_77:
	s_mov_b32 s31, 0
.LBB62_78:
	s_delay_alu instid0(SALU_CYCLE_1)
	s_and_not1_b32 vcc_lo, exec_lo, s31
	s_cbranch_vccnz .LBB62_80
; %bb.79:
	global_store_b16 v[6:7], v9, off
.LBB62_80:
	s_mov_b32 s31, 0
.LBB62_81:
	s_delay_alu instid0(SALU_CYCLE_1)
	s_and_not1_b32 vcc_lo, exec_lo, s31
	s_cbranch_vccnz .LBB62_97
; %bb.82:
	v_cmp_gt_i16_e32 vcc_lo, 2, v20
	s_mov_b32 s31, -1
	s_cbranch_vccnz .LBB62_92
; %bb.83:
	v_cmp_gt_i16_e32 vcc_lo, 3, v20
	s_cbranch_vccnz .LBB62_89
; %bb.84:
	v_cmp_lt_i16_e32 vcc_lo, 3, v20
	s_cbranch_vccz .LBB62_86
; %bb.85:
	s_mov_b32 s31, 0
	global_store_b64 v[6:7], v[4:5], off
.LBB62_86:
	s_and_not1_b32 vcc_lo, exec_lo, s31
	s_cbranch_vccnz .LBB62_88
; %bb.87:
	global_store_b32 v[6:7], v8, off
.LBB62_88:
	s_mov_b32 s31, 0
.LBB62_89:
	s_delay_alu instid0(SALU_CYCLE_1)
	s_and_not1_b32 vcc_lo, exec_lo, s31
	s_cbranch_vccnz .LBB62_91
; %bb.90:
	global_store_b16 v[6:7], v8, off
.LBB62_91:
	s_mov_b32 s31, 0
.LBB62_92:
	s_delay_alu instid0(SALU_CYCLE_1)
	s_and_not1_b32 vcc_lo, exec_lo, s31
	s_cbranch_vccnz .LBB62_97
; %bb.93:
	v_cmp_lt_i16_e32 vcc_lo, 0, v20
	s_mov_b32 s31, -1
	s_cbranch_vccz .LBB62_95
; %bb.94:
	s_mov_b32 s31, 0
	global_store_b8 v[6:7], v8, off
.LBB62_95:
	s_and_not1_b32 vcc_lo, exec_lo, s31
	s_cbranch_vccnz .LBB62_97
; %bb.96:
	global_store_b8 v[6:7], v2, off
.LBB62_97:
	s_branch .LBB62_11
.LBB62_98:
	s_mov_b32 s35, 0
                                        ; implicit-def: $vgpr17
.LBB62_99:
	s_and_b32 s31, s1, exec_lo
	s_or_not1_b32 s35, s35, exec_lo
.LBB62_100:
	s_or_b32 exec_lo, exec_lo, s33
	s_mov_b32 s1, 0
                                        ; implicit-def: $vgpr20
                                        ; implicit-def: $vgpr6_vgpr7
	s_and_saveexec_b32 s33, s35
	s_cbranch_execz .LBB62_109
; %bb.101:
	s_mov_b32 s1, -1
	s_mov_b32 s34, s31
	s_mov_b32 s35, exec_lo
	v_cmpx_gt_i32_e64 s30, v17
	s_cbranch_execz .LBB62_326
; %bb.102:
	v_mul_lo_u32 v6, v17, s8
	v_and_b32_e64 v20, 0xff, s11
	s_delay_alu instid0(VALU_DEP_1) | instskip(NEXT) | instid1(VALU_DEP_3)
	v_cmp_gt_i16_e32 vcc_lo, 11, v20
	v_ashrrev_i32_e32 v7, 31, v6
	v_add_co_u32 v6, s1, s2, v6
	s_delay_alu instid0(VALU_DEP_1)
	v_add_co_ci_u32_e64 v7, s1, s3, v7, s1
	s_cbranch_vccnz .LBB62_219
; %bb.103:
	v_cmp_lt_i16_e32 vcc_lo, 25, v20
	s_cbranch_vccz .LBB62_222
; %bb.104:
	v_cmp_lt_i16_e32 vcc_lo, 28, v20
	s_cbranch_vccz .LBB62_223
	;; [unrolled: 3-line block ×4, first 2 shown]
; %bb.107:
	v_cmp_eq_u16_e32 vcc_lo, 46, v20
	s_mov_b32 s36, 0
	s_mov_b32 s1, -1
	s_mov_b32 s34, 0
	s_cbranch_vccz .LBB62_241
; %bb.108:
	s_mov_b32 s34, -1
	s_mov_b32 s1, 0
	global_store_b32 v[6:7], v19, off
	s_branch .LBB62_241
.LBB62_109:
	s_or_b32 exec_lo, exec_lo, s33
	s_mov_b32 s0, 0
	s_and_saveexec_b32 s12, s31
	s_cbranch_execnz .LBB62_791
.LBB62_110:
	s_or_b32 exec_lo, exec_lo, s12
	s_and_saveexec_b32 s12, s34
	s_delay_alu instid0(SALU_CYCLE_1)
	s_xor_b32 s12, exec_lo, s12
	s_cbranch_execz .LBB62_112
.LBB62_111:
	global_store_b8 v[6:7], v11, off
.LBB62_112:
	s_or_b32 exec_lo, exec_lo, s12
	s_and_saveexec_b32 s12, s1
	s_delay_alu instid0(SALU_CYCLE_1)
	s_xor_b32 s1, exec_lo, s12
	s_cbranch_execz .LBB62_150
; %bb.113:
	v_cmp_gt_i16_e32 vcc_lo, 5, v20
	s_mov_b32 s12, -1
	s_cbranch_vccnz .LBB62_134
; %bb.114:
	v_cmp_gt_i16_e32 vcc_lo, 8, v20
	s_cbranch_vccnz .LBB62_124
; %bb.115:
	v_cmp_gt_i16_e32 vcc_lo, 9, v20
	s_cbranch_vccnz .LBB62_121
; %bb.116:
	v_cmp_lt_i16_e32 vcc_lo, 9, v20
	s_cbranch_vccz .LBB62_118
; %bb.117:
	v_dual_mov_b32 v11, s4 :: v_dual_mov_b32 v12, s5
	v_dual_mov_b32 v13, s6 :: v_dual_mov_b32 v14, s7
	s_mov_b32 s12, 0
	global_store_b128 v[6:7], v[11:14], off
.LBB62_118:
	s_and_not1_b32 vcc_lo, exec_lo, s12
	s_cbranch_vccnz .LBB62_120
; %bb.119:
	global_store_b64 v[6:7], v[0:1], off
.LBB62_120:
	s_mov_b32 s12, 0
.LBB62_121:
	s_delay_alu instid0(SALU_CYCLE_1)
	s_and_not1_b32 vcc_lo, exec_lo, s12
	s_cbranch_vccnz .LBB62_123
; %bb.122:
	global_store_b32 v[6:7], v10, off
.LBB62_123:
	s_mov_b32 s12, 0
.LBB62_124:
	s_delay_alu instid0(SALU_CYCLE_1)
	s_and_not1_b32 vcc_lo, exec_lo, s12
	s_cbranch_vccnz .LBB62_133
; %bb.125:
	v_cmp_gt_i16_e32 vcc_lo, 6, v20
	s_mov_b32 s12, -1
	s_cbranch_vccnz .LBB62_131
; %bb.126:
	v_cmp_lt_i16_e32 vcc_lo, 6, v20
	s_cbranch_vccz .LBB62_128
; %bb.127:
	v_dual_mov_b32 v11, s5 :: v_dual_mov_b32 v10, s4
	s_mov_b32 s12, 0
	global_store_b64 v[6:7], v[10:11], off
.LBB62_128:
	s_and_not1_b32 vcc_lo, exec_lo, s12
	s_cbranch_vccnz .LBB62_130
; %bb.129:
	global_store_b32 v[6:7], v0, off
.LBB62_130:
	s_mov_b32 s12, 0
.LBB62_131:
	s_delay_alu instid0(SALU_CYCLE_1)
	s_and_not1_b32 vcc_lo, exec_lo, s12
	s_cbranch_vccnz .LBB62_133
; %bb.132:
	global_store_b16 v[6:7], v9, off
.LBB62_133:
	s_mov_b32 s12, 0
.LBB62_134:
	s_delay_alu instid0(SALU_CYCLE_1)
	s_and_not1_b32 vcc_lo, exec_lo, s12
	s_cbranch_vccnz .LBB62_150
; %bb.135:
	v_cmp_gt_i16_e32 vcc_lo, 2, v20
	s_mov_b32 s12, -1
	s_cbranch_vccnz .LBB62_145
; %bb.136:
	v_cmp_gt_i16_e32 vcc_lo, 3, v20
	s_cbranch_vccnz .LBB62_142
; %bb.137:
	v_cmp_lt_i16_e32 vcc_lo, 3, v20
	s_cbranch_vccz .LBB62_139
; %bb.138:
	s_mov_b32 s12, 0
	global_store_b64 v[6:7], v[4:5], off
.LBB62_139:
	s_and_not1_b32 vcc_lo, exec_lo, s12
	s_cbranch_vccnz .LBB62_141
; %bb.140:
	global_store_b32 v[6:7], v8, off
.LBB62_141:
	s_mov_b32 s12, 0
.LBB62_142:
	s_delay_alu instid0(SALU_CYCLE_1)
	s_and_not1_b32 vcc_lo, exec_lo, s12
	s_cbranch_vccnz .LBB62_144
; %bb.143:
	global_store_b16 v[6:7], v8, off
.LBB62_144:
	s_mov_b32 s12, 0
.LBB62_145:
	s_delay_alu instid0(SALU_CYCLE_1)
	s_and_not1_b32 vcc_lo, exec_lo, s12
	s_cbranch_vccnz .LBB62_150
; %bb.146:
	v_cmp_lt_i16_e32 vcc_lo, 0, v20
	s_mov_b32 s12, -1
	s_cbranch_vccz .LBB62_148
; %bb.147:
	s_mov_b32 s12, 0
	global_store_b8 v[6:7], v8, off
.LBB62_148:
	s_and_not1_b32 vcc_lo, exec_lo, s12
	s_cbranch_vccnz .LBB62_150
; %bb.149:
	global_store_b8 v[6:7], v2, off
.LBB62_150:
	s_or_b32 exec_lo, exec_lo, s1
	s_delay_alu instid0(SALU_CYCLE_1)
	s_and_b32 s1, s0, exec_lo
                                        ; implicit-def: $vgpr17
.LBB62_151:
	s_or_saveexec_b32 s9, s9
	s_mov_b32 s0, 0
                                        ; implicit-def: $vgpr2
                                        ; implicit-def: $vgpr0_vgpr1
	s_xor_b32 exec_lo, exec_lo, s9
	s_cbranch_execz .LBB62_685
; %bb.152:
	v_mul_lo_u32 v3, s8, v17
	v_and_b32_e64 v2, 0xff, s11
	s_delay_alu instid0(VALU_DEP_1) | instskip(NEXT) | instid1(VALU_DEP_3)
	v_cmp_gt_i16_e32 vcc_lo, 11, v2
	v_ashrrev_i32_e32 v1, 31, v3
	v_add_co_u32 v0, s0, s2, v3
	s_delay_alu instid0(VALU_DEP_1)
	v_add_co_ci_u32_e64 v1, s0, s3, v1, s0
	s_cbranch_vccnz .LBB62_180
; %bb.153:
	v_cmp_lt_i16_e32 vcc_lo, 25, v2
	s_mov_b32 s10, -1
	s_mov_b32 s11, 0
	s_mov_b32 s12, 0
	;; [unrolled: 1-line block ×3, first 2 shown]
	s_cbranch_vccz .LBB62_233
; %bb.154:
	v_cmp_lt_i16_e32 vcc_lo, 28, v2
	s_cbranch_vccz .LBB62_169
; %bb.155:
	v_cmp_lt_i16_e32 vcc_lo, 43, v2
	;; [unrolled: 3-line block ×3, first 2 shown]
	s_cbranch_vccz .LBB62_159
; %bb.157:
	v_cmp_eq_u16_e32 vcc_lo, 46, v2
	s_mov_b32 s0, -1
	s_mov_b32 s10, 0
	s_cbranch_vccz .LBB62_159
; %bb.158:
	v_cvt_f32_f64_e32 v5, s[4:5]
	v_cvt_f32_f64_e32 v4, s[6:7]
	s_mov_b32 s0, 0
	s_mov_b32 s12, -1
	s_delay_alu instid0(VALU_DEP_2) | instskip(NEXT) | instid1(VALU_DEP_2)
	v_bfe_u32 v7, v5, 16, 1
	v_cmp_o_f32_e32 vcc_lo, v4, v4
	v_bfe_u32 v6, v4, 16, 1
	s_delay_alu instid0(VALU_DEP_3) | instskip(NEXT) | instid1(VALU_DEP_1)
	v_add_nc_u32_e32 v7, v5, v7
	v_add_nc_u32_e32 v7, 0x7fff, v7
	s_delay_alu instid0(VALU_DEP_1) | instskip(NEXT) | instid1(VALU_DEP_4)
	v_lshrrev_b32_e32 v7, 16, v7
	v_add_nc_u32_e32 v6, v4, v6
	s_delay_alu instid0(VALU_DEP_1) | instskip(NEXT) | instid1(VALU_DEP_1)
	v_add_nc_u32_e32 v6, 0x7fff, v6
	v_and_b32_e32 v6, 0xffff0000, v6
	s_delay_alu instid0(VALU_DEP_1) | instskip(SKIP_2) | instid1(VALU_DEP_1)
	v_cndmask_b32_e32 v4, 0x7fc00000, v6, vcc_lo
	v_cmp_o_f32_e32 vcc_lo, v5, v5
	v_cndmask_b32_e32 v5, 0x7fc0, v7, vcc_lo
	v_or_b32_e32 v4, v4, v5
	global_store_b32 v[0:1], v4, off
.LBB62_159:
	s_and_b32 vcc_lo, exec_lo, s10
	s_cbranch_vccz .LBB62_164
; %bb.160:
	v_cmp_eq_u16_e32 vcc_lo, 44, v2
	s_mov_b32 s0, -1
	s_cbranch_vccz .LBB62_164
; %bb.161:
	v_cvt_f32_f64_e32 v4, s[4:5]
	v_mov_b32_e32 v5, 0xff
	s_delay_alu instid0(VALU_DEP_2) | instskip(NEXT) | instid1(VALU_DEP_1)
	v_readfirstlane_b32 s0, v4
	s_bfe_u32 s10, s0, 0x80017
	s_delay_alu instid0(SALU_CYCLE_1)
	s_cmpk_eq_i32 s10, 0xff
	s_cbranch_scc1 .LBB62_163
; %bb.162:
	s_bitcmp1_b32 s0, 22
	v_lshrrev_b32_e32 v4, 23, v4
	s_cselect_b32 s12, -1, 0
	s_and_b32 s0, s0, 0x3fffff
	s_delay_alu instid0(SALU_CYCLE_1) | instskip(NEXT) | instid1(SALU_CYCLE_1)
	s_or_b32 s0, s10, s0
	s_cmp_lg_u32 s0, 0
	s_cselect_b32 s0, -1, 0
	s_delay_alu instid0(SALU_CYCLE_1) | instskip(NEXT) | instid1(SALU_CYCLE_1)
	s_and_b32 s0, s12, s0
	v_cndmask_b32_e64 v5, 0, 1, s0
	s_delay_alu instid0(VALU_DEP_1)
	v_add_nc_u32_e32 v5, v4, v5
.LBB62_163:
	s_mov_b32 s0, 0
	s_mov_b32 s12, -1
	global_store_b8 v[0:1], v5, off
.LBB62_164:
	s_mov_b32 s10, 0
.LBB62_165:
	s_delay_alu instid0(SALU_CYCLE_1)
	s_and_b32 vcc_lo, exec_lo, s10
	s_cbranch_vccz .LBB62_168
; %bb.166:
	v_cmp_eq_u16_e32 vcc_lo, 29, v2
	s_mov_b32 s0, -1
	s_cbranch_vccz .LBB62_168
; %bb.167:
	v_trunc_f64_e32 v[4:5], s[4:5]
	s_mov_b32 s0, 0
	s_mov_b32 s12, -1
	s_delay_alu instid0(VALU_DEP_1) | instskip(NEXT) | instid1(VALU_DEP_1)
	v_ldexp_f64 v[6:7], v[4:5], 0xffffffe0
	v_floor_f64_e32 v[6:7], v[6:7]
	s_delay_alu instid0(VALU_DEP_1) | instskip(SKIP_1) | instid1(VALU_DEP_2)
	v_fma_f64 v[4:5], 0xc1f00000, v[6:7], v[4:5]
	v_cvt_u32_f64_e32 v6, v[6:7]
	v_cvt_u32_f64_e32 v5, v[4:5]
	global_store_b64 v[0:1], v[5:6], off
.LBB62_168:
	s_mov_b32 s10, 0
.LBB62_169:
	s_delay_alu instid0(SALU_CYCLE_1)
	s_and_b32 vcc_lo, exec_lo, s10
	s_cbranch_vccz .LBB62_232
; %bb.170:
	v_cmp_gt_i16_e32 vcc_lo, 27, v2
	s_mov_b32 s10, -1
	s_cbranch_vccnz .LBB62_176
; %bb.171:
	v_cmp_lt_i16_e32 vcc_lo, 27, v2
	s_cbranch_vccz .LBB62_173
; %bb.172:
	v_cvt_u32_f64_e32 v4, s[4:5]
	s_mov_b32 s10, 0
	global_store_b32 v[0:1], v4, off
.LBB62_173:
	s_and_not1_b32 vcc_lo, exec_lo, s10
	s_cbranch_vccnz .LBB62_175
; %bb.174:
	v_cvt_u32_f64_e32 v4, s[4:5]
	global_store_b16 v[0:1], v4, off
.LBB62_175:
	s_mov_b32 s10, 0
.LBB62_176:
	s_delay_alu instid0(SALU_CYCLE_1)
	s_and_not1_b32 vcc_lo, exec_lo, s10
	s_cbranch_vccnz .LBB62_231
; %bb.177:
	v_cvt_f32_f64_e32 v4, s[4:5]
	v_mov_b32_e32 v5, 0x80
	s_delay_alu instid0(VALU_DEP_2) | instskip(NEXT) | instid1(VALU_DEP_1)
	v_readfirstlane_b32 s10, v4
	s_and_b32 s12, s10, 0x7fffffff
	s_delay_alu instid0(SALU_CYCLE_1)
	s_cmp_gt_u32 s12, 0x437fffff
	s_cbranch_scc1 .LBB62_230
; %bb.178:
	s_cmp_gt_u32 s12, 0x3bffffff
	s_cbranch_scc0 .LBB62_225
; %bb.179:
	s_bfe_u32 s12, s10, 0x10014
	s_mov_b32 s13, 0
	s_add_i32 s12, s10, s12
	s_delay_alu instid0(SALU_CYCLE_1) | instskip(NEXT) | instid1(SALU_CYCLE_1)
	s_add_i32 s12, s12, 0x487ffff
	s_lshr_b32 s14, s12, 20
	s_mov_b32 s12, -1
	s_branch .LBB62_226
.LBB62_180:
	s_mov_b32 s12, 0
	s_mov_b32 s10, s1
	s_cbranch_execz .LBB62_382
; %bb.181:
	v_cmp_gt_i16_e32 vcc_lo, 5, v2
	s_mov_b32 s0, -1
	s_cbranch_vccnz .LBB62_202
; %bb.182:
	v_cmp_gt_i16_e32 vcc_lo, 8, v2
	s_cbranch_vccnz .LBB62_192
; %bb.183:
	v_cmp_gt_i16_e32 vcc_lo, 9, v2
	s_cbranch_vccnz .LBB62_189
; %bb.184:
	v_cmp_lt_i16_e32 vcc_lo, 9, v2
	s_cbranch_vccz .LBB62_186
; %bb.185:
	v_dual_mov_b32 v4, s4 :: v_dual_mov_b32 v5, s5
	v_dual_mov_b32 v6, s6 :: v_dual_mov_b32 v7, s7
	s_mov_b32 s0, 0
	global_store_b128 v[0:1], v[4:7], off
.LBB62_186:
	s_and_not1_b32 vcc_lo, exec_lo, s0
	s_cbranch_vccnz .LBB62_188
; %bb.187:
	v_cvt_f32_f64_e32 v4, s[4:5]
	v_cvt_f32_f64_e32 v5, s[6:7]
	global_store_b64 v[0:1], v[4:5], off
.LBB62_188:
	s_mov_b32 s0, 0
.LBB62_189:
	s_delay_alu instid0(SALU_CYCLE_1)
	s_and_not1_b32 vcc_lo, exec_lo, s0
	s_cbranch_vccnz .LBB62_191
; %bb.190:
	v_cvt_f32_f64_e32 v4, s[6:7]
	v_cvt_f32_f64_e32 v5, s[4:5]
	s_delay_alu instid0(VALU_DEP_2) | instskip(NEXT) | instid1(VALU_DEP_2)
	v_cvt_f16_f32_e32 v4, v4
	v_cvt_f16_f32_e32 v5, v5
	s_delay_alu instid0(VALU_DEP_2) | instskip(NEXT) | instid1(VALU_DEP_2)
	v_lshlrev_b32_e32 v4, 16, v4
	v_and_b32_e32 v5, 0xffff, v5
	s_delay_alu instid0(VALU_DEP_1)
	v_or_b32_e32 v4, v4, v5
	global_store_b32 v[0:1], v4, off
.LBB62_191:
	s_mov_b32 s0, 0
.LBB62_192:
	s_delay_alu instid0(SALU_CYCLE_1)
	s_and_not1_b32 vcc_lo, exec_lo, s0
	s_cbranch_vccnz .LBB62_201
; %bb.193:
	v_cmp_gt_i16_e32 vcc_lo, 6, v2
	s_mov_b32 s0, -1
	s_cbranch_vccnz .LBB62_199
; %bb.194:
	v_cmp_lt_i16_e32 vcc_lo, 6, v2
	s_cbranch_vccz .LBB62_196
; %bb.195:
	v_dual_mov_b32 v4, s4 :: v_dual_mov_b32 v5, s5
	s_mov_b32 s0, 0
	global_store_b64 v[0:1], v[4:5], off
.LBB62_196:
	s_and_not1_b32 vcc_lo, exec_lo, s0
	s_cbranch_vccnz .LBB62_198
; %bb.197:
	v_cvt_f32_f64_e32 v4, s[4:5]
	global_store_b32 v[0:1], v4, off
.LBB62_198:
	s_mov_b32 s0, 0
.LBB62_199:
	s_delay_alu instid0(SALU_CYCLE_1)
	s_and_not1_b32 vcc_lo, exec_lo, s0
	s_cbranch_vccnz .LBB62_201
; %bb.200:
	v_cvt_f32_f64_e32 v4, s[4:5]
	s_delay_alu instid0(VALU_DEP_1)
	v_cvt_f16_f32_e32 v4, v4
	global_store_b16 v[0:1], v4, off
.LBB62_201:
	s_mov_b32 s0, 0
.LBB62_202:
	s_delay_alu instid0(SALU_CYCLE_1)
	s_and_not1_b32 vcc_lo, exec_lo, s0
	s_cbranch_vccnz .LBB62_218
; %bb.203:
	v_cmp_gt_i16_e32 vcc_lo, 2, v2
	s_mov_b32 s0, -1
	s_cbranch_vccnz .LBB62_213
; %bb.204:
	v_cmp_gt_i16_e32 vcc_lo, 3, v2
	s_cbranch_vccnz .LBB62_210
; %bb.205:
	v_cmp_lt_i16_e32 vcc_lo, 3, v2
	s_cbranch_vccz .LBB62_207
; %bb.206:
	v_trunc_f64_e32 v[4:5], s[4:5]
	s_mov_b32 s0, 0
	s_delay_alu instid0(VALU_DEP_1) | instskip(NEXT) | instid1(VALU_DEP_1)
	v_ldexp_f64 v[6:7], v[4:5], 0xffffffe0
	v_floor_f64_e32 v[6:7], v[6:7]
	s_delay_alu instid0(VALU_DEP_1) | instskip(SKIP_1) | instid1(VALU_DEP_2)
	v_fma_f64 v[4:5], 0xc1f00000, v[6:7], v[4:5]
	v_cvt_i32_f64_e32 v6, v[6:7]
	v_cvt_u32_f64_e32 v5, v[4:5]
	global_store_b64 v[0:1], v[5:6], off
.LBB62_207:
	s_and_not1_b32 vcc_lo, exec_lo, s0
	s_cbranch_vccnz .LBB62_209
; %bb.208:
	v_cvt_i32_f64_e32 v4, s[4:5]
	global_store_b32 v[0:1], v4, off
.LBB62_209:
	s_mov_b32 s0, 0
.LBB62_210:
	s_delay_alu instid0(SALU_CYCLE_1)
	s_and_not1_b32 vcc_lo, exec_lo, s0
	s_cbranch_vccnz .LBB62_212
; %bb.211:
	v_cvt_i32_f64_e32 v4, s[4:5]
	global_store_b16 v[0:1], v4, off
.LBB62_212:
	s_mov_b32 s0, 0
.LBB62_213:
	s_delay_alu instid0(SALU_CYCLE_1)
	s_and_not1_b32 vcc_lo, exec_lo, s0
	s_cbranch_vccnz .LBB62_218
; %bb.214:
	v_cmp_lt_i16_e32 vcc_lo, 0, v2
	s_mov_b32 s0, -1
	s_cbranch_vccz .LBB62_216
; %bb.215:
	v_cvt_i32_f64_e32 v4, s[4:5]
	s_mov_b32 s0, 0
	global_store_b8 v[0:1], v4, off
.LBB62_216:
	s_and_not1_b32 vcc_lo, exec_lo, s0
	s_cbranch_vccnz .LBB62_218
; %bb.217:
	v_trunc_f64_e32 v[4:5], s[4:5]
	s_delay_alu instid0(VALU_DEP_1) | instskip(NEXT) | instid1(VALU_DEP_1)
	v_ldexp_f64 v[6:7], v[4:5], 0xffffffe0
	v_floor_f64_e32 v[6:7], v[6:7]
	s_delay_alu instid0(VALU_DEP_1) | instskip(NEXT) | instid1(VALU_DEP_1)
	v_fma_f64 v[4:5], 0xc1f00000, v[6:7], v[4:5]
	v_cvt_u32_f64_e32 v4, v[4:5]
	global_store_b8 v[0:1], v4, off
.LBB62_218:
	s_branch .LBB62_383
.LBB62_219:
	s_mov_b32 s34, 0
	s_mov_b32 s1, s31
	s_cbranch_execnz .LBB62_286
.LBB62_220:
	s_and_not1_b32 vcc_lo, exec_lo, s34
	s_cbranch_vccnz .LBB62_324
.LBB62_221:
	v_add_nc_u32_e32 v17, 0x80, v17
	s_mov_b32 s36, -1
	s_branch .LBB62_325
.LBB62_222:
	s_mov_b32 s36, -1
	s_mov_b32 s34, 0
	s_mov_b32 s1, s31
	s_branch .LBB62_263
.LBB62_223:
	s_mov_b32 s36, -1
	s_mov_b32 s34, 0
	s_mov_b32 s1, s31
	s_branch .LBB62_249
.LBB62_224:
	s_mov_b32 s36, -1
	s_mov_b32 s34, 0
	s_mov_b32 s1, s31
	s_branch .LBB62_245
.LBB62_225:
	s_mov_b32 s13, -1
	s_mov_b32 s12, 0
                                        ; implicit-def: $sgpr14
.LBB62_226:
	v_mov_b32_e32 v4, s14
	s_and_not1_b32 vcc_lo, exec_lo, s13
                                        ; implicit-def: $sgpr13
	s_cbranch_vccnz .LBB62_228
; %bb.227:
	v_add_f32_e64 v4, 0x46000000, |s10|
	s_mov_b32 s13, 0
	s_delay_alu instid0(VALU_DEP_1) | instskip(NEXT) | instid1(VALU_DEP_1)
	v_and_b32_e32 v4, 0xff, v4
	v_cmp_ne_u32_e64 s12, 0, v4
.LBB62_228:
	v_mov_b32_e32 v5, s13
	s_delay_alu instid0(VALU_DEP_2)
	s_and_not1_b32 vcc_lo, exec_lo, s12
	s_cbranch_vccnz .LBB62_230
; %bb.229:
	s_lshr_b32 s10, s10, 24
	s_delay_alu instid0(SALU_CYCLE_1) | instskip(NEXT) | instid1(SALU_CYCLE_1)
	s_and_b32 s10, s10, 0x80
	v_or_b32_e32 v5, s10, v4
.LBB62_230:
	global_store_b8 v[0:1], v5, off
.LBB62_231:
	s_mov_b32 s12, -1
.LBB62_232:
	s_mov_b32 s10, 0
.LBB62_233:
	s_delay_alu instid0(SALU_CYCLE_1)
	s_and_b32 vcc_lo, exec_lo, s10
	s_cbranch_vccz .LBB62_378
; %bb.234:
	v_cmp_lt_i16_e32 vcc_lo, 22, v2
	s_mov_b32 s10, -1
	s_cbranch_vccz .LBB62_371
; %bb.235:
	v_cmp_gt_i16_e32 vcc_lo, 24, v2
	s_cbranch_vccnz .LBB62_358
; %bb.236:
	v_cmp_lt_i16_e32 vcc_lo, 24, v2
	s_cbranch_vccz .LBB62_345
; %bb.237:
	v_cvt_f32_f64_e32 v4, s[4:5]
	v_mov_b32_e32 v5, 0x80
	s_delay_alu instid0(VALU_DEP_2) | instskip(NEXT) | instid1(VALU_DEP_1)
	v_readfirstlane_b32 s10, v4
	s_and_b32 s11, s10, 0x7fffffff
	s_delay_alu instid0(SALU_CYCLE_1)
	s_cmp_gt_u32 s11, 0x477fffff
	s_cbranch_scc1 .LBB62_344
; %bb.238:
	s_cmp_gt_u32 s11, 0x37ffffff
	s_cbranch_scc0 .LBB62_339
; %bb.239:
	s_bfe_u32 s11, s10, 0x10015
	s_mov_b32 s12, 0
	s_add_i32 s11, s10, s11
	s_delay_alu instid0(SALU_CYCLE_1) | instskip(NEXT) | instid1(SALU_CYCLE_1)
	s_add_i32 s11, s11, 0x88fffff
	s_lshr_b32 s13, s11, 21
	s_mov_b32 s11, -1
	s_branch .LBB62_340
.LBB62_240:
	s_mov_b32 s36, -1
	s_mov_b32 s34, 0
	s_mov_b32 s1, s31
.LBB62_241:
	s_and_b32 vcc_lo, exec_lo, s36
	s_cbranch_vccz .LBB62_244
; %bb.242:
	v_cmp_eq_u16_e32 vcc_lo, 44, v20
	s_mov_b32 s1, -1
	s_cbranch_vccz .LBB62_244
; %bb.243:
	v_cndmask_b32_e64 v21, v18, 0xff, s0
	s_mov_b32 s34, -1
	s_mov_b32 s1, 0
	global_store_b8 v[6:7], v21, off
.LBB62_244:
	s_mov_b32 s36, 0
.LBB62_245:
	s_delay_alu instid0(SALU_CYCLE_1)
	s_and_b32 vcc_lo, exec_lo, s36
	s_cbranch_vccz .LBB62_248
; %bb.246:
	v_cmp_eq_u16_e32 vcc_lo, 29, v20
	s_mov_b32 s1, -1
	s_cbranch_vccz .LBB62_248
; %bb.247:
	s_mov_b32 s34, -1
	s_mov_b32 s1, 0
	global_store_b64 v[6:7], v[2:3], off
.LBB62_248:
	s_mov_b32 s36, 0
.LBB62_249:
	s_delay_alu instid0(SALU_CYCLE_1)
	s_and_b32 vcc_lo, exec_lo, s36
	s_cbranch_vccz .LBB62_262
; %bb.250:
	v_cmp_gt_i16_e32 vcc_lo, 27, v20
	s_mov_b32 s34, -1
	s_cbranch_vccnz .LBB62_256
; %bb.251:
	v_cmp_lt_i16_e32 vcc_lo, 27, v20
	s_cbranch_vccz .LBB62_253
; %bb.252:
	s_mov_b32 s34, 0
	global_store_b32 v[6:7], v16, off
.LBB62_253:
	s_and_not1_b32 vcc_lo, exec_lo, s34
	s_cbranch_vccnz .LBB62_255
; %bb.254:
	global_store_b16 v[6:7], v16, off
.LBB62_255:
	s_mov_b32 s34, 0
.LBB62_256:
	s_delay_alu instid0(SALU_CYCLE_1)
	s_and_not1_b32 vcc_lo, exec_lo, s34
	s_cbranch_vccnz .LBB62_261
; %bb.257:
	v_mov_b32_e32 v21, 0x80
	s_and_not1_b32 vcc_lo, exec_lo, s28
	s_cbranch_vccnz .LBB62_260
; %bb.258:
	v_mov_b32_e32 v21, 0
	s_or_b32 s34, s26, s29
	s_delay_alu instid0(SALU_CYCLE_1)
	s_and_not1_b32 vcc_lo, exec_lo, s34
	s_cbranch_vccnz .LBB62_260
; %bb.259:
	v_cndmask_b32_e64 v21, v15, s27, s26
	s_delay_alu instid0(VALU_DEP_1)
	v_or_b32_e32 v21, v21, v12
.LBB62_260:
	global_store_b8 v[6:7], v21, off
.LBB62_261:
	s_mov_b32 s34, -1
.LBB62_262:
	s_mov_b32 s36, 0
.LBB62_263:
	s_delay_alu instid0(SALU_CYCLE_1)
	s_and_b32 vcc_lo, exec_lo, s36
	s_cbranch_vccz .LBB62_285
; %bb.264:
	v_cmp_lt_i16_e32 vcc_lo, 22, v20
	s_mov_b32 s36, -1
	s_cbranch_vccz .LBB62_277
; %bb.265:
	v_cmp_gt_i16_e32 vcc_lo, 24, v20
	s_mov_b32 s34, -1
	s_cbranch_vccnz .LBB62_274
; %bb.266:
	v_cmp_lt_i16_e32 vcc_lo, 24, v20
	s_cbranch_vccz .LBB62_271
; %bb.267:
	v_mov_b32_e32 v21, 0x80
	s_and_not1_b32 vcc_lo, exec_lo, s24
	s_cbranch_vccnz .LBB62_270
; %bb.268:
	v_mov_b32_e32 v21, 0
	s_or_b32 s34, s20, s25
	s_delay_alu instid0(SALU_CYCLE_1)
	s_and_not1_b32 vcc_lo, exec_lo, s34
	s_cbranch_vccnz .LBB62_270
; %bb.269:
	v_cndmask_b32_e64 v21, v14, s22, s20
	s_delay_alu instid0(VALU_DEP_1)
	v_or_b32_e32 v21, v21, v12
.LBB62_270:
	s_mov_b32 s34, 0
	global_store_b8 v[6:7], v21, off
.LBB62_271:
	s_and_b32 vcc_lo, exec_lo, s34
	s_cbranch_vccz .LBB62_273
; %bb.272:
	s_and_b32 s34, s19, exec_lo
	s_cselect_b32 s34, s14, s21
	s_and_b32 s36, s17, exec_lo
	s_cselect_b32 s34, s23, s34
	s_delay_alu instid0(SALU_CYCLE_1)
	v_or_b32_e32 v21, s34, v12
	global_store_b8 v[6:7], v21, off
.LBB62_273:
	s_mov_b32 s34, 0
.LBB62_274:
	s_delay_alu instid0(SALU_CYCLE_1)
	s_and_not1_b32 vcc_lo, exec_lo, s34
	s_cbranch_vccnz .LBB62_276
; %bb.275:
	s_and_b32 s34, s15, exec_lo
	s_cselect_b32 s34, s12, s16
	s_and_b32 s36, s13, exec_lo
	s_cselect_b32 s34, s18, s34
	s_delay_alu instid0(SALU_CYCLE_1)
	v_or_b32_e32 v21, s34, v12
	global_store_b8 v[6:7], v21, off
.LBB62_276:
	s_mov_b32 s36, 0
	s_mov_b32 s34, -1
.LBB62_277:
	s_and_not1_b32 vcc_lo, exec_lo, s36
	s_cbranch_vccnz .LBB62_285
; %bb.278:
	v_cmp_lt_i16_e32 vcc_lo, 14, v20
	s_mov_b32 s36, -1
	s_cbranch_vccz .LBB62_282
; %bb.279:
	v_cmp_eq_u16_e32 vcc_lo, 15, v20
	s_mov_b32 s1, -1
	s_cbranch_vccz .LBB62_281
; %bb.280:
	s_mov_b32 s34, -1
	s_mov_b32 s1, 0
	global_store_b16 v[6:7], v13, off
.LBB62_281:
	s_mov_b32 s36, 0
.LBB62_282:
	s_delay_alu instid0(SALU_CYCLE_1)
	s_and_b32 vcc_lo, exec_lo, s36
	s_cbranch_vccz .LBB62_285
; %bb.283:
	v_cmp_eq_u16_e32 vcc_lo, 11, v20
	s_mov_b32 s1, -1
	s_cbranch_vccz .LBB62_285
; %bb.284:
	s_mov_b32 s34, -1
	s_mov_b32 s1, 0
	global_store_b8 v[6:7], v11, off
.LBB62_285:
	s_branch .LBB62_220
.LBB62_286:
	v_cmp_gt_i16_e32 vcc_lo, 5, v20
	s_mov_b32 s34, -1
	s_cbranch_vccnz .LBB62_307
; %bb.287:
	v_cmp_gt_i16_e32 vcc_lo, 8, v20
	s_cbranch_vccnz .LBB62_297
; %bb.288:
	v_cmp_gt_i16_e32 vcc_lo, 9, v20
	s_cbranch_vccnz .LBB62_294
; %bb.289:
	v_cmp_lt_i16_e32 vcc_lo, 9, v20
	s_cbranch_vccz .LBB62_291
; %bb.290:
	v_dual_mov_b32 v21, s4 :: v_dual_mov_b32 v22, s5
	v_dual_mov_b32 v23, s6 :: v_dual_mov_b32 v24, s7
	s_mov_b32 s34, 0
	global_store_b128 v[6:7], v[21:24], off
.LBB62_291:
	s_and_not1_b32 vcc_lo, exec_lo, s34
	s_cbranch_vccnz .LBB62_293
; %bb.292:
	global_store_b64 v[6:7], v[0:1], off
.LBB62_293:
	s_mov_b32 s34, 0
.LBB62_294:
	s_delay_alu instid0(SALU_CYCLE_1)
	s_and_not1_b32 vcc_lo, exec_lo, s34
	s_cbranch_vccnz .LBB62_296
; %bb.295:
	global_store_b32 v[6:7], v10, off
.LBB62_296:
	s_mov_b32 s34, 0
.LBB62_297:
	s_delay_alu instid0(SALU_CYCLE_1)
	s_and_not1_b32 vcc_lo, exec_lo, s34
	s_cbranch_vccnz .LBB62_306
; %bb.298:
	v_cmp_gt_i16_e32 vcc_lo, 6, v20
	s_mov_b32 s34, -1
	s_cbranch_vccnz .LBB62_304
; %bb.299:
	v_cmp_lt_i16_e32 vcc_lo, 6, v20
	s_cbranch_vccz .LBB62_301
; %bb.300:
	v_dual_mov_b32 v22, s5 :: v_dual_mov_b32 v21, s4
	s_mov_b32 s34, 0
	global_store_b64 v[6:7], v[21:22], off
.LBB62_301:
	s_and_not1_b32 vcc_lo, exec_lo, s34
	s_cbranch_vccnz .LBB62_303
; %bb.302:
	global_store_b32 v[6:7], v0, off
.LBB62_303:
	s_mov_b32 s34, 0
.LBB62_304:
	s_delay_alu instid0(SALU_CYCLE_1)
	s_and_not1_b32 vcc_lo, exec_lo, s34
	s_cbranch_vccnz .LBB62_306
; %bb.305:
	global_store_b16 v[6:7], v9, off
.LBB62_306:
	s_mov_b32 s34, 0
.LBB62_307:
	s_delay_alu instid0(SALU_CYCLE_1)
	s_and_not1_b32 vcc_lo, exec_lo, s34
	s_cbranch_vccnz .LBB62_323
; %bb.308:
	v_cmp_gt_i16_e32 vcc_lo, 2, v20
	s_mov_b32 s34, -1
	s_cbranch_vccnz .LBB62_318
; %bb.309:
	v_cmp_gt_i16_e32 vcc_lo, 3, v20
	s_cbranch_vccnz .LBB62_315
; %bb.310:
	v_cmp_lt_i16_e32 vcc_lo, 3, v20
	s_cbranch_vccz .LBB62_312
; %bb.311:
	s_mov_b32 s34, 0
	global_store_b64 v[6:7], v[4:5], off
.LBB62_312:
	s_and_not1_b32 vcc_lo, exec_lo, s34
	s_cbranch_vccnz .LBB62_314
; %bb.313:
	global_store_b32 v[6:7], v8, off
.LBB62_314:
	s_mov_b32 s34, 0
.LBB62_315:
	s_delay_alu instid0(SALU_CYCLE_1)
	s_and_not1_b32 vcc_lo, exec_lo, s34
	s_cbranch_vccnz .LBB62_317
; %bb.316:
	global_store_b16 v[6:7], v8, off
.LBB62_317:
	s_mov_b32 s34, 0
.LBB62_318:
	s_delay_alu instid0(SALU_CYCLE_1)
	s_and_not1_b32 vcc_lo, exec_lo, s34
	s_cbranch_vccnz .LBB62_323
; %bb.319:
	v_cmp_lt_i16_e32 vcc_lo, 0, v20
	s_mov_b32 s34, -1
	s_cbranch_vccz .LBB62_321
; %bb.320:
	s_mov_b32 s34, 0
	global_store_b8 v[6:7], v8, off
.LBB62_321:
	s_and_not1_b32 vcc_lo, exec_lo, s34
	s_cbranch_vccnz .LBB62_323
; %bb.322:
	global_store_b8 v[6:7], v2, off
.LBB62_323:
	s_branch .LBB62_221
.LBB62_324:
	s_mov_b32 s36, 0
                                        ; implicit-def: $vgpr17
.LBB62_325:
	s_and_not1_b32 s34, s31, exec_lo
	s_and_b32 s1, s1, exec_lo
	s_delay_alu instid0(SALU_CYCLE_1)
	s_or_b32 s34, s34, s1
	s_or_not1_b32 s1, s36, exec_lo
.LBB62_326:
	s_or_b32 exec_lo, exec_lo, s35
	s_mov_b32 s36, 0
	s_mov_b32 s38, 0
                                        ; implicit-def: $vgpr20
                                        ; implicit-def: $vgpr6_vgpr7
	s_and_saveexec_b32 s35, s1
	s_cbranch_execz .LBB62_790
; %bb.327:
	s_mov_b32 s39, -1
	s_mov_b32 s37, s34
	s_mov_b32 s36, exec_lo
	v_cmpx_gt_i32_e64 s30, v17
	s_cbranch_execz .LBB62_558
; %bb.328:
	v_mul_lo_u32 v6, v17, s8
	v_and_b32_e64 v20, 0xff, s11
	s_delay_alu instid0(VALU_DEP_1) | instskip(NEXT) | instid1(VALU_DEP_3)
	v_cmp_gt_i16_e32 vcc_lo, 11, v20
	v_ashrrev_i32_e32 v7, 31, v6
	v_add_co_u32 v6, s1, s2, v6
	s_delay_alu instid0(VALU_DEP_1)
	v_add_co_ci_u32_e64 v7, s1, s3, v7, s1
	s_cbranch_vccnz .LBB62_335
; %bb.329:
	v_cmp_lt_i16_e32 vcc_lo, 25, v20
	s_cbranch_vccz .LBB62_336
; %bb.330:
	v_cmp_lt_i16_e32 vcc_lo, 28, v20
	s_cbranch_vccz .LBB62_337
	;; [unrolled: 3-line block ×4, first 2 shown]
; %bb.333:
	v_cmp_eq_u16_e32 vcc_lo, 46, v20
	s_mov_b32 s1, -1
	s_mov_b32 s37, 0
	s_cbranch_vccz .LBB62_470
; %bb.334:
	s_mov_b32 s37, -1
	s_mov_b32 s1, 0
	global_store_b32 v[6:7], v19, off
	s_branch .LBB62_470
.LBB62_335:
	s_mov_b32 s38, -1
	s_mov_b32 s37, 0
	s_mov_b32 s1, s34
	s_branch .LBB62_515
.LBB62_336:
	s_mov_b32 s38, -1
	s_mov_b32 s37, 0
	s_mov_b32 s1, s34
	s_branch .LBB62_492
.LBB62_337:
	s_mov_b32 s38, -1
	s_mov_b32 s37, 0
	s_mov_b32 s1, s34
	s_branch .LBB62_478
.LBB62_338:
	s_mov_b32 s38, -1
	s_mov_b32 s37, 0
	s_mov_b32 s1, s34
	s_branch .LBB62_474
.LBB62_339:
	s_mov_b32 s12, -1
	s_mov_b32 s11, 0
                                        ; implicit-def: $sgpr13
.LBB62_340:
	v_mov_b32_e32 v4, s13
	s_and_not1_b32 vcc_lo, exec_lo, s12
                                        ; implicit-def: $sgpr12
	s_cbranch_vccnz .LBB62_342
; %bb.341:
	v_add_f32_e64 v4, 0x42800000, |s10|
	s_mov_b32 s12, 0
	s_delay_alu instid0(VALU_DEP_1) | instskip(NEXT) | instid1(VALU_DEP_1)
	v_and_b32_e32 v4, 0xff, v4
	v_cmp_ne_u32_e64 s11, 0, v4
.LBB62_342:
	v_mov_b32_e32 v5, s12
	s_delay_alu instid0(VALU_DEP_2)
	s_and_not1_b32 vcc_lo, exec_lo, s11
	s_cbranch_vccnz .LBB62_344
; %bb.343:
	s_lshr_b32 s10, s10, 24
	s_delay_alu instid0(SALU_CYCLE_1) | instskip(NEXT) | instid1(SALU_CYCLE_1)
	s_and_b32 s10, s10, 0x80
	v_or_b32_e32 v5, s10, v4
.LBB62_344:
	s_mov_b32 s10, 0
	global_store_b8 v[0:1], v5, off
.LBB62_345:
	s_and_b32 vcc_lo, exec_lo, s10
	s_cbranch_vccz .LBB62_357
; %bb.346:
	v_cvt_f32_f64_e32 v4, s[4:5]
	s_delay_alu instid0(VALU_DEP_1) | instskip(NEXT) | instid1(VALU_DEP_1)
	v_readfirstlane_b32 s10, v4
	s_and_b32 s11, s10, 0x7fffffff
	s_delay_alu instid0(SALU_CYCLE_1)
	s_cmp_lt_u32 s11, 0x43f00000
	s_cbranch_scc0 .LBB62_349
; %bb.347:
	s_cmp_gt_u32 s11, 0x3c7fffff
	s_cbranch_scc0 .LBB62_350
; %bb.348:
	s_bfe_u32 s12, s10, 0x10014
	s_delay_alu instid0(SALU_CYCLE_1) | instskip(NEXT) | instid1(SALU_CYCLE_1)
	s_add_i32 s12, s10, s12
	s_add_i32 s12, s12, 0x407ffff
	s_delay_alu instid0(SALU_CYCLE_1)
	s_and_b32 s13, s12, 0xff00000
	s_lshr_b32 s12, s12, 20
	s_cmp_lg_u32 s13, 0x7f00000
	s_cselect_b32 s13, s12, 0x7e
	s_mov_b32 s12, 0
	s_branch .LBB62_351
.LBB62_349:
	s_mov_b32 s12, -1
                                        ; implicit-def: $vgpr5
	s_branch .LBB62_354
.LBB62_350:
	s_mov_b32 s12, -1
                                        ; implicit-def: $sgpr13
.LBB62_351:
	v_mov_b32_e32 v5, s13
	s_and_not1_b32 vcc_lo, exec_lo, s12
	s_cbranch_vccnz .LBB62_353
; %bb.352:
	v_add_f32_e64 v5, 0x46800000, |v4|
.LBB62_353:
	s_mov_b32 s12, 0
.LBB62_354:
	s_delay_alu instid0(SALU_CYCLE_1)
	s_and_not1_b32 vcc_lo, exec_lo, s12
	s_cbranch_vccnz .LBB62_356
; %bb.355:
	s_cmp_gt_u32 s11, 0x7f800000
	s_movk_i32 s11, 0x7f
	s_delay_alu instid0(SALU_CYCLE_1) | instskip(NEXT) | instid1(SALU_CYCLE_1)
	s_cselect_b32 s11, s11, 0x7e
	v_mov_b32_e32 v5, s11
.LBB62_356:
	s_lshr_b32 s10, s10, 24
	s_delay_alu instid0(SALU_CYCLE_1)
	s_and_b32 s10, s10, 0x80
	s_delay_alu instid0(VALU_DEP_1) | instid1(SALU_CYCLE_1)
	v_or_b32_e32 v4, s10, v5
	global_store_b8 v[0:1], v4, off
.LBB62_357:
	s_mov_b32 s10, 0
.LBB62_358:
	s_delay_alu instid0(SALU_CYCLE_1)
	s_and_not1_b32 vcc_lo, exec_lo, s10
	s_cbranch_vccnz .LBB62_370
; %bb.359:
	v_cvt_f32_f64_e32 v4, s[4:5]
	s_delay_alu instid0(VALU_DEP_1) | instskip(NEXT) | instid1(VALU_DEP_1)
	v_readfirstlane_b32 s10, v4
	s_and_b32 s11, s10, 0x7fffffff
	s_delay_alu instid0(SALU_CYCLE_1)
	s_cmp_lt_u32 s11, 0x47800000
	s_cbranch_scc0 .LBB62_362
; %bb.360:
	s_cmp_gt_u32 s11, 0x387fffff
	s_cbranch_scc0 .LBB62_363
; %bb.361:
	s_bfe_u32 s12, s10, 0x10015
	s_delay_alu instid0(SALU_CYCLE_1) | instskip(NEXT) | instid1(SALU_CYCLE_1)
	s_add_i32 s12, s10, s12
	s_add_i32 s12, s12, 0x80fffff
	s_delay_alu instid0(SALU_CYCLE_1)
	s_lshr_b32 s13, s12, 21
	s_mov_b32 s12, 0
	s_branch .LBB62_364
.LBB62_362:
	s_mov_b32 s12, -1
                                        ; implicit-def: $vgpr5
	s_branch .LBB62_367
.LBB62_363:
	s_mov_b32 s12, -1
                                        ; implicit-def: $sgpr13
.LBB62_364:
	v_mov_b32_e32 v5, s13
	s_and_not1_b32 vcc_lo, exec_lo, s12
	s_cbranch_vccnz .LBB62_366
; %bb.365:
	v_add_f32_e64 v5, 0x43000000, |v4|
.LBB62_366:
	s_mov_b32 s12, 0
.LBB62_367:
	s_delay_alu instid0(SALU_CYCLE_1)
	s_and_not1_b32 vcc_lo, exec_lo, s12
	s_cbranch_vccnz .LBB62_369
; %bb.368:
	s_cmp_gt_u32 s11, 0x7f800000
	s_movk_i32 s11, 0x7f
	s_delay_alu instid0(SALU_CYCLE_1) | instskip(NEXT) | instid1(SALU_CYCLE_1)
	s_cselect_b32 s11, s11, 0x7c
	v_mov_b32_e32 v5, s11
.LBB62_369:
	s_lshr_b32 s10, s10, 24
	s_delay_alu instid0(SALU_CYCLE_1)
	s_and_b32 s10, s10, 0x80
	s_delay_alu instid0(VALU_DEP_1) | instid1(SALU_CYCLE_1)
	v_or_b32_e32 v4, s10, v5
	global_store_b8 v[0:1], v4, off
.LBB62_370:
	s_mov_b32 s10, 0
	s_mov_b32 s12, -1
.LBB62_371:
	s_and_not1_b32 vcc_lo, exec_lo, s10
	s_mov_b32 s11, 0
	s_cbranch_vccnz .LBB62_378
; %bb.372:
	v_cmp_lt_i16_e32 vcc_lo, 14, v2
	s_mov_b32 s10, -1
	s_cbranch_vccz .LBB62_376
; %bb.373:
	v_cmp_eq_u16_e32 vcc_lo, 15, v2
	s_mov_b32 s0, -1
	s_cbranch_vccz .LBB62_375
; %bb.374:
	v_cvt_f32_f64_e32 v4, s[4:5]
	s_mov_b32 s0, 0
	s_mov_b32 s12, -1
	s_delay_alu instid0(VALU_DEP_1) | instskip(SKIP_1) | instid1(VALU_DEP_2)
	v_bfe_u32 v5, v4, 16, 1
	v_cmp_o_f32_e32 vcc_lo, v4, v4
	v_add_nc_u32_e32 v5, v4, v5
	s_delay_alu instid0(VALU_DEP_1) | instskip(NEXT) | instid1(VALU_DEP_1)
	v_add_nc_u32_e32 v5, 0x7fff, v5
	v_lshrrev_b32_e32 v5, 16, v5
	s_delay_alu instid0(VALU_DEP_1)
	v_cndmask_b32_e32 v4, 0x7fc0, v5, vcc_lo
	global_store_b16 v[0:1], v4, off
.LBB62_375:
	s_mov_b32 s10, 0
.LBB62_376:
	s_delay_alu instid0(SALU_CYCLE_1)
	s_and_b32 vcc_lo, exec_lo, s10
	s_cbranch_vccz .LBB62_378
; %bb.377:
	v_cmp_ne_u16_e64 s0, 11, v2
	s_mov_b32 s11, -1
.LBB62_378:
	s_delay_alu instid0(VALU_DEP_1)
	s_and_b32 vcc_lo, exec_lo, s0
	s_mov_b32 s10, s1
	s_cbranch_vccnz .LBB62_450
; %bb.379:
	s_and_not1_b32 vcc_lo, exec_lo, s11
	s_cbranch_vccnz .LBB62_381
.LBB62_380:
	v_cmp_neq_f64_e64 s0, s[4:5], 0
	v_cmp_neq_f64_e64 s11, s[6:7], 0
	s_mov_b32 s12, -1
	s_delay_alu instid0(VALU_DEP_1) | instskip(NEXT) | instid1(SALU_CYCLE_1)
	s_or_b32 s0, s0, s11
	v_cndmask_b32_e64 v4, 0, 1, s0
	global_store_b8 v[0:1], v4, off
.LBB62_381:
.LBB62_382:
	s_and_not1_b32 vcc_lo, exec_lo, s12
	s_cbranch_vccnz .LBB62_683
.LBB62_383:
	s_lshl_b32 s8, s8, 7
	v_cmp_gt_i16_e32 vcc_lo, 11, v2
	v_add_nc_u32_e32 v3, s8, v3
	s_delay_alu instid0(VALU_DEP_1) | instskip(SKIP_1) | instid1(VALU_DEP_1)
	v_ashrrev_i32_e32 v1, 31, v3
	v_add_co_u32 v0, s0, s2, v3
	v_add_co_ci_u32_e64 v1, s0, s3, v1, s0
	s_cbranch_vccnz .LBB62_411
; %bb.384:
	v_cmp_lt_i16_e32 vcc_lo, 25, v2
	s_mov_b32 s13, -1
	s_mov_b32 s11, 0
	s_mov_b32 s12, 0
	;; [unrolled: 1-line block ×3, first 2 shown]
	s_cbranch_vccz .LBB62_462
; %bb.385:
	v_cmp_lt_i16_e32 vcc_lo, 28, v2
	s_cbranch_vccz .LBB62_400
; %bb.386:
	v_cmp_lt_i16_e32 vcc_lo, 43, v2
	;; [unrolled: 3-line block ×3, first 2 shown]
	s_cbranch_vccz .LBB62_390
; %bb.388:
	v_cmp_eq_u16_e32 vcc_lo, 46, v2
	s_mov_b32 s0, -1
	s_mov_b32 s13, 0
	s_cbranch_vccz .LBB62_390
; %bb.389:
	v_cvt_f32_f64_e32 v5, s[4:5]
	v_cvt_f32_f64_e32 v4, s[6:7]
	s_mov_b32 s0, 0
	s_mov_b32 s12, -1
	s_delay_alu instid0(VALU_DEP_2) | instskip(NEXT) | instid1(VALU_DEP_2)
	v_bfe_u32 v7, v5, 16, 1
	v_cmp_o_f32_e32 vcc_lo, v4, v4
	v_bfe_u32 v6, v4, 16, 1
	s_delay_alu instid0(VALU_DEP_3) | instskip(NEXT) | instid1(VALU_DEP_1)
	v_add_nc_u32_e32 v7, v5, v7
	v_add_nc_u32_e32 v7, 0x7fff, v7
	s_delay_alu instid0(VALU_DEP_1) | instskip(NEXT) | instid1(VALU_DEP_4)
	v_lshrrev_b32_e32 v7, 16, v7
	v_add_nc_u32_e32 v6, v4, v6
	s_delay_alu instid0(VALU_DEP_1) | instskip(NEXT) | instid1(VALU_DEP_1)
	v_add_nc_u32_e32 v6, 0x7fff, v6
	v_and_b32_e32 v6, 0xffff0000, v6
	s_delay_alu instid0(VALU_DEP_1) | instskip(SKIP_2) | instid1(VALU_DEP_1)
	v_cndmask_b32_e32 v4, 0x7fc00000, v6, vcc_lo
	v_cmp_o_f32_e32 vcc_lo, v5, v5
	v_cndmask_b32_e32 v5, 0x7fc0, v7, vcc_lo
	v_or_b32_e32 v4, v4, v5
	global_store_b32 v[0:1], v4, off
.LBB62_390:
	s_and_b32 vcc_lo, exec_lo, s13
	s_cbranch_vccz .LBB62_395
; %bb.391:
	v_cmp_eq_u16_e32 vcc_lo, 44, v2
	s_mov_b32 s0, -1
	s_cbranch_vccz .LBB62_395
; %bb.392:
	v_cvt_f32_f64_e32 v4, s[4:5]
	v_mov_b32_e32 v5, 0xff
	s_delay_alu instid0(VALU_DEP_2) | instskip(NEXT) | instid1(VALU_DEP_1)
	v_readfirstlane_b32 s0, v4
	s_bfe_u32 s12, s0, 0x80017
	s_delay_alu instid0(SALU_CYCLE_1)
	s_cmpk_eq_i32 s12, 0xff
	s_cbranch_scc1 .LBB62_394
; %bb.393:
	s_bitcmp1_b32 s0, 22
	v_lshrrev_b32_e32 v4, 23, v4
	s_cselect_b32 s13, -1, 0
	s_and_b32 s0, s0, 0x3fffff
	s_delay_alu instid0(SALU_CYCLE_1) | instskip(NEXT) | instid1(SALU_CYCLE_1)
	s_or_b32 s0, s12, s0
	s_cmp_lg_u32 s0, 0
	s_cselect_b32 s0, -1, 0
	s_delay_alu instid0(SALU_CYCLE_1) | instskip(NEXT) | instid1(SALU_CYCLE_1)
	s_and_b32 s0, s13, s0
	v_cndmask_b32_e64 v5, 0, 1, s0
	s_delay_alu instid0(VALU_DEP_1)
	v_add_nc_u32_e32 v5, v4, v5
.LBB62_394:
	s_mov_b32 s0, 0
	s_mov_b32 s12, -1
	global_store_b8 v[0:1], v5, off
.LBB62_395:
	s_mov_b32 s13, 0
.LBB62_396:
	s_delay_alu instid0(SALU_CYCLE_1)
	s_and_b32 vcc_lo, exec_lo, s13
	s_cbranch_vccz .LBB62_399
; %bb.397:
	v_cmp_eq_u16_e32 vcc_lo, 29, v2
	s_mov_b32 s0, -1
	s_cbranch_vccz .LBB62_399
; %bb.398:
	v_trunc_f64_e32 v[4:5], s[4:5]
	s_mov_b32 s0, 0
	s_mov_b32 s12, -1
	s_delay_alu instid0(VALU_DEP_1) | instskip(NEXT) | instid1(VALU_DEP_1)
	v_ldexp_f64 v[6:7], v[4:5], 0xffffffe0
	v_floor_f64_e32 v[6:7], v[6:7]
	s_delay_alu instid0(VALU_DEP_1) | instskip(SKIP_1) | instid1(VALU_DEP_2)
	v_fma_f64 v[4:5], 0xc1f00000, v[6:7], v[4:5]
	v_cvt_u32_f64_e32 v6, v[6:7]
	v_cvt_u32_f64_e32 v5, v[4:5]
	global_store_b64 v[0:1], v[5:6], off
.LBB62_399:
	s_mov_b32 s13, 0
.LBB62_400:
	s_delay_alu instid0(SALU_CYCLE_1)
	s_and_b32 vcc_lo, exec_lo, s13
	s_cbranch_vccz .LBB62_461
; %bb.401:
	v_cmp_gt_i16_e32 vcc_lo, 27, v2
	s_mov_b32 s12, -1
	s_cbranch_vccnz .LBB62_407
; %bb.402:
	v_cmp_lt_i16_e32 vcc_lo, 27, v2
	s_cbranch_vccz .LBB62_404
; %bb.403:
	v_cvt_u32_f64_e32 v4, s[4:5]
	s_mov_b32 s12, 0
	global_store_b32 v[0:1], v4, off
.LBB62_404:
	s_and_not1_b32 vcc_lo, exec_lo, s12
	s_cbranch_vccnz .LBB62_406
; %bb.405:
	v_cvt_u32_f64_e32 v4, s[4:5]
	global_store_b16 v[0:1], v4, off
.LBB62_406:
	s_mov_b32 s12, 0
.LBB62_407:
	s_delay_alu instid0(SALU_CYCLE_1)
	s_and_not1_b32 vcc_lo, exec_lo, s12
	s_cbranch_vccnz .LBB62_460
; %bb.408:
	v_cvt_f32_f64_e32 v4, s[4:5]
	v_mov_b32_e32 v5, 0x80
	s_delay_alu instid0(VALU_DEP_2) | instskip(NEXT) | instid1(VALU_DEP_1)
	v_readfirstlane_b32 s12, v4
	s_and_b32 s13, s12, 0x7fffffff
	s_delay_alu instid0(SALU_CYCLE_1)
	s_cmp_gt_u32 s13, 0x437fffff
	s_cbranch_scc1 .LBB62_459
; %bb.409:
	s_cmp_gt_u32 s13, 0x3bffffff
	s_cbranch_scc0 .LBB62_454
; %bb.410:
	s_bfe_u32 s13, s12, 0x10014
	s_mov_b32 s14, 0
	s_add_i32 s13, s12, s13
	s_delay_alu instid0(SALU_CYCLE_1) | instskip(NEXT) | instid1(SALU_CYCLE_1)
	s_add_i32 s13, s13, 0x487ffff
	s_lshr_b32 s15, s13, 20
	s_mov_b32 s13, -1
	s_branch .LBB62_455
.LBB62_411:
	s_mov_b32 s12, 0
	s_cbranch_execz .LBB62_615
; %bb.412:
	v_cmp_gt_i16_e32 vcc_lo, 5, v2
	s_mov_b32 s0, -1
	s_cbranch_vccnz .LBB62_433
; %bb.413:
	v_cmp_gt_i16_e32 vcc_lo, 8, v2
	s_cbranch_vccnz .LBB62_423
; %bb.414:
	v_cmp_gt_i16_e32 vcc_lo, 9, v2
	s_cbranch_vccnz .LBB62_420
; %bb.415:
	v_cmp_lt_i16_e32 vcc_lo, 9, v2
	s_cbranch_vccz .LBB62_417
; %bb.416:
	v_dual_mov_b32 v4, s4 :: v_dual_mov_b32 v5, s5
	v_dual_mov_b32 v6, s6 :: v_dual_mov_b32 v7, s7
	s_mov_b32 s0, 0
	global_store_b128 v[0:1], v[4:7], off
.LBB62_417:
	s_and_not1_b32 vcc_lo, exec_lo, s0
	s_cbranch_vccnz .LBB62_419
; %bb.418:
	v_cvt_f32_f64_e32 v4, s[4:5]
	v_cvt_f32_f64_e32 v5, s[6:7]
	global_store_b64 v[0:1], v[4:5], off
.LBB62_419:
	s_mov_b32 s0, 0
.LBB62_420:
	s_delay_alu instid0(SALU_CYCLE_1)
	s_and_not1_b32 vcc_lo, exec_lo, s0
	s_cbranch_vccnz .LBB62_422
; %bb.421:
	v_cvt_f32_f64_e32 v4, s[6:7]
	v_cvt_f32_f64_e32 v5, s[4:5]
	s_delay_alu instid0(VALU_DEP_2) | instskip(NEXT) | instid1(VALU_DEP_2)
	v_cvt_f16_f32_e32 v4, v4
	v_cvt_f16_f32_e32 v5, v5
	s_delay_alu instid0(VALU_DEP_2) | instskip(NEXT) | instid1(VALU_DEP_2)
	v_lshlrev_b32_e32 v4, 16, v4
	v_and_b32_e32 v5, 0xffff, v5
	s_delay_alu instid0(VALU_DEP_1)
	v_or_b32_e32 v4, v4, v5
	global_store_b32 v[0:1], v4, off
.LBB62_422:
	s_mov_b32 s0, 0
.LBB62_423:
	s_delay_alu instid0(SALU_CYCLE_1)
	s_and_not1_b32 vcc_lo, exec_lo, s0
	s_cbranch_vccnz .LBB62_432
; %bb.424:
	v_cmp_gt_i16_e32 vcc_lo, 6, v2
	s_mov_b32 s0, -1
	s_cbranch_vccnz .LBB62_430
; %bb.425:
	v_cmp_lt_i16_e32 vcc_lo, 6, v2
	s_cbranch_vccz .LBB62_427
; %bb.426:
	v_dual_mov_b32 v4, s4 :: v_dual_mov_b32 v5, s5
	s_mov_b32 s0, 0
	global_store_b64 v[0:1], v[4:5], off
.LBB62_427:
	s_and_not1_b32 vcc_lo, exec_lo, s0
	s_cbranch_vccnz .LBB62_429
; %bb.428:
	v_cvt_f32_f64_e32 v4, s[4:5]
	global_store_b32 v[0:1], v4, off
.LBB62_429:
	s_mov_b32 s0, 0
.LBB62_430:
	s_delay_alu instid0(SALU_CYCLE_1)
	s_and_not1_b32 vcc_lo, exec_lo, s0
	s_cbranch_vccnz .LBB62_432
; %bb.431:
	v_cvt_f32_f64_e32 v4, s[4:5]
	s_delay_alu instid0(VALU_DEP_1)
	v_cvt_f16_f32_e32 v4, v4
	global_store_b16 v[0:1], v4, off
.LBB62_432:
	s_mov_b32 s0, 0
.LBB62_433:
	s_delay_alu instid0(SALU_CYCLE_1)
	s_and_not1_b32 vcc_lo, exec_lo, s0
	s_cbranch_vccnz .LBB62_449
; %bb.434:
	v_cmp_gt_i16_e32 vcc_lo, 2, v2
	s_mov_b32 s0, -1
	s_cbranch_vccnz .LBB62_444
; %bb.435:
	v_cmp_gt_i16_e32 vcc_lo, 3, v2
	s_cbranch_vccnz .LBB62_441
; %bb.436:
	v_cmp_lt_i16_e32 vcc_lo, 3, v2
	s_cbranch_vccz .LBB62_438
; %bb.437:
	v_trunc_f64_e32 v[4:5], s[4:5]
	s_mov_b32 s0, 0
	s_delay_alu instid0(VALU_DEP_1) | instskip(NEXT) | instid1(VALU_DEP_1)
	v_ldexp_f64 v[6:7], v[4:5], 0xffffffe0
	v_floor_f64_e32 v[6:7], v[6:7]
	s_delay_alu instid0(VALU_DEP_1) | instskip(SKIP_1) | instid1(VALU_DEP_2)
	v_fma_f64 v[4:5], 0xc1f00000, v[6:7], v[4:5]
	v_cvt_i32_f64_e32 v6, v[6:7]
	v_cvt_u32_f64_e32 v5, v[4:5]
	global_store_b64 v[0:1], v[5:6], off
.LBB62_438:
	s_and_not1_b32 vcc_lo, exec_lo, s0
	s_cbranch_vccnz .LBB62_440
; %bb.439:
	v_cvt_i32_f64_e32 v4, s[4:5]
	global_store_b32 v[0:1], v4, off
.LBB62_440:
	s_mov_b32 s0, 0
.LBB62_441:
	s_delay_alu instid0(SALU_CYCLE_1)
	s_and_not1_b32 vcc_lo, exec_lo, s0
	s_cbranch_vccnz .LBB62_443
; %bb.442:
	v_cvt_i32_f64_e32 v4, s[4:5]
	global_store_b16 v[0:1], v4, off
.LBB62_443:
	s_mov_b32 s0, 0
.LBB62_444:
	s_delay_alu instid0(SALU_CYCLE_1)
	s_and_not1_b32 vcc_lo, exec_lo, s0
	s_cbranch_vccnz .LBB62_449
; %bb.445:
	v_cmp_lt_i16_e32 vcc_lo, 0, v2
	s_mov_b32 s0, -1
	s_cbranch_vccz .LBB62_447
; %bb.446:
	v_cvt_i32_f64_e32 v4, s[4:5]
	s_mov_b32 s0, 0
	global_store_b8 v[0:1], v4, off
.LBB62_447:
	s_and_not1_b32 vcc_lo, exec_lo, s0
	s_cbranch_vccnz .LBB62_449
; %bb.448:
	v_trunc_f64_e32 v[4:5], s[4:5]
	s_delay_alu instid0(VALU_DEP_1) | instskip(NEXT) | instid1(VALU_DEP_1)
	v_ldexp_f64 v[6:7], v[4:5], 0xffffffe0
	v_floor_f64_e32 v[6:7], v[6:7]
	s_delay_alu instid0(VALU_DEP_1) | instskip(NEXT) | instid1(VALU_DEP_1)
	v_fma_f64 v[4:5], 0xc1f00000, v[6:7], v[4:5]
	v_cvt_u32_f64_e32 v4, v[4:5]
	global_store_b8 v[0:1], v4, off
.LBB62_449:
	s_branch .LBB62_616
.LBB62_450:
	s_cbranch_execnz .LBB62_452
; %bb.451:
	s_or_b32 s10, s1, exec_lo
	s_cbranch_execz .LBB62_380
	s_branch .LBB62_381
.LBB62_452:
	s_trap 2
	s_sendmsg_rtn_b32 s0, sendmsg(MSG_RTN_GET_DOORBELL)
	s_mov_b32 ttmp2, m0
	s_waitcnt lgkmcnt(0)
	s_and_b32 s0, s0, 0x3ff
	s_delay_alu instid0(SALU_CYCLE_1) | instskip(NEXT) | instid1(SALU_CYCLE_1)
	s_bitset1_b32 s0, 10
	s_mov_b32 m0, s0
	s_sendmsg sendmsg(MSG_INTERRUPT)
	s_mov_b32 m0, ttmp2
.LBB62_453:                             ; =>This Inner Loop Header: Depth=1
	s_sethalt 5
	s_branch .LBB62_453
.LBB62_454:
	s_mov_b32 s14, -1
	s_mov_b32 s13, 0
                                        ; implicit-def: $sgpr15
.LBB62_455:
	v_mov_b32_e32 v4, s15
	s_and_not1_b32 vcc_lo, exec_lo, s14
                                        ; implicit-def: $sgpr14
	s_cbranch_vccnz .LBB62_457
; %bb.456:
	v_add_f32_e64 v4, 0x46000000, |s12|
	s_mov_b32 s14, 0
	s_delay_alu instid0(VALU_DEP_1) | instskip(NEXT) | instid1(VALU_DEP_1)
	v_and_b32_e32 v4, 0xff, v4
	v_cmp_ne_u32_e64 s13, 0, v4
.LBB62_457:
	v_mov_b32_e32 v5, s14
	s_delay_alu instid0(VALU_DEP_2)
	s_and_not1_b32 vcc_lo, exec_lo, s13
	s_cbranch_vccnz .LBB62_459
; %bb.458:
	s_lshr_b32 s12, s12, 24
	s_delay_alu instid0(SALU_CYCLE_1) | instskip(NEXT) | instid1(SALU_CYCLE_1)
	s_and_b32 s12, s12, 0x80
	v_or_b32_e32 v5, s12, v4
.LBB62_459:
	global_store_b8 v[0:1], v5, off
.LBB62_460:
	s_mov_b32 s12, -1
.LBB62_461:
	s_mov_b32 s13, 0
.LBB62_462:
	s_delay_alu instid0(SALU_CYCLE_1)
	s_and_b32 vcc_lo, exec_lo, s13
	s_cbranch_vccz .LBB62_611
; %bb.463:
	v_cmp_lt_i16_e32 vcc_lo, 22, v2
	s_mov_b32 s11, -1
	s_cbranch_vccz .LBB62_604
; %bb.464:
	v_cmp_gt_i16_e32 vcc_lo, 24, v2
	s_cbranch_vccnz .LBB62_591
; %bb.465:
	v_cmp_lt_i16_e32 vcc_lo, 24, v2
	s_cbranch_vccz .LBB62_578
; %bb.466:
	v_cvt_f32_f64_e32 v4, s[4:5]
	v_mov_b32_e32 v5, 0x80
	s_delay_alu instid0(VALU_DEP_2) | instskip(NEXT) | instid1(VALU_DEP_1)
	v_readfirstlane_b32 s11, v4
	s_and_b32 s12, s11, 0x7fffffff
	s_delay_alu instid0(SALU_CYCLE_1)
	s_cmp_gt_u32 s12, 0x477fffff
	s_cbranch_scc1 .LBB62_577
; %bb.467:
	s_cmp_gt_u32 s12, 0x37ffffff
	s_cbranch_scc0 .LBB62_572
; %bb.468:
	s_bfe_u32 s12, s11, 0x10015
	s_mov_b32 s13, 0
	s_add_i32 s12, s11, s12
	s_delay_alu instid0(SALU_CYCLE_1) | instskip(NEXT) | instid1(SALU_CYCLE_1)
	s_add_i32 s12, s12, 0x88fffff
	s_lshr_b32 s14, s12, 21
	s_mov_b32 s12, -1
	s_branch .LBB62_573
.LBB62_469:
	s_mov_b32 s38, -1
	s_mov_b32 s37, 0
	s_mov_b32 s1, s34
.LBB62_470:
	s_and_b32 vcc_lo, exec_lo, s38
	s_cbranch_vccz .LBB62_473
; %bb.471:
	v_cmp_eq_u16_e32 vcc_lo, 44, v20
	s_mov_b32 s1, -1
	s_cbranch_vccz .LBB62_473
; %bb.472:
	v_cndmask_b32_e64 v21, v18, 0xff, s0
	s_mov_b32 s37, -1
	s_mov_b32 s1, 0
	global_store_b8 v[6:7], v21, off
.LBB62_473:
	s_mov_b32 s38, 0
.LBB62_474:
	s_delay_alu instid0(SALU_CYCLE_1)
	s_and_b32 vcc_lo, exec_lo, s38
	s_cbranch_vccz .LBB62_477
; %bb.475:
	v_cmp_eq_u16_e32 vcc_lo, 29, v20
	s_mov_b32 s1, -1
	s_cbranch_vccz .LBB62_477
; %bb.476:
	s_mov_b32 s37, -1
	s_mov_b32 s1, 0
	global_store_b64 v[6:7], v[2:3], off
.LBB62_477:
	s_mov_b32 s38, 0
.LBB62_478:
	s_delay_alu instid0(SALU_CYCLE_1)
	s_and_b32 vcc_lo, exec_lo, s38
	s_cbranch_vccz .LBB62_491
; %bb.479:
	v_cmp_gt_i16_e32 vcc_lo, 27, v20
	s_mov_b32 s37, -1
	s_cbranch_vccnz .LBB62_485
; %bb.480:
	v_cmp_lt_i16_e32 vcc_lo, 27, v20
	s_cbranch_vccz .LBB62_482
; %bb.481:
	s_mov_b32 s37, 0
	global_store_b32 v[6:7], v16, off
.LBB62_482:
	s_and_not1_b32 vcc_lo, exec_lo, s37
	s_cbranch_vccnz .LBB62_484
; %bb.483:
	global_store_b16 v[6:7], v16, off
.LBB62_484:
	s_mov_b32 s37, 0
.LBB62_485:
	s_delay_alu instid0(SALU_CYCLE_1)
	s_and_not1_b32 vcc_lo, exec_lo, s37
	s_cbranch_vccnz .LBB62_490
; %bb.486:
	v_mov_b32_e32 v21, 0x80
	s_and_not1_b32 vcc_lo, exec_lo, s28
	s_cbranch_vccnz .LBB62_489
; %bb.487:
	v_mov_b32_e32 v21, 0
	s_or_b32 s37, s26, s29
	s_delay_alu instid0(SALU_CYCLE_1)
	s_and_not1_b32 vcc_lo, exec_lo, s37
	s_cbranch_vccnz .LBB62_489
; %bb.488:
	v_cndmask_b32_e64 v21, v15, s27, s26
	s_delay_alu instid0(VALU_DEP_1)
	v_or_b32_e32 v21, v21, v12
.LBB62_489:
	global_store_b8 v[6:7], v21, off
.LBB62_490:
	s_mov_b32 s37, -1
.LBB62_491:
	s_mov_b32 s38, 0
.LBB62_492:
	s_delay_alu instid0(SALU_CYCLE_1)
	s_and_b32 vcc_lo, exec_lo, s38
	s_cbranch_vccz .LBB62_514
; %bb.493:
	v_cmp_lt_i16_e32 vcc_lo, 22, v20
	s_mov_b32 s38, -1
	s_cbranch_vccz .LBB62_506
; %bb.494:
	v_cmp_gt_i16_e32 vcc_lo, 24, v20
	s_mov_b32 s37, -1
	s_cbranch_vccnz .LBB62_503
; %bb.495:
	v_cmp_lt_i16_e32 vcc_lo, 24, v20
	s_cbranch_vccz .LBB62_500
; %bb.496:
	v_mov_b32_e32 v21, 0x80
	s_and_not1_b32 vcc_lo, exec_lo, s24
	s_cbranch_vccnz .LBB62_499
; %bb.497:
	v_mov_b32_e32 v21, 0
	s_or_b32 s37, s20, s25
	s_delay_alu instid0(SALU_CYCLE_1)
	s_and_not1_b32 vcc_lo, exec_lo, s37
	s_cbranch_vccnz .LBB62_499
; %bb.498:
	v_cndmask_b32_e64 v21, v14, s22, s20
	s_delay_alu instid0(VALU_DEP_1)
	v_or_b32_e32 v21, v21, v12
.LBB62_499:
	s_mov_b32 s37, 0
	global_store_b8 v[6:7], v21, off
.LBB62_500:
	s_and_b32 vcc_lo, exec_lo, s37
	s_cbranch_vccz .LBB62_502
; %bb.501:
	s_and_b32 s37, s19, exec_lo
	s_cselect_b32 s37, s14, s21
	s_and_b32 s38, s17, exec_lo
	s_cselect_b32 s37, s23, s37
	s_delay_alu instid0(SALU_CYCLE_1)
	v_or_b32_e32 v21, s37, v12
	global_store_b8 v[6:7], v21, off
.LBB62_502:
	s_mov_b32 s37, 0
.LBB62_503:
	s_delay_alu instid0(SALU_CYCLE_1)
	s_and_not1_b32 vcc_lo, exec_lo, s37
	s_cbranch_vccnz .LBB62_505
; %bb.504:
	s_and_b32 s37, s15, exec_lo
	s_cselect_b32 s37, s12, s16
	s_and_b32 s38, s13, exec_lo
	s_cselect_b32 s37, s18, s37
	s_delay_alu instid0(SALU_CYCLE_1)
	v_or_b32_e32 v21, s37, v12
	global_store_b8 v[6:7], v21, off
.LBB62_505:
	s_mov_b32 s38, 0
	s_mov_b32 s37, -1
.LBB62_506:
	s_and_not1_b32 vcc_lo, exec_lo, s38
	s_cbranch_vccnz .LBB62_514
; %bb.507:
	v_cmp_lt_i16_e32 vcc_lo, 14, v20
	s_mov_b32 s38, -1
	s_cbranch_vccz .LBB62_511
; %bb.508:
	v_cmp_eq_u16_e32 vcc_lo, 15, v20
	s_mov_b32 s1, -1
	s_cbranch_vccz .LBB62_510
; %bb.509:
	s_mov_b32 s37, -1
	s_mov_b32 s1, 0
	global_store_b16 v[6:7], v13, off
.LBB62_510:
	s_mov_b32 s38, 0
.LBB62_511:
	s_delay_alu instid0(SALU_CYCLE_1)
	s_and_b32 vcc_lo, exec_lo, s38
	s_cbranch_vccz .LBB62_514
; %bb.512:
	v_cmp_eq_u16_e32 vcc_lo, 11, v20
	s_mov_b32 s1, -1
	s_cbranch_vccz .LBB62_514
; %bb.513:
	s_mov_b32 s37, -1
	s_mov_b32 s1, 0
	global_store_b8 v[6:7], v11, off
.LBB62_514:
	s_mov_b32 s38, 0
.LBB62_515:
	s_delay_alu instid0(SALU_CYCLE_1)
	s_and_b32 vcc_lo, exec_lo, s38
	s_cbranch_vccz .LBB62_554
; %bb.516:
	v_cmp_gt_i16_e32 vcc_lo, 5, v20
	s_mov_b32 s37, -1
	s_cbranch_vccnz .LBB62_537
; %bb.517:
	v_cmp_gt_i16_e32 vcc_lo, 8, v20
	s_cbranch_vccnz .LBB62_527
; %bb.518:
	v_cmp_gt_i16_e32 vcc_lo, 9, v20
	s_cbranch_vccnz .LBB62_524
; %bb.519:
	v_cmp_lt_i16_e32 vcc_lo, 9, v20
	s_cbranch_vccz .LBB62_521
; %bb.520:
	v_dual_mov_b32 v21, s4 :: v_dual_mov_b32 v22, s5
	v_dual_mov_b32 v23, s6 :: v_dual_mov_b32 v24, s7
	s_mov_b32 s37, 0
	global_store_b128 v[6:7], v[21:24], off
.LBB62_521:
	s_and_not1_b32 vcc_lo, exec_lo, s37
	s_cbranch_vccnz .LBB62_523
; %bb.522:
	global_store_b64 v[6:7], v[0:1], off
.LBB62_523:
	s_mov_b32 s37, 0
.LBB62_524:
	s_delay_alu instid0(SALU_CYCLE_1)
	s_and_not1_b32 vcc_lo, exec_lo, s37
	s_cbranch_vccnz .LBB62_526
; %bb.525:
	global_store_b32 v[6:7], v10, off
.LBB62_526:
	s_mov_b32 s37, 0
.LBB62_527:
	s_delay_alu instid0(SALU_CYCLE_1)
	s_and_not1_b32 vcc_lo, exec_lo, s37
	s_cbranch_vccnz .LBB62_536
; %bb.528:
	v_cmp_gt_i16_e32 vcc_lo, 6, v20
	s_mov_b32 s37, -1
	s_cbranch_vccnz .LBB62_534
; %bb.529:
	v_cmp_lt_i16_e32 vcc_lo, 6, v20
	s_cbranch_vccz .LBB62_531
; %bb.530:
	v_dual_mov_b32 v22, s5 :: v_dual_mov_b32 v21, s4
	s_mov_b32 s37, 0
	global_store_b64 v[6:7], v[21:22], off
.LBB62_531:
	s_and_not1_b32 vcc_lo, exec_lo, s37
	s_cbranch_vccnz .LBB62_533
; %bb.532:
	global_store_b32 v[6:7], v0, off
.LBB62_533:
	s_mov_b32 s37, 0
.LBB62_534:
	s_delay_alu instid0(SALU_CYCLE_1)
	s_and_not1_b32 vcc_lo, exec_lo, s37
	s_cbranch_vccnz .LBB62_536
; %bb.535:
	global_store_b16 v[6:7], v9, off
.LBB62_536:
	s_mov_b32 s37, 0
.LBB62_537:
	s_delay_alu instid0(SALU_CYCLE_1)
	s_and_not1_b32 vcc_lo, exec_lo, s37
	s_cbranch_vccnz .LBB62_553
; %bb.538:
	v_cmp_gt_i16_e32 vcc_lo, 2, v20
	s_mov_b32 s37, -1
	s_cbranch_vccnz .LBB62_548
; %bb.539:
	v_cmp_gt_i16_e32 vcc_lo, 3, v20
	s_cbranch_vccnz .LBB62_545
; %bb.540:
	v_cmp_lt_i16_e32 vcc_lo, 3, v20
	s_cbranch_vccz .LBB62_542
; %bb.541:
	s_mov_b32 s37, 0
	global_store_b64 v[6:7], v[4:5], off
.LBB62_542:
	s_and_not1_b32 vcc_lo, exec_lo, s37
	s_cbranch_vccnz .LBB62_544
; %bb.543:
	global_store_b32 v[6:7], v8, off
.LBB62_544:
	s_mov_b32 s37, 0
.LBB62_545:
	s_delay_alu instid0(SALU_CYCLE_1)
	s_and_not1_b32 vcc_lo, exec_lo, s37
	s_cbranch_vccnz .LBB62_547
; %bb.546:
	global_store_b16 v[6:7], v8, off
.LBB62_547:
	s_mov_b32 s37, 0
.LBB62_548:
	s_delay_alu instid0(SALU_CYCLE_1)
	s_and_not1_b32 vcc_lo, exec_lo, s37
	s_cbranch_vccnz .LBB62_553
; %bb.549:
	v_cmp_lt_i16_e32 vcc_lo, 0, v20
	s_mov_b32 s37, -1
	s_cbranch_vccz .LBB62_551
; %bb.550:
	s_mov_b32 s37, 0
	global_store_b8 v[6:7], v8, off
.LBB62_551:
	s_and_not1_b32 vcc_lo, exec_lo, s37
	s_cbranch_vccnz .LBB62_553
; %bb.552:
	global_store_b8 v[6:7], v2, off
.LBB62_553:
	s_mov_b32 s37, -1
.LBB62_554:
	s_delay_alu instid0(SALU_CYCLE_1)
	s_and_not1_b32 vcc_lo, exec_lo, s37
	s_cbranch_vccnz .LBB62_556
; %bb.555:
	v_add_nc_u32_e32 v17, 0x80, v17
	s_mov_b32 s38, -1
	s_branch .LBB62_557
.LBB62_556:
	s_mov_b32 s38, 0
                                        ; implicit-def: $vgpr17
.LBB62_557:
	s_and_not1_b32 s37, s34, exec_lo
	s_and_b32 s1, s1, exec_lo
	s_or_not1_b32 s39, s38, exec_lo
	s_or_b32 s37, s37, s1
.LBB62_558:
	s_or_b32 exec_lo, exec_lo, s36
	s_mov_b32 s1, 0
	s_mov_b32 s38, 0
                                        ; implicit-def: $vgpr20
                                        ; implicit-def: $vgpr6_vgpr7
	s_and_saveexec_b32 s36, s39
	s_cbranch_execz .LBB62_789
; %bb.559:
	v_cmp_gt_i32_e32 vcc_lo, s30, v17
	s_mov_b32 s39, s37
                                        ; implicit-def: $vgpr20
                                        ; implicit-def: $vgpr6_vgpr7
	s_and_saveexec_b32 s30, vcc_lo
	s_cbranch_execz .LBB62_788
; %bb.560:
	v_mul_lo_u32 v6, v17, s8
	v_and_b32_e64 v20, 0xff, s11
	s_delay_alu instid0(VALU_DEP_1) | instskip(NEXT) | instid1(VALU_DEP_3)
	v_cmp_gt_i16_e32 vcc_lo, 11, v20
	v_ashrrev_i32_e32 v7, 31, v6
	v_add_co_u32 v6, s1, s2, v6
	s_delay_alu instid0(VALU_DEP_1)
	v_add_co_ci_u32_e64 v7, s1, s3, v7, s1
	s_cbranch_vccnz .LBB62_571
; %bb.561:
	v_cmp_lt_i16_e32 vcc_lo, 25, v20
	s_mov_b32 s38, -1
	s_mov_b32 s1, s37
	s_cbranch_vccz .LBB62_765
; %bb.562:
	v_cmp_lt_i16_e32 vcc_lo, 28, v20
	s_mov_b32 s1, s37
	s_cbranch_vccz .LBB62_752
; %bb.563:
	v_cmp_lt_i16_e32 vcc_lo, 43, v20
	;; [unrolled: 4-line block ×3, first 2 shown]
	s_mov_b32 s1, s37
	s_cbranch_vccz .LBB62_568
; %bb.565:
	v_cmp_eq_u16_e32 vcc_lo, 46, v20
	s_mov_b32 s1, -1
	s_cbranch_vccz .LBB62_567
; %bb.566:
	s_mov_b32 s1, 0
	global_store_b32 v[6:7], v19, off
.LBB62_567:
	s_mov_b32 s38, 0
.LBB62_568:
	s_delay_alu instid0(SALU_CYCLE_1)
	s_and_b32 vcc_lo, exec_lo, s38
	s_cbranch_vccz .LBB62_747
; %bb.569:
	v_cmp_eq_u16_e32 vcc_lo, 44, v20
	s_mov_b32 s1, -1
	s_cbranch_vccz .LBB62_747
; %bb.570:
	v_cndmask_b32_e64 v17, v18, 0xff, s0
	s_mov_b32 s1, 0
	s_mov_b32 s38, 0
	global_store_b8 v[6:7], v17, off
	s_branch .LBB62_748
.LBB62_571:
	s_mov_b32 s12, 0
	s_mov_b32 s0, -1
	s_mov_b32 s1, s37
	s_branch .LBB62_787
.LBB62_572:
	s_mov_b32 s13, -1
	s_mov_b32 s12, 0
                                        ; implicit-def: $sgpr14
.LBB62_573:
	v_mov_b32_e32 v4, s14
	s_and_not1_b32 vcc_lo, exec_lo, s13
                                        ; implicit-def: $sgpr13
	s_cbranch_vccnz .LBB62_575
; %bb.574:
	v_add_f32_e64 v4, 0x42800000, |s11|
	s_mov_b32 s13, 0
	s_delay_alu instid0(VALU_DEP_1) | instskip(NEXT) | instid1(VALU_DEP_1)
	v_and_b32_e32 v4, 0xff, v4
	v_cmp_ne_u32_e64 s12, 0, v4
.LBB62_575:
	v_mov_b32_e32 v5, s13
	s_delay_alu instid0(VALU_DEP_2)
	s_and_not1_b32 vcc_lo, exec_lo, s12
	s_cbranch_vccnz .LBB62_577
; %bb.576:
	s_lshr_b32 s11, s11, 24
	s_delay_alu instid0(SALU_CYCLE_1) | instskip(NEXT) | instid1(SALU_CYCLE_1)
	s_and_b32 s11, s11, 0x80
	v_or_b32_e32 v5, s11, v4
.LBB62_577:
	s_mov_b32 s11, 0
	global_store_b8 v[0:1], v5, off
.LBB62_578:
	s_and_b32 vcc_lo, exec_lo, s11
	s_cbranch_vccz .LBB62_590
; %bb.579:
	v_cvt_f32_f64_e32 v4, s[4:5]
	s_delay_alu instid0(VALU_DEP_1) | instskip(NEXT) | instid1(VALU_DEP_1)
	v_readfirstlane_b32 s11, v4
	s_and_b32 s12, s11, 0x7fffffff
	s_delay_alu instid0(SALU_CYCLE_1)
	s_cmp_lt_u32 s12, 0x43f00000
	s_cbranch_scc0 .LBB62_582
; %bb.580:
	s_cmp_gt_u32 s12, 0x3c7fffff
	s_cbranch_scc0 .LBB62_583
; %bb.581:
	s_bfe_u32 s13, s11, 0x10014
	s_delay_alu instid0(SALU_CYCLE_1) | instskip(NEXT) | instid1(SALU_CYCLE_1)
	s_add_i32 s13, s11, s13
	s_add_i32 s13, s13, 0x407ffff
	s_delay_alu instid0(SALU_CYCLE_1)
	s_and_b32 s14, s13, 0xff00000
	s_lshr_b32 s13, s13, 20
	s_cmp_lg_u32 s14, 0x7f00000
	s_cselect_b32 s14, s13, 0x7e
	s_mov_b32 s13, 0
	s_branch .LBB62_584
.LBB62_582:
	s_mov_b32 s13, -1
                                        ; implicit-def: $vgpr5
	s_branch .LBB62_587
.LBB62_583:
	s_mov_b32 s13, -1
                                        ; implicit-def: $sgpr14
.LBB62_584:
	v_mov_b32_e32 v5, s14
	s_and_not1_b32 vcc_lo, exec_lo, s13
	s_cbranch_vccnz .LBB62_586
; %bb.585:
	v_add_f32_e64 v5, 0x46800000, |v4|
.LBB62_586:
	s_mov_b32 s13, 0
.LBB62_587:
	s_delay_alu instid0(SALU_CYCLE_1)
	s_and_not1_b32 vcc_lo, exec_lo, s13
	s_cbranch_vccnz .LBB62_589
; %bb.588:
	s_cmp_gt_u32 s12, 0x7f800000
	s_movk_i32 s12, 0x7f
	s_delay_alu instid0(SALU_CYCLE_1) | instskip(NEXT) | instid1(SALU_CYCLE_1)
	s_cselect_b32 s12, s12, 0x7e
	v_mov_b32_e32 v5, s12
.LBB62_589:
	s_lshr_b32 s11, s11, 24
	s_delay_alu instid0(SALU_CYCLE_1)
	s_and_b32 s11, s11, 0x80
	s_delay_alu instid0(VALU_DEP_1) | instid1(SALU_CYCLE_1)
	v_or_b32_e32 v4, s11, v5
	global_store_b8 v[0:1], v4, off
.LBB62_590:
	s_mov_b32 s11, 0
.LBB62_591:
	s_delay_alu instid0(SALU_CYCLE_1)
	s_and_not1_b32 vcc_lo, exec_lo, s11
	s_cbranch_vccnz .LBB62_603
; %bb.592:
	v_cvt_f32_f64_e32 v4, s[4:5]
	s_delay_alu instid0(VALU_DEP_1) | instskip(NEXT) | instid1(VALU_DEP_1)
	v_readfirstlane_b32 s11, v4
	s_and_b32 s12, s11, 0x7fffffff
	s_delay_alu instid0(SALU_CYCLE_1)
	s_cmp_lt_u32 s12, 0x47800000
	s_cbranch_scc0 .LBB62_595
; %bb.593:
	s_cmp_gt_u32 s12, 0x387fffff
	s_cbranch_scc0 .LBB62_596
; %bb.594:
	s_bfe_u32 s13, s11, 0x10015
	s_delay_alu instid0(SALU_CYCLE_1) | instskip(NEXT) | instid1(SALU_CYCLE_1)
	s_add_i32 s13, s11, s13
	s_add_i32 s13, s13, 0x80fffff
	s_delay_alu instid0(SALU_CYCLE_1)
	s_lshr_b32 s14, s13, 21
	s_mov_b32 s13, 0
	s_branch .LBB62_597
.LBB62_595:
	s_mov_b32 s13, -1
                                        ; implicit-def: $vgpr5
	s_branch .LBB62_600
.LBB62_596:
	s_mov_b32 s13, -1
                                        ; implicit-def: $sgpr14
.LBB62_597:
	v_mov_b32_e32 v5, s14
	s_and_not1_b32 vcc_lo, exec_lo, s13
	s_cbranch_vccnz .LBB62_599
; %bb.598:
	v_add_f32_e64 v5, 0x43000000, |v4|
.LBB62_599:
	s_mov_b32 s13, 0
.LBB62_600:
	s_delay_alu instid0(SALU_CYCLE_1)
	s_and_not1_b32 vcc_lo, exec_lo, s13
	s_cbranch_vccnz .LBB62_602
; %bb.601:
	s_cmp_gt_u32 s12, 0x7f800000
	s_movk_i32 s12, 0x7f
	s_delay_alu instid0(SALU_CYCLE_1) | instskip(NEXT) | instid1(SALU_CYCLE_1)
	s_cselect_b32 s12, s12, 0x7c
	v_mov_b32_e32 v5, s12
.LBB62_602:
	s_lshr_b32 s11, s11, 24
	s_delay_alu instid0(SALU_CYCLE_1)
	s_and_b32 s11, s11, 0x80
	s_delay_alu instid0(VALU_DEP_1) | instid1(SALU_CYCLE_1)
	v_or_b32_e32 v4, s11, v5
	global_store_b8 v[0:1], v4, off
.LBB62_603:
	s_mov_b32 s11, 0
	s_mov_b32 s12, -1
.LBB62_604:
	s_and_not1_b32 vcc_lo, exec_lo, s11
	s_mov_b32 s11, 0
	s_cbranch_vccnz .LBB62_611
; %bb.605:
	v_cmp_lt_i16_e32 vcc_lo, 14, v2
	s_mov_b32 s11, -1
	s_cbranch_vccz .LBB62_609
; %bb.606:
	v_cmp_eq_u16_e32 vcc_lo, 15, v2
	s_mov_b32 s0, -1
	s_cbranch_vccz .LBB62_608
; %bb.607:
	v_cvt_f32_f64_e32 v4, s[4:5]
	s_mov_b32 s0, 0
	s_mov_b32 s12, -1
	s_delay_alu instid0(VALU_DEP_1) | instskip(SKIP_1) | instid1(VALU_DEP_2)
	v_bfe_u32 v5, v4, 16, 1
	v_cmp_o_f32_e32 vcc_lo, v4, v4
	v_add_nc_u32_e32 v5, v4, v5
	s_delay_alu instid0(VALU_DEP_1) | instskip(NEXT) | instid1(VALU_DEP_1)
	v_add_nc_u32_e32 v5, 0x7fff, v5
	v_lshrrev_b32_e32 v5, 16, v5
	s_delay_alu instid0(VALU_DEP_1)
	v_cndmask_b32_e32 v4, 0x7fc0, v5, vcc_lo
	global_store_b16 v[0:1], v4, off
.LBB62_608:
	s_mov_b32 s11, 0
.LBB62_609:
	s_delay_alu instid0(SALU_CYCLE_1)
	s_and_b32 vcc_lo, exec_lo, s11
	s_mov_b32 s11, 0
	s_cbranch_vccz .LBB62_611
; %bb.610:
	v_cmp_ne_u16_e64 s0, 11, v2
	s_mov_b32 s11, -1
.LBB62_611:
	s_delay_alu instid0(VALU_DEP_1)
	s_and_b32 vcc_lo, exec_lo, s0
	s_cbranch_vccnz .LBB62_728
; %bb.612:
	s_and_not1_b32 vcc_lo, exec_lo, s11
	s_cbranch_vccnz .LBB62_614
.LBB62_613:
	v_cmp_neq_f64_e64 s0, s[4:5], 0
	v_cmp_neq_f64_e64 s11, s[6:7], 0
	s_mov_b32 s12, -1
	s_delay_alu instid0(VALU_DEP_1) | instskip(NEXT) | instid1(SALU_CYCLE_1)
	s_or_b32 s0, s0, s11
	v_cndmask_b32_e64 v4, 0, 1, s0
	global_store_b8 v[0:1], v4, off
.LBB62_614:
.LBB62_615:
	s_and_not1_b32 vcc_lo, exec_lo, s12
	s_cbranch_vccnz .LBB62_683
.LBB62_616:
	v_add_nc_u32_e32 v3, s8, v3
	v_cmp_gt_i16_e32 vcc_lo, 11, v2
	s_delay_alu instid0(VALU_DEP_2) | instskip(SKIP_1) | instid1(VALU_DEP_1)
	v_ashrrev_i32_e32 v1, 31, v3
	v_add_co_u32 v0, s0, s2, v3
	v_add_co_ci_u32_e64 v1, s0, s3, v1, s0
	s_cbranch_vccnz .LBB62_644
; %bb.617:
	v_cmp_lt_i16_e32 vcc_lo, 25, v2
	s_mov_b32 s13, -1
	s_mov_b32 s11, 0
	s_mov_b32 s12, 0
	;; [unrolled: 1-line block ×3, first 2 shown]
	s_cbranch_vccz .LBB62_740
; %bb.618:
	v_cmp_lt_i16_e32 vcc_lo, 28, v2
	s_cbranch_vccz .LBB62_633
; %bb.619:
	v_cmp_lt_i16_e32 vcc_lo, 43, v2
	;; [unrolled: 3-line block ×3, first 2 shown]
	s_cbranch_vccz .LBB62_623
; %bb.621:
	v_cmp_eq_u16_e32 vcc_lo, 46, v2
	s_mov_b32 s0, -1
	s_mov_b32 s13, 0
	s_cbranch_vccz .LBB62_623
; %bb.622:
	v_cvt_f32_f64_e32 v5, s[4:5]
	v_cvt_f32_f64_e32 v4, s[6:7]
	s_mov_b32 s0, 0
	s_mov_b32 s12, -1
	s_delay_alu instid0(VALU_DEP_2) | instskip(NEXT) | instid1(VALU_DEP_2)
	v_bfe_u32 v7, v5, 16, 1
	v_cmp_o_f32_e32 vcc_lo, v4, v4
	v_bfe_u32 v6, v4, 16, 1
	s_delay_alu instid0(VALU_DEP_3) | instskip(NEXT) | instid1(VALU_DEP_1)
	v_add_nc_u32_e32 v7, v5, v7
	v_add_nc_u32_e32 v7, 0x7fff, v7
	s_delay_alu instid0(VALU_DEP_1) | instskip(NEXT) | instid1(VALU_DEP_4)
	v_lshrrev_b32_e32 v7, 16, v7
	v_add_nc_u32_e32 v6, v4, v6
	s_delay_alu instid0(VALU_DEP_1) | instskip(NEXT) | instid1(VALU_DEP_1)
	v_add_nc_u32_e32 v6, 0x7fff, v6
	v_and_b32_e32 v6, 0xffff0000, v6
	s_delay_alu instid0(VALU_DEP_1) | instskip(SKIP_2) | instid1(VALU_DEP_1)
	v_cndmask_b32_e32 v4, 0x7fc00000, v6, vcc_lo
	v_cmp_o_f32_e32 vcc_lo, v5, v5
	v_cndmask_b32_e32 v5, 0x7fc0, v7, vcc_lo
	v_or_b32_e32 v4, v4, v5
	global_store_b32 v[0:1], v4, off
.LBB62_623:
	s_and_b32 vcc_lo, exec_lo, s13
	s_cbranch_vccz .LBB62_628
; %bb.624:
	v_cmp_eq_u16_e32 vcc_lo, 44, v2
	s_mov_b32 s0, -1
	s_cbranch_vccz .LBB62_628
; %bb.625:
	v_cvt_f32_f64_e32 v4, s[4:5]
	v_mov_b32_e32 v5, 0xff
	s_delay_alu instid0(VALU_DEP_2) | instskip(NEXT) | instid1(VALU_DEP_1)
	v_readfirstlane_b32 s0, v4
	s_bfe_u32 s12, s0, 0x80017
	s_delay_alu instid0(SALU_CYCLE_1)
	s_cmpk_eq_i32 s12, 0xff
	s_cbranch_scc1 .LBB62_627
; %bb.626:
	s_bitcmp1_b32 s0, 22
	v_lshrrev_b32_e32 v4, 23, v4
	s_cselect_b32 s13, -1, 0
	s_and_b32 s0, s0, 0x3fffff
	s_delay_alu instid0(SALU_CYCLE_1) | instskip(NEXT) | instid1(SALU_CYCLE_1)
	s_or_b32 s0, s12, s0
	s_cmp_lg_u32 s0, 0
	s_cselect_b32 s0, -1, 0
	s_delay_alu instid0(SALU_CYCLE_1) | instskip(NEXT) | instid1(SALU_CYCLE_1)
	s_and_b32 s0, s13, s0
	v_cndmask_b32_e64 v5, 0, 1, s0
	s_delay_alu instid0(VALU_DEP_1)
	v_add_nc_u32_e32 v5, v4, v5
.LBB62_627:
	s_mov_b32 s0, 0
	s_mov_b32 s12, -1
	global_store_b8 v[0:1], v5, off
.LBB62_628:
	s_mov_b32 s13, 0
.LBB62_629:
	s_delay_alu instid0(SALU_CYCLE_1)
	s_and_b32 vcc_lo, exec_lo, s13
	s_cbranch_vccz .LBB62_632
; %bb.630:
	v_cmp_eq_u16_e32 vcc_lo, 29, v2
	s_mov_b32 s0, -1
	s_cbranch_vccz .LBB62_632
; %bb.631:
	v_trunc_f64_e32 v[4:5], s[4:5]
	s_mov_b32 s0, 0
	s_mov_b32 s12, -1
	s_delay_alu instid0(VALU_DEP_1) | instskip(NEXT) | instid1(VALU_DEP_1)
	v_ldexp_f64 v[6:7], v[4:5], 0xffffffe0
	v_floor_f64_e32 v[6:7], v[6:7]
	s_delay_alu instid0(VALU_DEP_1) | instskip(SKIP_1) | instid1(VALU_DEP_2)
	v_fma_f64 v[4:5], 0xc1f00000, v[6:7], v[4:5]
	v_cvt_u32_f64_e32 v6, v[6:7]
	v_cvt_u32_f64_e32 v5, v[4:5]
	global_store_b64 v[0:1], v[5:6], off
.LBB62_632:
	s_mov_b32 s13, 0
.LBB62_633:
	s_delay_alu instid0(SALU_CYCLE_1)
	s_and_b32 vcc_lo, exec_lo, s13
	s_cbranch_vccz .LBB62_739
; %bb.634:
	v_cmp_gt_i16_e32 vcc_lo, 27, v2
	s_mov_b32 s12, -1
	s_cbranch_vccnz .LBB62_640
; %bb.635:
	v_cmp_lt_i16_e32 vcc_lo, 27, v2
	s_cbranch_vccz .LBB62_637
; %bb.636:
	v_cvt_u32_f64_e32 v4, s[4:5]
	s_mov_b32 s12, 0
	global_store_b32 v[0:1], v4, off
.LBB62_637:
	s_and_not1_b32 vcc_lo, exec_lo, s12
	s_cbranch_vccnz .LBB62_639
; %bb.638:
	v_cvt_u32_f64_e32 v4, s[4:5]
	global_store_b16 v[0:1], v4, off
.LBB62_639:
	s_mov_b32 s12, 0
.LBB62_640:
	s_delay_alu instid0(SALU_CYCLE_1)
	s_and_not1_b32 vcc_lo, exec_lo, s12
	s_cbranch_vccnz .LBB62_738
; %bb.641:
	v_cvt_f32_f64_e32 v4, s[4:5]
	v_mov_b32_e32 v5, 0x80
	s_delay_alu instid0(VALU_DEP_2) | instskip(NEXT) | instid1(VALU_DEP_1)
	v_readfirstlane_b32 s12, v4
	s_and_b32 s13, s12, 0x7fffffff
	s_delay_alu instid0(SALU_CYCLE_1)
	s_cmp_gt_u32 s13, 0x437fffff
	s_cbranch_scc1 .LBB62_737
; %bb.642:
	s_cmp_gt_u32 s13, 0x3bffffff
	s_cbranch_scc0 .LBB62_732
; %bb.643:
	s_bfe_u32 s13, s12, 0x10014
	s_mov_b32 s14, 0
	s_add_i32 s13, s12, s13
	s_delay_alu instid0(SALU_CYCLE_1) | instskip(NEXT) | instid1(SALU_CYCLE_1)
	s_add_i32 s13, s13, 0x487ffff
	s_lshr_b32 s15, s13, 20
	s_mov_b32 s13, -1
	s_branch .LBB62_733
.LBB62_644:
	s_mov_b32 s12, 0
	s_cbranch_execz .LBB62_838
; %bb.645:
	v_cmp_gt_i16_e32 vcc_lo, 5, v2
	s_mov_b32 s0, -1
	s_cbranch_vccnz .LBB62_666
; %bb.646:
	v_cmp_gt_i16_e32 vcc_lo, 8, v2
	s_cbranch_vccnz .LBB62_656
; %bb.647:
	v_cmp_gt_i16_e32 vcc_lo, 9, v2
	s_cbranch_vccnz .LBB62_653
; %bb.648:
	v_cmp_lt_i16_e32 vcc_lo, 9, v2
	s_cbranch_vccz .LBB62_650
; %bb.649:
	v_dual_mov_b32 v4, s4 :: v_dual_mov_b32 v5, s5
	v_dual_mov_b32 v6, s6 :: v_dual_mov_b32 v7, s7
	s_mov_b32 s0, 0
	global_store_b128 v[0:1], v[4:7], off
.LBB62_650:
	s_and_not1_b32 vcc_lo, exec_lo, s0
	s_cbranch_vccnz .LBB62_652
; %bb.651:
	v_cvt_f32_f64_e32 v4, s[4:5]
	v_cvt_f32_f64_e32 v5, s[6:7]
	global_store_b64 v[0:1], v[4:5], off
.LBB62_652:
	s_mov_b32 s0, 0
.LBB62_653:
	s_delay_alu instid0(SALU_CYCLE_1)
	s_and_not1_b32 vcc_lo, exec_lo, s0
	s_cbranch_vccnz .LBB62_655
; %bb.654:
	v_cvt_f32_f64_e32 v4, s[6:7]
	v_cvt_f32_f64_e32 v5, s[4:5]
	s_delay_alu instid0(VALU_DEP_2) | instskip(NEXT) | instid1(VALU_DEP_2)
	v_cvt_f16_f32_e32 v4, v4
	v_cvt_f16_f32_e32 v5, v5
	s_delay_alu instid0(VALU_DEP_2) | instskip(NEXT) | instid1(VALU_DEP_2)
	v_lshlrev_b32_e32 v4, 16, v4
	v_and_b32_e32 v5, 0xffff, v5
	s_delay_alu instid0(VALU_DEP_1)
	v_or_b32_e32 v4, v4, v5
	global_store_b32 v[0:1], v4, off
.LBB62_655:
	s_mov_b32 s0, 0
.LBB62_656:
	s_delay_alu instid0(SALU_CYCLE_1)
	s_and_not1_b32 vcc_lo, exec_lo, s0
	s_cbranch_vccnz .LBB62_665
; %bb.657:
	v_cmp_gt_i16_e32 vcc_lo, 6, v2
	s_mov_b32 s0, -1
	s_cbranch_vccnz .LBB62_663
; %bb.658:
	v_cmp_lt_i16_e32 vcc_lo, 6, v2
	s_cbranch_vccz .LBB62_660
; %bb.659:
	v_dual_mov_b32 v4, s4 :: v_dual_mov_b32 v5, s5
	s_mov_b32 s0, 0
	global_store_b64 v[0:1], v[4:5], off
.LBB62_660:
	s_and_not1_b32 vcc_lo, exec_lo, s0
	s_cbranch_vccnz .LBB62_662
; %bb.661:
	v_cvt_f32_f64_e32 v4, s[4:5]
	global_store_b32 v[0:1], v4, off
.LBB62_662:
	s_mov_b32 s0, 0
.LBB62_663:
	s_delay_alu instid0(SALU_CYCLE_1)
	s_and_not1_b32 vcc_lo, exec_lo, s0
	s_cbranch_vccnz .LBB62_665
; %bb.664:
	v_cvt_f32_f64_e32 v4, s[4:5]
	s_delay_alu instid0(VALU_DEP_1)
	v_cvt_f16_f32_e32 v4, v4
	global_store_b16 v[0:1], v4, off
.LBB62_665:
	s_mov_b32 s0, 0
.LBB62_666:
	s_delay_alu instid0(SALU_CYCLE_1)
	s_and_not1_b32 vcc_lo, exec_lo, s0
	s_cbranch_vccnz .LBB62_682
; %bb.667:
	v_cmp_gt_i16_e32 vcc_lo, 2, v2
	s_mov_b32 s0, -1
	s_cbranch_vccnz .LBB62_677
; %bb.668:
	v_cmp_gt_i16_e32 vcc_lo, 3, v2
	s_cbranch_vccnz .LBB62_674
; %bb.669:
	v_cmp_lt_i16_e32 vcc_lo, 3, v2
	s_cbranch_vccz .LBB62_671
; %bb.670:
	v_trunc_f64_e32 v[4:5], s[4:5]
	s_mov_b32 s0, 0
	s_delay_alu instid0(VALU_DEP_1) | instskip(NEXT) | instid1(VALU_DEP_1)
	v_ldexp_f64 v[6:7], v[4:5], 0xffffffe0
	v_floor_f64_e32 v[6:7], v[6:7]
	s_delay_alu instid0(VALU_DEP_1) | instskip(SKIP_1) | instid1(VALU_DEP_2)
	v_fma_f64 v[4:5], 0xc1f00000, v[6:7], v[4:5]
	v_cvt_i32_f64_e32 v6, v[6:7]
	v_cvt_u32_f64_e32 v5, v[4:5]
	global_store_b64 v[0:1], v[5:6], off
.LBB62_671:
	s_and_not1_b32 vcc_lo, exec_lo, s0
	s_cbranch_vccnz .LBB62_673
; %bb.672:
	v_cvt_i32_f64_e32 v4, s[4:5]
	global_store_b32 v[0:1], v4, off
.LBB62_673:
	s_mov_b32 s0, 0
.LBB62_674:
	s_delay_alu instid0(SALU_CYCLE_1)
	s_and_not1_b32 vcc_lo, exec_lo, s0
	s_cbranch_vccnz .LBB62_676
; %bb.675:
	v_cvt_i32_f64_e32 v4, s[4:5]
	global_store_b16 v[0:1], v4, off
.LBB62_676:
	s_mov_b32 s0, 0
.LBB62_677:
	s_delay_alu instid0(SALU_CYCLE_1)
	s_and_not1_b32 vcc_lo, exec_lo, s0
	s_cbranch_vccnz .LBB62_682
; %bb.678:
	v_cmp_lt_i16_e32 vcc_lo, 0, v2
	s_mov_b32 s0, -1
	s_cbranch_vccz .LBB62_680
; %bb.679:
	v_cvt_i32_f64_e32 v4, s[4:5]
	s_mov_b32 s0, 0
	global_store_b8 v[0:1], v4, off
.LBB62_680:
	s_and_not1_b32 vcc_lo, exec_lo, s0
	s_cbranch_vccnz .LBB62_682
; %bb.681:
	v_trunc_f64_e32 v[4:5], s[4:5]
	s_delay_alu instid0(VALU_DEP_1) | instskip(NEXT) | instid1(VALU_DEP_1)
	v_ldexp_f64 v[6:7], v[4:5], 0xffffffe0
	v_floor_f64_e32 v[6:7], v[6:7]
	s_delay_alu instid0(VALU_DEP_1) | instskip(NEXT) | instid1(VALU_DEP_1)
	v_fma_f64 v[4:5], 0xc1f00000, v[6:7], v[4:5]
	v_cvt_u32_f64_e32 v4, v[4:5]
	global_store_b8 v[0:1], v4, off
.LBB62_682:
	s_branch .LBB62_839
.LBB62_683:
	s_mov_b32 s0, 0
	s_mov_b32 s2, 0
                                        ; implicit-def: $vgpr2
                                        ; implicit-def: $vgpr0_vgpr1
.LBB62_684:
	s_and_not1_b32 s1, s1, exec_lo
	s_and_b32 s3, s10, exec_lo
	s_and_b32 s0, s0, exec_lo
	;; [unrolled: 1-line block ×3, first 2 shown]
	s_or_b32 s1, s1, s3
.LBB62_685:
	s_or_b32 exec_lo, exec_lo, s9
	s_and_saveexec_b32 s2, s1
	s_cbranch_execz .LBB62_688
; %bb.686:
	; divergent unreachable
	s_or_b32 exec_lo, exec_lo, s2
	s_and_saveexec_b32 s1, s10
	s_delay_alu instid0(SALU_CYCLE_1)
	s_xor_b32 s1, exec_lo, s1
	s_cbranch_execnz .LBB62_689
.LBB62_687:
	s_or_b32 exec_lo, exec_lo, s1
	s_and_saveexec_b32 s1, s0
	s_cbranch_execnz .LBB62_690
	s_branch .LBB62_727
.LBB62_688:
	s_or_b32 exec_lo, exec_lo, s2
	s_and_saveexec_b32 s1, s10
	s_delay_alu instid0(SALU_CYCLE_1)
	s_xor_b32 s1, exec_lo, s1
	s_cbranch_execz .LBB62_687
.LBB62_689:
	v_cmp_neq_f64_e64 s2, s[4:5], 0
	v_cmp_neq_f64_e64 s3, s[6:7], 0
	s_delay_alu instid0(VALU_DEP_1) | instskip(NEXT) | instid1(SALU_CYCLE_1)
	s_or_b32 s2, s2, s3
	v_cndmask_b32_e64 v3, 0, 1, s2
	global_store_b8 v[0:1], v3, off
	s_or_b32 exec_lo, exec_lo, s1
	s_and_saveexec_b32 s1, s0
	s_cbranch_execz .LBB62_727
.LBB62_690:
	v_cmp_gt_i16_e32 vcc_lo, 5, v2
	s_mov_b32 s0, -1
	s_cbranch_vccnz .LBB62_711
; %bb.691:
	v_cmp_gt_i16_e32 vcc_lo, 8, v2
	s_cbranch_vccnz .LBB62_701
; %bb.692:
	v_cmp_gt_i16_e32 vcc_lo, 9, v2
	s_cbranch_vccnz .LBB62_698
; %bb.693:
	v_cmp_lt_i16_e32 vcc_lo, 9, v2
	s_cbranch_vccz .LBB62_695
; %bb.694:
	v_dual_mov_b32 v3, s4 :: v_dual_mov_b32 v4, s5
	v_dual_mov_b32 v5, s6 :: v_dual_mov_b32 v6, s7
	s_mov_b32 s0, 0
	global_store_b128 v[0:1], v[3:6], off
.LBB62_695:
	s_and_not1_b32 vcc_lo, exec_lo, s0
	s_cbranch_vccnz .LBB62_697
; %bb.696:
	v_cvt_f32_f64_e32 v3, s[4:5]
	v_cvt_f32_f64_e32 v4, s[6:7]
	global_store_b64 v[0:1], v[3:4], off
.LBB62_697:
	s_mov_b32 s0, 0
.LBB62_698:
	s_delay_alu instid0(SALU_CYCLE_1)
	s_and_not1_b32 vcc_lo, exec_lo, s0
	s_cbranch_vccnz .LBB62_700
; %bb.699:
	v_cvt_f32_f64_e32 v3, s[6:7]
	v_cvt_f32_f64_e32 v4, s[4:5]
	s_delay_alu instid0(VALU_DEP_2) | instskip(NEXT) | instid1(VALU_DEP_2)
	v_cvt_f16_f32_e32 v3, v3
	v_cvt_f16_f32_e32 v4, v4
	s_delay_alu instid0(VALU_DEP_2) | instskip(NEXT) | instid1(VALU_DEP_2)
	v_lshlrev_b32_e32 v3, 16, v3
	v_and_b32_e32 v4, 0xffff, v4
	s_delay_alu instid0(VALU_DEP_1)
	v_or_b32_e32 v3, v3, v4
	global_store_b32 v[0:1], v3, off
.LBB62_700:
	s_mov_b32 s0, 0
.LBB62_701:
	s_delay_alu instid0(SALU_CYCLE_1)
	s_and_not1_b32 vcc_lo, exec_lo, s0
	s_cbranch_vccnz .LBB62_710
; %bb.702:
	v_cmp_gt_i16_e32 vcc_lo, 6, v2
	s_mov_b32 s0, -1
	s_cbranch_vccnz .LBB62_708
; %bb.703:
	v_cmp_lt_i16_e32 vcc_lo, 6, v2
	s_cbranch_vccz .LBB62_705
; %bb.704:
	v_dual_mov_b32 v3, s4 :: v_dual_mov_b32 v4, s5
	s_mov_b32 s0, 0
	global_store_b64 v[0:1], v[3:4], off
.LBB62_705:
	s_and_not1_b32 vcc_lo, exec_lo, s0
	s_cbranch_vccnz .LBB62_707
; %bb.706:
	v_cvt_f32_f64_e32 v3, s[4:5]
	global_store_b32 v[0:1], v3, off
.LBB62_707:
	s_mov_b32 s0, 0
.LBB62_708:
	s_delay_alu instid0(SALU_CYCLE_1)
	s_and_not1_b32 vcc_lo, exec_lo, s0
	s_cbranch_vccnz .LBB62_710
; %bb.709:
	v_cvt_f32_f64_e32 v3, s[4:5]
	s_delay_alu instid0(VALU_DEP_1)
	v_cvt_f16_f32_e32 v3, v3
	global_store_b16 v[0:1], v3, off
.LBB62_710:
	s_mov_b32 s0, 0
.LBB62_711:
	s_delay_alu instid0(SALU_CYCLE_1)
	s_and_not1_b32 vcc_lo, exec_lo, s0
	s_cbranch_vccnz .LBB62_727
; %bb.712:
	v_cmp_gt_i16_e32 vcc_lo, 2, v2
	s_mov_b32 s0, -1
	s_cbranch_vccnz .LBB62_722
; %bb.713:
	v_cmp_gt_i16_e32 vcc_lo, 3, v2
	s_cbranch_vccnz .LBB62_719
; %bb.714:
	v_cmp_lt_i16_e32 vcc_lo, 3, v2
	s_cbranch_vccz .LBB62_716
; %bb.715:
	v_trunc_f64_e32 v[3:4], s[4:5]
	s_mov_b32 s0, 0
	s_delay_alu instid0(VALU_DEP_1) | instskip(NEXT) | instid1(VALU_DEP_1)
	v_ldexp_f64 v[5:6], v[3:4], 0xffffffe0
	v_floor_f64_e32 v[5:6], v[5:6]
	s_delay_alu instid0(VALU_DEP_1) | instskip(SKIP_1) | instid1(VALU_DEP_2)
	v_fma_f64 v[3:4], 0xc1f00000, v[5:6], v[3:4]
	v_cvt_i32_f64_e32 v5, v[5:6]
	v_cvt_u32_f64_e32 v4, v[3:4]
	global_store_b64 v[0:1], v[4:5], off
.LBB62_716:
	s_and_not1_b32 vcc_lo, exec_lo, s0
	s_cbranch_vccnz .LBB62_718
; %bb.717:
	v_cvt_i32_f64_e32 v3, s[4:5]
	global_store_b32 v[0:1], v3, off
.LBB62_718:
	s_mov_b32 s0, 0
.LBB62_719:
	s_delay_alu instid0(SALU_CYCLE_1)
	s_and_not1_b32 vcc_lo, exec_lo, s0
	s_cbranch_vccnz .LBB62_721
; %bb.720:
	v_cvt_i32_f64_e32 v3, s[4:5]
	global_store_b16 v[0:1], v3, off
.LBB62_721:
	s_mov_b32 s0, 0
.LBB62_722:
	s_delay_alu instid0(SALU_CYCLE_1)
	s_and_not1_b32 vcc_lo, exec_lo, s0
	s_cbranch_vccnz .LBB62_727
; %bb.723:
	v_cmp_lt_i16_e32 vcc_lo, 0, v2
	s_mov_b32 s0, -1
	s_cbranch_vccz .LBB62_725
; %bb.724:
	v_cvt_i32_f64_e32 v2, s[4:5]
	s_mov_b32 s0, 0
	global_store_b8 v[0:1], v2, off
.LBB62_725:
	s_and_not1_b32 vcc_lo, exec_lo, s0
	s_cbranch_vccnz .LBB62_727
; %bb.726:
	v_trunc_f64_e32 v[2:3], s[4:5]
	s_delay_alu instid0(VALU_DEP_1) | instskip(NEXT) | instid1(VALU_DEP_1)
	v_ldexp_f64 v[4:5], v[2:3], 0xffffffe0
	v_floor_f64_e32 v[4:5], v[4:5]
	s_delay_alu instid0(VALU_DEP_1) | instskip(NEXT) | instid1(VALU_DEP_1)
	v_fma_f64 v[2:3], 0xc1f00000, v[4:5], v[2:3]
	v_cvt_u32_f64_e32 v2, v[2:3]
	global_store_b8 v[0:1], v2, off
	s_nop 0
	s_sendmsg sendmsg(MSG_DEALLOC_VGPRS)
	s_endpgm
.LBB62_727:
	s_nop 0
	s_sendmsg sendmsg(MSG_DEALLOC_VGPRS)
	s_endpgm
.LBB62_728:
	s_cbranch_execnz .LBB62_730
; %bb.729:
	s_or_b32 s10, s10, exec_lo
	s_cbranch_execz .LBB62_613
	s_branch .LBB62_614
.LBB62_730:
	s_trap 2
	s_sendmsg_rtn_b32 s0, sendmsg(MSG_RTN_GET_DOORBELL)
	s_mov_b32 ttmp2, m0
	s_waitcnt lgkmcnt(0)
	s_and_b32 s0, s0, 0x3ff
	s_delay_alu instid0(SALU_CYCLE_1) | instskip(NEXT) | instid1(SALU_CYCLE_1)
	s_bitset1_b32 s0, 10
	s_mov_b32 m0, s0
	s_sendmsg sendmsg(MSG_INTERRUPT)
	s_mov_b32 m0, ttmp2
.LBB62_731:                             ; =>This Inner Loop Header: Depth=1
	s_sethalt 5
	s_branch .LBB62_731
.LBB62_732:
	s_mov_b32 s14, -1
	s_mov_b32 s13, 0
                                        ; implicit-def: $sgpr15
.LBB62_733:
	v_mov_b32_e32 v4, s15
	s_and_not1_b32 vcc_lo, exec_lo, s14
                                        ; implicit-def: $sgpr14
	s_cbranch_vccnz .LBB62_735
; %bb.734:
	v_add_f32_e64 v4, 0x46000000, |s12|
	s_mov_b32 s14, 0
	s_delay_alu instid0(VALU_DEP_1) | instskip(NEXT) | instid1(VALU_DEP_1)
	v_and_b32_e32 v4, 0xff, v4
	v_cmp_ne_u32_e64 s13, 0, v4
.LBB62_735:
	v_mov_b32_e32 v5, s14
	s_delay_alu instid0(VALU_DEP_2)
	s_and_not1_b32 vcc_lo, exec_lo, s13
	s_cbranch_vccnz .LBB62_737
; %bb.736:
	s_lshr_b32 s12, s12, 24
	s_delay_alu instid0(SALU_CYCLE_1) | instskip(NEXT) | instid1(SALU_CYCLE_1)
	s_and_b32 s12, s12, 0x80
	v_or_b32_e32 v5, s12, v4
.LBB62_737:
	global_store_b8 v[0:1], v5, off
.LBB62_738:
	s_mov_b32 s12, -1
.LBB62_739:
	s_mov_b32 s13, 0
.LBB62_740:
	s_delay_alu instid0(SALU_CYCLE_1)
	s_and_b32 vcc_lo, exec_lo, s13
	s_cbranch_vccz .LBB62_834
; %bb.741:
	v_cmp_lt_i16_e32 vcc_lo, 22, v2
	s_mov_b32 s11, -1
	s_cbranch_vccz .LBB62_827
; %bb.742:
	v_cmp_gt_i16_e32 vcc_lo, 24, v2
	s_cbranch_vccnz .LBB62_814
; %bb.743:
	v_cmp_lt_i16_e32 vcc_lo, 24, v2
	s_cbranch_vccz .LBB62_801
; %bb.744:
	v_cvt_f32_f64_e32 v4, s[4:5]
	v_mov_b32_e32 v5, 0x80
	s_delay_alu instid0(VALU_DEP_2) | instskip(NEXT) | instid1(VALU_DEP_1)
	v_readfirstlane_b32 s11, v4
	s_and_b32 s12, s11, 0x7fffffff
	s_delay_alu instid0(SALU_CYCLE_1)
	s_cmp_gt_u32 s12, 0x477fffff
	s_cbranch_scc1 .LBB62_800
; %bb.745:
	s_cmp_gt_u32 s12, 0x37ffffff
	s_cbranch_scc0 .LBB62_795
; %bb.746:
	s_bfe_u32 s12, s11, 0x10015
	s_mov_b32 s13, 0
	s_add_i32 s12, s11, s12
	s_delay_alu instid0(SALU_CYCLE_1) | instskip(NEXT) | instid1(SALU_CYCLE_1)
	s_add_i32 s12, s12, 0x88fffff
	s_lshr_b32 s14, s12, 21
	s_mov_b32 s12, -1
	s_branch .LBB62_796
.LBB62_747:
	s_mov_b32 s38, 0
.LBB62_748:
	s_delay_alu instid0(SALU_CYCLE_1)
	s_and_b32 vcc_lo, exec_lo, s38
	s_cbranch_vccz .LBB62_751
; %bb.749:
	v_cmp_eq_u16_e32 vcc_lo, 29, v20
	s_mov_b32 s1, -1
	s_cbranch_vccz .LBB62_751
; %bb.750:
	s_mov_b32 s1, 0
	global_store_b64 v[6:7], v[2:3], off
.LBB62_751:
	s_mov_b32 s38, 0
.LBB62_752:
	s_delay_alu instid0(SALU_CYCLE_1)
	s_and_b32 vcc_lo, exec_lo, s38
	s_cbranch_vccz .LBB62_764
; %bb.753:
	v_cmp_gt_i16_e32 vcc_lo, 27, v20
	s_mov_b32 s0, -1
	s_cbranch_vccnz .LBB62_759
; %bb.754:
	v_cmp_lt_i16_e32 vcc_lo, 27, v20
	s_cbranch_vccz .LBB62_756
; %bb.755:
	s_mov_b32 s0, 0
	global_store_b32 v[6:7], v16, off
.LBB62_756:
	s_and_not1_b32 vcc_lo, exec_lo, s0
	s_cbranch_vccnz .LBB62_758
; %bb.757:
	global_store_b16 v[6:7], v16, off
.LBB62_758:
	s_mov_b32 s0, 0
.LBB62_759:
	s_delay_alu instid0(SALU_CYCLE_1)
	s_and_not1_b32 vcc_lo, exec_lo, s0
	s_cbranch_vccnz .LBB62_764
; %bb.760:
	v_mov_b32_e32 v3, 0x80
	s_and_not1_b32 vcc_lo, exec_lo, s28
	s_cbranch_vccnz .LBB62_763
; %bb.761:
	v_mov_b32_e32 v3, 0
	s_or_b32 s0, s26, s29
	s_delay_alu instid0(SALU_CYCLE_1)
	s_and_not1_b32 vcc_lo, exec_lo, s0
	s_cbranch_vccnz .LBB62_763
; %bb.762:
	v_cndmask_b32_e64 v3, v15, s27, s26
	s_delay_alu instid0(VALU_DEP_1)
	v_or_b32_e32 v3, v3, v12
.LBB62_763:
	global_store_b8 v[6:7], v3, off
.LBB62_764:
	s_mov_b32 s38, 0
.LBB62_765:
	s_delay_alu instid0(SALU_CYCLE_1)
	s_and_b32 vcc_lo, exec_lo, s38
	s_mov_b32 s0, 0
	s_cbranch_vccz .LBB62_786
; %bb.766:
	v_cmp_lt_i16_e32 vcc_lo, 22, v20
	s_mov_b32 s26, -1
	s_cbranch_vccz .LBB62_779
; %bb.767:
	v_cmp_gt_i16_e32 vcc_lo, 24, v20
	s_cbranch_vccnz .LBB62_776
; %bb.768:
	v_cmp_lt_i16_e32 vcc_lo, 24, v20
	s_cbranch_vccz .LBB62_773
; %bb.769:
	v_mov_b32_e32 v3, 0x80
	s_and_not1_b32 vcc_lo, exec_lo, s24
	s_cbranch_vccnz .LBB62_772
; %bb.770:
	v_mov_b32_e32 v3, 0
	s_or_b32 s24, s20, s25
	s_delay_alu instid0(SALU_CYCLE_1)
	s_and_not1_b32 vcc_lo, exec_lo, s24
	s_cbranch_vccnz .LBB62_772
; %bb.771:
	v_cndmask_b32_e64 v3, v14, s22, s20
	s_delay_alu instid0(VALU_DEP_1)
	v_or_b32_e32 v3, v3, v12
.LBB62_772:
	s_mov_b32 s26, 0
	global_store_b8 v[6:7], v3, off
.LBB62_773:
	s_and_b32 vcc_lo, exec_lo, s26
	s_cbranch_vccz .LBB62_775
; %bb.774:
	s_and_b32 s19, s19, exec_lo
	s_cselect_b32 s14, s14, s21
	s_and_b32 s17, s17, exec_lo
	s_cselect_b32 s14, s23, s14
	s_delay_alu instid0(SALU_CYCLE_1)
	v_or_b32_e32 v3, s14, v12
	global_store_b8 v[6:7], v3, off
.LBB62_775:
	s_mov_b32 s26, 0
.LBB62_776:
	s_delay_alu instid0(SALU_CYCLE_1)
	s_and_not1_b32 vcc_lo, exec_lo, s26
	s_cbranch_vccnz .LBB62_778
; %bb.777:
	s_and_b32 s14, s15, exec_lo
	s_cselect_b32 s12, s12, s16
	s_and_b32 s13, s13, exec_lo
	s_cselect_b32 s12, s18, s12
	s_delay_alu instid0(SALU_CYCLE_1)
	v_or_b32_e32 v3, s12, v12
	global_store_b8 v[6:7], v3, off
.LBB62_778:
	s_mov_b32 s26, 0
.LBB62_779:
	s_delay_alu instid0(SALU_CYCLE_1)
	s_and_not1_b32 vcc_lo, exec_lo, s26
	s_mov_b32 s12, 0
	s_cbranch_vccnz .LBB62_787
; %bb.780:
	v_cmp_lt_i16_e32 vcc_lo, 14, v20
	s_mov_b32 s12, -1
	s_cbranch_vccz .LBB62_784
; %bb.781:
	v_cmp_eq_u16_e32 vcc_lo, 15, v20
	s_mov_b32 s1, -1
	s_cbranch_vccz .LBB62_783
; %bb.782:
	s_mov_b32 s1, 0
	global_store_b16 v[6:7], v13, off
.LBB62_783:
	s_mov_b32 s12, 0
.LBB62_784:
	s_delay_alu instid0(SALU_CYCLE_1)
	s_and_b32 vcc_lo, exec_lo, s12
	s_mov_b32 s12, 0
	s_cbranch_vccz .LBB62_787
; %bb.785:
	v_cmp_ne_u16_e32 vcc_lo, 11, v20
	s_and_not1_b32 s1, s1, exec_lo
	s_mov_b32 s12, -1
	s_and_b32 s13, vcc_lo, exec_lo
	s_delay_alu instid0(SALU_CYCLE_1)
	s_or_b32 s1, s1, s13
	s_branch .LBB62_787
.LBB62_786:
	s_mov_b32 s12, 0
.LBB62_787:
	s_and_b32 s38, s0, exec_lo
	s_and_not1_b32 s0, s37, exec_lo
	s_and_b32 s13, s1, exec_lo
	s_and_b32 s1, s12, exec_lo
	s_or_b32 s39, s0, s13
.LBB62_788:
	s_or_b32 exec_lo, exec_lo, s30
	s_delay_alu instid0(SALU_CYCLE_1)
	s_and_not1_b32 s0, s37, exec_lo
	s_and_b32 s12, s39, exec_lo
	s_and_b32 s38, s38, exec_lo
	;; [unrolled: 1-line block ×3, first 2 shown]
	s_or_b32 s37, s0, s12
.LBB62_789:
	s_or_b32 exec_lo, exec_lo, s36
	s_delay_alu instid0(SALU_CYCLE_1)
	s_and_not1_b32 s0, s34, exec_lo
	s_and_b32 s12, s37, exec_lo
	s_and_b32 s38, s38, exec_lo
	;; [unrolled: 1-line block ×3, first 2 shown]
	s_or_b32 s34, s0, s12
.LBB62_790:
	s_or_b32 exec_lo, exec_lo, s35
	s_delay_alu instid0(SALU_CYCLE_1)
	s_and_not1_b32 s0, s31, exec_lo
	s_and_b32 s12, s34, exec_lo
	s_and_b32 s1, s38, exec_lo
	s_and_b32 s34, s36, exec_lo
	s_or_b32 s31, s0, s12
	s_or_b32 exec_lo, exec_lo, s33
	s_mov_b32 s0, 0
	s_and_saveexec_b32 s12, s31
	s_cbranch_execz .LBB62_110
.LBB62_791:
	s_cbranch_execnz .LBB62_793
; %bb.792:
	s_mov_b32 s0, exec_lo
	s_and_not1_b32 s34, s34, exec_lo
	s_or_b32 exec_lo, exec_lo, s12
	s_and_saveexec_b32 s12, s34
	s_delay_alu instid0(SALU_CYCLE_1)
	s_xor_b32 s12, exec_lo, s12
	s_cbranch_execnz .LBB62_111
	s_branch .LBB62_112
.LBB62_793:
	s_trap 2
	s_sendmsg_rtn_b32 s0, sendmsg(MSG_RTN_GET_DOORBELL)
	s_mov_b32 ttmp2, m0
	s_waitcnt lgkmcnt(0)
	s_and_b32 s0, s0, 0x3ff
	s_delay_alu instid0(SALU_CYCLE_1) | instskip(NEXT) | instid1(SALU_CYCLE_1)
	s_bitset1_b32 s0, 10
	s_mov_b32 m0, s0
	s_sendmsg sendmsg(MSG_INTERRUPT)
	s_mov_b32 m0, ttmp2
.LBB62_794:                             ; =>This Inner Loop Header: Depth=1
	s_sethalt 5
	s_branch .LBB62_794
.LBB62_795:
	s_mov_b32 s13, -1
	s_mov_b32 s12, 0
                                        ; implicit-def: $sgpr14
.LBB62_796:
	v_mov_b32_e32 v4, s14
	s_and_not1_b32 vcc_lo, exec_lo, s13
                                        ; implicit-def: $sgpr13
	s_cbranch_vccnz .LBB62_798
; %bb.797:
	v_add_f32_e64 v4, 0x42800000, |s11|
	s_mov_b32 s13, 0
	s_delay_alu instid0(VALU_DEP_1) | instskip(NEXT) | instid1(VALU_DEP_1)
	v_and_b32_e32 v4, 0xff, v4
	v_cmp_ne_u32_e64 s12, 0, v4
.LBB62_798:
	v_mov_b32_e32 v5, s13
	s_delay_alu instid0(VALU_DEP_2)
	s_and_not1_b32 vcc_lo, exec_lo, s12
	s_cbranch_vccnz .LBB62_800
; %bb.799:
	s_lshr_b32 s11, s11, 24
	s_delay_alu instid0(SALU_CYCLE_1) | instskip(NEXT) | instid1(SALU_CYCLE_1)
	s_and_b32 s11, s11, 0x80
	v_or_b32_e32 v5, s11, v4
.LBB62_800:
	s_mov_b32 s11, 0
	global_store_b8 v[0:1], v5, off
.LBB62_801:
	s_and_b32 vcc_lo, exec_lo, s11
	s_cbranch_vccz .LBB62_813
; %bb.802:
	v_cvt_f32_f64_e32 v4, s[4:5]
	s_delay_alu instid0(VALU_DEP_1) | instskip(NEXT) | instid1(VALU_DEP_1)
	v_readfirstlane_b32 s11, v4
	s_and_b32 s12, s11, 0x7fffffff
	s_delay_alu instid0(SALU_CYCLE_1)
	s_cmp_lt_u32 s12, 0x43f00000
	s_cbranch_scc0 .LBB62_805
; %bb.803:
	s_cmp_gt_u32 s12, 0x3c7fffff
	s_cbranch_scc0 .LBB62_806
; %bb.804:
	s_bfe_u32 s13, s11, 0x10014
	s_delay_alu instid0(SALU_CYCLE_1) | instskip(NEXT) | instid1(SALU_CYCLE_1)
	s_add_i32 s13, s11, s13
	s_add_i32 s13, s13, 0x407ffff
	s_delay_alu instid0(SALU_CYCLE_1)
	s_and_b32 s14, s13, 0xff00000
	s_lshr_b32 s13, s13, 20
	s_cmp_lg_u32 s14, 0x7f00000
	s_cselect_b32 s14, s13, 0x7e
	s_mov_b32 s13, 0
	s_branch .LBB62_807
.LBB62_805:
	s_mov_b32 s13, -1
                                        ; implicit-def: $vgpr5
	s_branch .LBB62_810
.LBB62_806:
	s_mov_b32 s13, -1
                                        ; implicit-def: $sgpr14
.LBB62_807:
	v_mov_b32_e32 v5, s14
	s_and_not1_b32 vcc_lo, exec_lo, s13
	s_cbranch_vccnz .LBB62_809
; %bb.808:
	v_add_f32_e64 v5, 0x46800000, |v4|
.LBB62_809:
	s_mov_b32 s13, 0
.LBB62_810:
	s_delay_alu instid0(SALU_CYCLE_1)
	s_and_not1_b32 vcc_lo, exec_lo, s13
	s_cbranch_vccnz .LBB62_812
; %bb.811:
	s_cmp_gt_u32 s12, 0x7f800000
	s_movk_i32 s12, 0x7f
	s_delay_alu instid0(SALU_CYCLE_1) | instskip(NEXT) | instid1(SALU_CYCLE_1)
	s_cselect_b32 s12, s12, 0x7e
	v_mov_b32_e32 v5, s12
.LBB62_812:
	s_lshr_b32 s11, s11, 24
	s_delay_alu instid0(SALU_CYCLE_1)
	s_and_b32 s11, s11, 0x80
	s_delay_alu instid0(VALU_DEP_1) | instid1(SALU_CYCLE_1)
	v_or_b32_e32 v4, s11, v5
	global_store_b8 v[0:1], v4, off
.LBB62_813:
	s_mov_b32 s11, 0
.LBB62_814:
	s_delay_alu instid0(SALU_CYCLE_1)
	s_and_not1_b32 vcc_lo, exec_lo, s11
	s_cbranch_vccnz .LBB62_826
; %bb.815:
	v_cvt_f32_f64_e32 v4, s[4:5]
	s_delay_alu instid0(VALU_DEP_1) | instskip(NEXT) | instid1(VALU_DEP_1)
	v_readfirstlane_b32 s11, v4
	s_and_b32 s12, s11, 0x7fffffff
	s_delay_alu instid0(SALU_CYCLE_1)
	s_cmp_lt_u32 s12, 0x47800000
	s_cbranch_scc0 .LBB62_818
; %bb.816:
	s_cmp_gt_u32 s12, 0x387fffff
	s_cbranch_scc0 .LBB62_819
; %bb.817:
	s_bfe_u32 s13, s11, 0x10015
	s_delay_alu instid0(SALU_CYCLE_1) | instskip(NEXT) | instid1(SALU_CYCLE_1)
	s_add_i32 s13, s11, s13
	s_add_i32 s13, s13, 0x80fffff
	s_delay_alu instid0(SALU_CYCLE_1)
	s_lshr_b32 s14, s13, 21
	s_mov_b32 s13, 0
	s_branch .LBB62_820
.LBB62_818:
	s_mov_b32 s13, -1
                                        ; implicit-def: $vgpr5
	s_branch .LBB62_823
.LBB62_819:
	s_mov_b32 s13, -1
                                        ; implicit-def: $sgpr14
.LBB62_820:
	v_mov_b32_e32 v5, s14
	s_and_not1_b32 vcc_lo, exec_lo, s13
	s_cbranch_vccnz .LBB62_822
; %bb.821:
	v_add_f32_e64 v5, 0x43000000, |v4|
.LBB62_822:
	s_mov_b32 s13, 0
.LBB62_823:
	s_delay_alu instid0(SALU_CYCLE_1)
	s_and_not1_b32 vcc_lo, exec_lo, s13
	s_cbranch_vccnz .LBB62_825
; %bb.824:
	s_cmp_gt_u32 s12, 0x7f800000
	s_movk_i32 s12, 0x7f
	s_delay_alu instid0(SALU_CYCLE_1) | instskip(NEXT) | instid1(SALU_CYCLE_1)
	s_cselect_b32 s12, s12, 0x7c
	v_mov_b32_e32 v5, s12
.LBB62_825:
	s_lshr_b32 s11, s11, 24
	s_delay_alu instid0(SALU_CYCLE_1)
	s_and_b32 s11, s11, 0x80
	s_delay_alu instid0(VALU_DEP_1) | instid1(SALU_CYCLE_1)
	v_or_b32_e32 v4, s11, v5
	global_store_b8 v[0:1], v4, off
.LBB62_826:
	s_mov_b32 s11, 0
	s_mov_b32 s12, -1
.LBB62_827:
	s_and_not1_b32 vcc_lo, exec_lo, s11
	s_mov_b32 s11, 0
	s_cbranch_vccnz .LBB62_834
; %bb.828:
	v_cmp_lt_i16_e32 vcc_lo, 14, v2
	s_mov_b32 s11, -1
	s_cbranch_vccz .LBB62_832
; %bb.829:
	v_cmp_eq_u16_e32 vcc_lo, 15, v2
	s_mov_b32 s0, -1
	s_cbranch_vccz .LBB62_831
; %bb.830:
	v_cvt_f32_f64_e32 v4, s[4:5]
	s_mov_b32 s0, 0
	s_mov_b32 s12, -1
	s_delay_alu instid0(VALU_DEP_1) | instskip(SKIP_1) | instid1(VALU_DEP_2)
	v_bfe_u32 v5, v4, 16, 1
	v_cmp_o_f32_e32 vcc_lo, v4, v4
	v_add_nc_u32_e32 v5, v4, v5
	s_delay_alu instid0(VALU_DEP_1) | instskip(NEXT) | instid1(VALU_DEP_1)
	v_add_nc_u32_e32 v5, 0x7fff, v5
	v_lshrrev_b32_e32 v5, 16, v5
	s_delay_alu instid0(VALU_DEP_1)
	v_cndmask_b32_e32 v4, 0x7fc0, v5, vcc_lo
	global_store_b16 v[0:1], v4, off
.LBB62_831:
	s_mov_b32 s11, 0
.LBB62_832:
	s_delay_alu instid0(SALU_CYCLE_1)
	s_and_b32 vcc_lo, exec_lo, s11
	s_mov_b32 s11, 0
	s_cbranch_vccz .LBB62_834
; %bb.833:
	v_cmp_ne_u16_e64 s0, 11, v2
	s_mov_b32 s11, -1
.LBB62_834:
	s_delay_alu instid0(VALU_DEP_1)
	s_and_b32 vcc_lo, exec_lo, s0
	s_cbranch_vccnz .LBB62_869
; %bb.835:
	s_and_not1_b32 vcc_lo, exec_lo, s11
	s_cbranch_vccnz .LBB62_837
.LBB62_836:
	v_cmp_neq_f64_e64 s0, s[4:5], 0
	v_cmp_neq_f64_e64 s11, s[6:7], 0
	s_mov_b32 s12, -1
	s_delay_alu instid0(VALU_DEP_1) | instskip(NEXT) | instid1(SALU_CYCLE_1)
	s_or_b32 s0, s0, s11
	v_cndmask_b32_e64 v4, 0, 1, s0
	global_store_b8 v[0:1], v4, off
.LBB62_837:
.LBB62_838:
	s_and_not1_b32 vcc_lo, exec_lo, s12
	s_cbranch_vccnz .LBB62_683
.LBB62_839:
	v_add_nc_u32_e32 v0, s8, v3
	v_cmp_gt_i16_e32 vcc_lo, 11, v2
	s_delay_alu instid0(VALU_DEP_2) | instskip(SKIP_1) | instid1(VALU_DEP_1)
	v_ashrrev_i32_e32 v1, 31, v0
	v_add_co_u32 v0, s0, s2, v0
	v_add_co_ci_u32_e64 v1, s0, s3, v1, s0
	s_cbranch_vccnz .LBB62_868
; %bb.840:
	v_cmp_lt_i16_e32 vcc_lo, 25, v2
	s_mov_b32 s3, -1
	s_mov_b32 s2, 0
	s_mov_b32 s0, 0
	s_cbranch_vccz .LBB62_880
; %bb.841:
	v_cmp_lt_i16_e32 vcc_lo, 28, v2
	s_cbranch_vccz .LBB62_857
; %bb.842:
	v_cmp_lt_i16_e32 vcc_lo, 43, v2
	;; [unrolled: 3-line block ×3, first 2 shown]
	s_cbranch_vccz .LBB62_847
; %bb.844:
	v_cmp_eq_u16_e32 vcc_lo, 46, v2
	s_mov_b32 s0, -1
	s_cbranch_vccz .LBB62_846
; %bb.845:
	v_cvt_f32_f64_e32 v4, s[4:5]
	v_cvt_f32_f64_e32 v3, s[6:7]
	s_mov_b32 s0, 0
	s_delay_alu instid0(VALU_DEP_2) | instskip(NEXT) | instid1(VALU_DEP_2)
	v_bfe_u32 v6, v4, 16, 1
	v_cmp_o_f32_e32 vcc_lo, v3, v3
	v_bfe_u32 v5, v3, 16, 1
	s_delay_alu instid0(VALU_DEP_3) | instskip(NEXT) | instid1(VALU_DEP_1)
	v_add_nc_u32_e32 v6, v4, v6
	v_add_nc_u32_e32 v6, 0x7fff, v6
	s_delay_alu instid0(VALU_DEP_1) | instskip(NEXT) | instid1(VALU_DEP_4)
	v_lshrrev_b32_e32 v6, 16, v6
	v_add_nc_u32_e32 v5, v3, v5
	s_delay_alu instid0(VALU_DEP_1) | instskip(NEXT) | instid1(VALU_DEP_1)
	v_add_nc_u32_e32 v5, 0x7fff, v5
	v_and_b32_e32 v5, 0xffff0000, v5
	s_delay_alu instid0(VALU_DEP_1) | instskip(SKIP_2) | instid1(VALU_DEP_1)
	v_cndmask_b32_e32 v3, 0x7fc00000, v5, vcc_lo
	v_cmp_o_f32_e32 vcc_lo, v4, v4
	v_cndmask_b32_e32 v4, 0x7fc0, v6, vcc_lo
	v_or_b32_e32 v3, v3, v4
	global_store_b32 v[0:1], v3, off
.LBB62_846:
	s_mov_b32 s3, 0
.LBB62_847:
	s_delay_alu instid0(SALU_CYCLE_1)
	s_and_b32 vcc_lo, exec_lo, s3
	s_cbranch_vccz .LBB62_852
; %bb.848:
	v_cmp_eq_u16_e32 vcc_lo, 44, v2
	s_mov_b32 s0, -1
	s_cbranch_vccz .LBB62_852
; %bb.849:
	v_cvt_f32_f64_e32 v3, s[4:5]
	v_mov_b32_e32 v4, 0xff
	s_delay_alu instid0(VALU_DEP_2) | instskip(NEXT) | instid1(VALU_DEP_1)
	v_readfirstlane_b32 s0, v3
	s_bfe_u32 s3, s0, 0x80017
	s_delay_alu instid0(SALU_CYCLE_1)
	s_cmpk_eq_i32 s3, 0xff
	s_cbranch_scc1 .LBB62_851
; %bb.850:
	s_bitcmp1_b32 s0, 22
	v_lshrrev_b32_e32 v3, 23, v3
	s_cselect_b32 s8, -1, 0
	s_and_b32 s0, s0, 0x3fffff
	s_delay_alu instid0(SALU_CYCLE_1) | instskip(NEXT) | instid1(SALU_CYCLE_1)
	s_or_b32 s0, s3, s0
	s_cmp_lg_u32 s0, 0
	s_cselect_b32 s0, -1, 0
	s_delay_alu instid0(SALU_CYCLE_1) | instskip(NEXT) | instid1(SALU_CYCLE_1)
	s_and_b32 s0, s8, s0
	v_cndmask_b32_e64 v4, 0, 1, s0
	s_delay_alu instid0(VALU_DEP_1)
	v_add_nc_u32_e32 v4, v3, v4
.LBB62_851:
	s_mov_b32 s0, 0
	global_store_b8 v[0:1], v4, off
.LBB62_852:
	s_mov_b32 s3, 0
.LBB62_853:
	s_delay_alu instid0(SALU_CYCLE_1)
	s_and_b32 vcc_lo, exec_lo, s3
	s_cbranch_vccz .LBB62_856
; %bb.854:
	v_cmp_eq_u16_e32 vcc_lo, 29, v2
	s_mov_b32 s0, -1
	s_cbranch_vccz .LBB62_856
; %bb.855:
	v_trunc_f64_e32 v[3:4], s[4:5]
	s_mov_b32 s0, 0
	s_delay_alu instid0(VALU_DEP_1) | instskip(NEXT) | instid1(VALU_DEP_1)
	v_ldexp_f64 v[5:6], v[3:4], 0xffffffe0
	v_floor_f64_e32 v[5:6], v[5:6]
	s_delay_alu instid0(VALU_DEP_1) | instskip(SKIP_1) | instid1(VALU_DEP_2)
	v_fma_f64 v[3:4], 0xc1f00000, v[5:6], v[3:4]
	v_cvt_u32_f64_e32 v5, v[5:6]
	v_cvt_u32_f64_e32 v4, v[3:4]
	global_store_b64 v[0:1], v[4:5], off
.LBB62_856:
	s_mov_b32 s3, 0
.LBB62_857:
	s_delay_alu instid0(SALU_CYCLE_1)
	s_and_b32 vcc_lo, exec_lo, s3
	s_cbranch_vccz .LBB62_879
; %bb.858:
	v_cmp_gt_i16_e32 vcc_lo, 27, v2
	s_mov_b32 s3, -1
	s_cbranch_vccnz .LBB62_864
; %bb.859:
	v_cvt_u32_f64_e32 v3, s[4:5]
	v_cmp_lt_i16_e32 vcc_lo, 27, v2
	s_cbranch_vccz .LBB62_861
; %bb.860:
	s_mov_b32 s3, 0
	global_store_b32 v[0:1], v3, off
.LBB62_861:
	s_and_not1_b32 vcc_lo, exec_lo, s3
	s_cbranch_vccnz .LBB62_863
; %bb.862:
	global_store_b16 v[0:1], v3, off
.LBB62_863:
	s_mov_b32 s3, 0
.LBB62_864:
	s_delay_alu instid0(SALU_CYCLE_1)
	s_and_not1_b32 vcc_lo, exec_lo, s3
	s_cbranch_vccnz .LBB62_879
; %bb.865:
	v_cvt_f32_f64_e32 v3, s[4:5]
	v_mov_b32_e32 v4, 0x80
	s_delay_alu instid0(VALU_DEP_2) | instskip(NEXT) | instid1(VALU_DEP_1)
	v_readfirstlane_b32 s3, v3
	s_and_b32 s8, s3, 0x7fffffff
	s_delay_alu instid0(SALU_CYCLE_1)
	s_cmp_gt_u32 s8, 0x437fffff
	s_cbranch_scc1 .LBB62_878
; %bb.866:
	s_cmp_gt_u32 s8, 0x3bffffff
	s_cbranch_scc0 .LBB62_873
; %bb.867:
	s_bfe_u32 s8, s3, 0x10014
	s_mov_b32 s11, 0
	s_add_i32 s8, s3, s8
	s_delay_alu instid0(SALU_CYCLE_1) | instskip(NEXT) | instid1(SALU_CYCLE_1)
	s_add_i32 s8, s8, 0x487ffff
	s_lshr_b32 s12, s8, 20
	s_mov_b32 s8, -1
	s_branch .LBB62_874
.LBB62_868:
	s_mov_b32 s2, 0
	s_mov_b32 s0, -1
	s_branch .LBB62_684
.LBB62_869:
	s_cbranch_execnz .LBB62_871
; %bb.870:
	s_or_b32 s10, s10, exec_lo
	s_cbranch_execz .LBB62_836
	s_branch .LBB62_837
.LBB62_871:
	s_trap 2
	s_sendmsg_rtn_b32 s0, sendmsg(MSG_RTN_GET_DOORBELL)
	s_mov_b32 ttmp2, m0
	s_waitcnt lgkmcnt(0)
	s_and_b32 s0, s0, 0x3ff
	s_delay_alu instid0(SALU_CYCLE_1) | instskip(NEXT) | instid1(SALU_CYCLE_1)
	s_bitset1_b32 s0, 10
	s_mov_b32 m0, s0
	s_sendmsg sendmsg(MSG_INTERRUPT)
	s_mov_b32 m0, ttmp2
.LBB62_872:                             ; =>This Inner Loop Header: Depth=1
	s_sethalt 5
	s_branch .LBB62_872
.LBB62_873:
	s_mov_b32 s11, -1
	s_mov_b32 s8, 0
                                        ; implicit-def: $sgpr12
.LBB62_874:
	v_mov_b32_e32 v3, s12
	s_and_not1_b32 vcc_lo, exec_lo, s11
                                        ; implicit-def: $sgpr11
	s_cbranch_vccnz .LBB62_876
; %bb.875:
	v_add_f32_e64 v3, 0x46000000, |s3|
	s_mov_b32 s11, 0
	s_delay_alu instid0(VALU_DEP_1) | instskip(NEXT) | instid1(VALU_DEP_1)
	v_and_b32_e32 v3, 0xff, v3
	v_cmp_ne_u32_e64 s8, 0, v3
.LBB62_876:
	v_mov_b32_e32 v4, s11
	s_delay_alu instid0(VALU_DEP_2)
	s_and_not1_b32 vcc_lo, exec_lo, s8
	s_cbranch_vccnz .LBB62_878
; %bb.877:
	s_lshr_b32 s3, s3, 24
	s_delay_alu instid0(SALU_CYCLE_1) | instskip(NEXT) | instid1(SALU_CYCLE_1)
	s_and_b32 s3, s3, 0x80
	v_or_b32_e32 v4, s3, v3
.LBB62_878:
	global_store_b8 v[0:1], v4, off
.LBB62_879:
	s_mov_b32 s3, 0
.LBB62_880:
	s_delay_alu instid0(SALU_CYCLE_1)
	s_and_b32 vcc_lo, exec_lo, s3
	s_cbranch_vccz .LBB62_926
; %bb.881:
	v_cmp_lt_i16_e32 vcc_lo, 22, v2
	s_mov_b32 s2, -1
	s_cbranch_vccz .LBB62_919
; %bb.882:
	v_cmp_gt_i16_e32 vcc_lo, 24, v2
	s_cbranch_vccnz .LBB62_906
; %bb.883:
	v_cmp_lt_i16_e32 vcc_lo, 24, v2
	s_cbranch_vccz .LBB62_893
; %bb.884:
	v_cvt_f32_f64_e32 v3, s[4:5]
	v_mov_b32_e32 v4, 0x80
	s_delay_alu instid0(VALU_DEP_2) | instskip(NEXT) | instid1(VALU_DEP_1)
	v_readfirstlane_b32 s2, v3
	s_and_b32 s3, s2, 0x7fffffff
	s_delay_alu instid0(SALU_CYCLE_1)
	s_cmp_gt_u32 s3, 0x477fffff
	s_cbranch_scc1 .LBB62_892
; %bb.885:
	s_cmp_gt_u32 s3, 0x37ffffff
	s_cbranch_scc0 .LBB62_887
; %bb.886:
	s_bfe_u32 s3, s2, 0x10015
	s_mov_b32 s8, 0
	s_add_i32 s3, s2, s3
	s_delay_alu instid0(SALU_CYCLE_1) | instskip(NEXT) | instid1(SALU_CYCLE_1)
	s_add_i32 s3, s3, 0x88fffff
	s_lshr_b32 s11, s3, 21
	s_mov_b32 s3, -1
	s_branch .LBB62_888
.LBB62_887:
	s_mov_b32 s8, -1
	s_mov_b32 s3, 0
                                        ; implicit-def: $sgpr11
.LBB62_888:
	v_mov_b32_e32 v3, s11
	s_and_not1_b32 vcc_lo, exec_lo, s8
                                        ; implicit-def: $sgpr8
	s_cbranch_vccnz .LBB62_890
; %bb.889:
	v_add_f32_e64 v3, 0x42800000, |s2|
	s_mov_b32 s8, 0
	s_delay_alu instid0(VALU_DEP_1) | instskip(NEXT) | instid1(VALU_DEP_1)
	v_and_b32_e32 v3, 0xff, v3
	v_cmp_ne_u32_e64 s3, 0, v3
.LBB62_890:
	v_mov_b32_e32 v4, s8
	s_delay_alu instid0(VALU_DEP_2)
	s_and_not1_b32 vcc_lo, exec_lo, s3
	s_cbranch_vccnz .LBB62_892
; %bb.891:
	s_lshr_b32 s2, s2, 24
	s_delay_alu instid0(SALU_CYCLE_1) | instskip(NEXT) | instid1(SALU_CYCLE_1)
	s_and_b32 s2, s2, 0x80
	v_or_b32_e32 v4, s2, v3
.LBB62_892:
	s_mov_b32 s2, 0
	global_store_b8 v[0:1], v4, off
.LBB62_893:
	s_and_b32 vcc_lo, exec_lo, s2
	s_cbranch_vccz .LBB62_905
; %bb.894:
	v_cvt_f32_f64_e32 v3, s[4:5]
	s_delay_alu instid0(VALU_DEP_1) | instskip(NEXT) | instid1(VALU_DEP_1)
	v_readfirstlane_b32 s2, v3
	s_and_b32 s3, s2, 0x7fffffff
	s_delay_alu instid0(SALU_CYCLE_1)
	s_cmp_lt_u32 s3, 0x43f00000
	s_cbranch_scc0 .LBB62_897
; %bb.895:
	s_cmp_gt_u32 s3, 0x3c7fffff
	s_cbranch_scc0 .LBB62_898
; %bb.896:
	s_bfe_u32 s8, s2, 0x10014
	s_delay_alu instid0(SALU_CYCLE_1) | instskip(NEXT) | instid1(SALU_CYCLE_1)
	s_add_i32 s8, s2, s8
	s_add_i32 s8, s8, 0x407ffff
	s_delay_alu instid0(SALU_CYCLE_1)
	s_and_b32 s11, s8, 0xff00000
	s_lshr_b32 s8, s8, 20
	s_cmp_lg_u32 s11, 0x7f00000
	s_cselect_b32 s11, s8, 0x7e
	s_mov_b32 s8, 0
	s_branch .LBB62_899
.LBB62_897:
	s_mov_b32 s8, -1
                                        ; implicit-def: $vgpr4
	s_branch .LBB62_902
.LBB62_898:
	s_mov_b32 s8, -1
                                        ; implicit-def: $sgpr11
.LBB62_899:
	v_mov_b32_e32 v4, s11
	s_and_not1_b32 vcc_lo, exec_lo, s8
	s_cbranch_vccnz .LBB62_901
; %bb.900:
	v_add_f32_e64 v4, 0x46800000, |v3|
.LBB62_901:
	s_mov_b32 s8, 0
.LBB62_902:
	s_delay_alu instid0(SALU_CYCLE_1)
	s_and_not1_b32 vcc_lo, exec_lo, s8
	s_cbranch_vccnz .LBB62_904
; %bb.903:
	s_cmp_gt_u32 s3, 0x7f800000
	s_movk_i32 s3, 0x7f
	s_delay_alu instid0(SALU_CYCLE_1) | instskip(NEXT) | instid1(SALU_CYCLE_1)
	s_cselect_b32 s3, s3, 0x7e
	v_mov_b32_e32 v4, s3
.LBB62_904:
	s_lshr_b32 s2, s2, 24
	s_delay_alu instid0(SALU_CYCLE_1)
	s_and_b32 s2, s2, 0x80
	s_delay_alu instid0(VALU_DEP_1) | instid1(SALU_CYCLE_1)
	v_or_b32_e32 v3, s2, v4
	global_store_b8 v[0:1], v3, off
.LBB62_905:
	s_mov_b32 s2, 0
.LBB62_906:
	s_delay_alu instid0(SALU_CYCLE_1)
	s_and_not1_b32 vcc_lo, exec_lo, s2
	s_cbranch_vccnz .LBB62_918
; %bb.907:
	v_cvt_f32_f64_e32 v3, s[4:5]
	s_delay_alu instid0(VALU_DEP_1) | instskip(NEXT) | instid1(VALU_DEP_1)
	v_readfirstlane_b32 s2, v3
	s_and_b32 s3, s2, 0x7fffffff
	s_delay_alu instid0(SALU_CYCLE_1)
	s_cmp_lt_u32 s3, 0x47800000
	s_cbranch_scc0 .LBB62_910
; %bb.908:
	s_cmp_gt_u32 s3, 0x387fffff
	s_cbranch_scc0 .LBB62_911
; %bb.909:
	s_bfe_u32 s8, s2, 0x10015
	s_delay_alu instid0(SALU_CYCLE_1) | instskip(NEXT) | instid1(SALU_CYCLE_1)
	s_add_i32 s8, s2, s8
	s_add_i32 s8, s8, 0x80fffff
	s_delay_alu instid0(SALU_CYCLE_1)
	s_lshr_b32 s11, s8, 21
	s_mov_b32 s8, 0
	s_branch .LBB62_912
.LBB62_910:
	s_mov_b32 s8, -1
                                        ; implicit-def: $vgpr4
	s_branch .LBB62_915
.LBB62_911:
	s_mov_b32 s8, -1
                                        ; implicit-def: $sgpr11
.LBB62_912:
	v_mov_b32_e32 v4, s11
	s_and_not1_b32 vcc_lo, exec_lo, s8
	s_cbranch_vccnz .LBB62_914
; %bb.913:
	v_add_f32_e64 v4, 0x43000000, |v3|
.LBB62_914:
	s_mov_b32 s8, 0
.LBB62_915:
	s_delay_alu instid0(SALU_CYCLE_1)
	s_and_not1_b32 vcc_lo, exec_lo, s8
	s_cbranch_vccnz .LBB62_917
; %bb.916:
	s_cmp_gt_u32 s3, 0x7f800000
	s_movk_i32 s3, 0x7f
	s_delay_alu instid0(SALU_CYCLE_1) | instskip(NEXT) | instid1(SALU_CYCLE_1)
	s_cselect_b32 s3, s3, 0x7c
	v_mov_b32_e32 v4, s3
.LBB62_917:
	s_lshr_b32 s2, s2, 24
	s_delay_alu instid0(SALU_CYCLE_1)
	s_and_b32 s2, s2, 0x80
	s_delay_alu instid0(VALU_DEP_1) | instid1(SALU_CYCLE_1)
	v_or_b32_e32 v3, s2, v4
	global_store_b8 v[0:1], v3, off
.LBB62_918:
	s_mov_b32 s2, 0
.LBB62_919:
	s_delay_alu instid0(SALU_CYCLE_1)
	s_and_not1_b32 vcc_lo, exec_lo, s2
	s_mov_b32 s2, 0
	s_cbranch_vccnz .LBB62_926
; %bb.920:
	v_cmp_lt_i16_e32 vcc_lo, 14, v2
	s_mov_b32 s2, -1
	s_cbranch_vccz .LBB62_924
; %bb.921:
	v_cmp_eq_u16_e32 vcc_lo, 15, v2
	s_mov_b32 s0, -1
	s_cbranch_vccz .LBB62_923
; %bb.922:
	v_cvt_f32_f64_e32 v3, s[4:5]
	s_mov_b32 s0, 0
	s_delay_alu instid0(VALU_DEP_1) | instskip(SKIP_1) | instid1(VALU_DEP_2)
	v_bfe_u32 v4, v3, 16, 1
	v_cmp_o_f32_e32 vcc_lo, v3, v3
	v_add_nc_u32_e32 v4, v3, v4
	s_delay_alu instid0(VALU_DEP_1) | instskip(NEXT) | instid1(VALU_DEP_1)
	v_add_nc_u32_e32 v4, 0x7fff, v4
	v_lshrrev_b32_e32 v4, 16, v4
	s_delay_alu instid0(VALU_DEP_1)
	v_cndmask_b32_e32 v3, 0x7fc0, v4, vcc_lo
	global_store_b16 v[0:1], v3, off
.LBB62_923:
	s_mov_b32 s2, 0
.LBB62_924:
	s_delay_alu instid0(SALU_CYCLE_1)
	s_and_b32 vcc_lo, exec_lo, s2
	s_mov_b32 s2, 0
	s_cbranch_vccz .LBB62_926
; %bb.925:
	v_cmp_ne_u16_e64 s0, 11, v2
	s_mov_b32 s2, -1
.LBB62_926:
	s_delay_alu instid0(VALU_DEP_1)
	s_and_b32 vcc_lo, exec_lo, s0
	s_cbranch_vccnz .LBB62_928
.LBB62_927:
	s_mov_b32 s0, 0
	s_branch .LBB62_684
.LBB62_928:
	s_cbranch_execnz .LBB62_930
; %bb.929:
	s_mov_b32 s2, 0
	s_or_b32 s10, s10, exec_lo
	s_branch .LBB62_927
.LBB62_930:
	s_trap 2
	s_sendmsg_rtn_b32 s0, sendmsg(MSG_RTN_GET_DOORBELL)
	s_mov_b32 ttmp2, m0
	s_waitcnt lgkmcnt(0)
	s_and_b32 s0, s0, 0x3ff
	s_delay_alu instid0(SALU_CYCLE_1) | instskip(NEXT) | instid1(SALU_CYCLE_1)
	s_bitset1_b32 s0, 10
	s_mov_b32 m0, s0
	s_sendmsg sendmsg(MSG_INTERRUPT)
	s_mov_b32 m0, ttmp2
.LBB62_931:                             ; =>This Inner Loop Header: Depth=1
	s_sethalt 5
	s_branch .LBB62_931
	.section	.rodata,"a",@progbits
	.p2align	6, 0x0
	.amdhsa_kernel _ZN2at6native32elementwise_kernel_manual_unrollILi128ELi4EZNS0_15gpu_kernel_implINS0_11FillFunctorIN3c107complexIdEEEEEEvRNS_18TensorIteratorBaseERKT_EUlibE_EEviT1_
		.amdhsa_group_segment_fixed_size 0
		.amdhsa_private_segment_fixed_size 0
		.amdhsa_kernarg_size 64
		.amdhsa_user_sgpr_count 15
		.amdhsa_user_sgpr_dispatch_ptr 0
		.amdhsa_user_sgpr_queue_ptr 0
		.amdhsa_user_sgpr_kernarg_segment_ptr 1
		.amdhsa_user_sgpr_dispatch_id 0
		.amdhsa_user_sgpr_private_segment_size 0
		.amdhsa_wavefront_size32 1
		.amdhsa_uses_dynamic_stack 0
		.amdhsa_enable_private_segment 0
		.amdhsa_system_sgpr_workgroup_id_x 1
		.amdhsa_system_sgpr_workgroup_id_y 0
		.amdhsa_system_sgpr_workgroup_id_z 0
		.amdhsa_system_sgpr_workgroup_info 0
		.amdhsa_system_vgpr_workitem_id 0
		.amdhsa_next_free_vgpr 25
		.amdhsa_next_free_sgpr 40
		.amdhsa_reserve_vcc 1
		.amdhsa_float_round_mode_32 0
		.amdhsa_float_round_mode_16_64 0
		.amdhsa_float_denorm_mode_32 3
		.amdhsa_float_denorm_mode_16_64 3
		.amdhsa_dx10_clamp 1
		.amdhsa_ieee_mode 1
		.amdhsa_fp16_overflow 0
		.amdhsa_workgroup_processor_mode 1
		.amdhsa_memory_ordered 1
		.amdhsa_forward_progress 0
		.amdhsa_shared_vgpr_count 0
		.amdhsa_exception_fp_ieee_invalid_op 0
		.amdhsa_exception_fp_denorm_src 0
		.amdhsa_exception_fp_ieee_div_zero 0
		.amdhsa_exception_fp_ieee_overflow 0
		.amdhsa_exception_fp_ieee_underflow 0
		.amdhsa_exception_fp_ieee_inexact 0
		.amdhsa_exception_int_div_zero 0
	.end_amdhsa_kernel
	.section	.text._ZN2at6native32elementwise_kernel_manual_unrollILi128ELi4EZNS0_15gpu_kernel_implINS0_11FillFunctorIN3c107complexIdEEEEEEvRNS_18TensorIteratorBaseERKT_EUlibE_EEviT1_,"axG",@progbits,_ZN2at6native32elementwise_kernel_manual_unrollILi128ELi4EZNS0_15gpu_kernel_implINS0_11FillFunctorIN3c107complexIdEEEEEEvRNS_18TensorIteratorBaseERKT_EUlibE_EEviT1_,comdat
.Lfunc_end62:
	.size	_ZN2at6native32elementwise_kernel_manual_unrollILi128ELi4EZNS0_15gpu_kernel_implINS0_11FillFunctorIN3c107complexIdEEEEEEvRNS_18TensorIteratorBaseERKT_EUlibE_EEviT1_, .Lfunc_end62-_ZN2at6native32elementwise_kernel_manual_unrollILi128ELi4EZNS0_15gpu_kernel_implINS0_11FillFunctorIN3c107complexIdEEEEEEvRNS_18TensorIteratorBaseERKT_EUlibE_EEviT1_
                                        ; -- End function
	.section	.AMDGPU.csdata,"",@progbits
; Kernel info:
; codeLenInByte = 14760
; NumSgprs: 42
; NumVgprs: 25
; ScratchSize: 0
; MemoryBound: 0
; FloatMode: 240
; IeeeMode: 1
; LDSByteSize: 0 bytes/workgroup (compile time only)
; SGPRBlocks: 5
; VGPRBlocks: 3
; NumSGPRsForWavesPerEU: 42
; NumVGPRsForWavesPerEU: 25
; Occupancy: 16
; WaveLimiterHint : 0
; COMPUTE_PGM_RSRC2:SCRATCH_EN: 0
; COMPUTE_PGM_RSRC2:USER_SGPR: 15
; COMPUTE_PGM_RSRC2:TRAP_HANDLER: 0
; COMPUTE_PGM_RSRC2:TGID_X_EN: 1
; COMPUTE_PGM_RSRC2:TGID_Y_EN: 0
; COMPUTE_PGM_RSRC2:TGID_Z_EN: 0
; COMPUTE_PGM_RSRC2:TIDIG_COMP_CNT: 0
	.section	.text._ZN2at6native32elementwise_kernel_manual_unrollILi128ELi4EZNS0_15gpu_kernel_implINS0_11FillFunctorIN3c107complexIdEEEEEEvRNS_18TensorIteratorBaseERKT_EUlibE0_EEviT1_,"axG",@progbits,_ZN2at6native32elementwise_kernel_manual_unrollILi128ELi4EZNS0_15gpu_kernel_implINS0_11FillFunctorIN3c107complexIdEEEEEEvRNS_18TensorIteratorBaseERKT_EUlibE0_EEviT1_,comdat
	.protected	_ZN2at6native32elementwise_kernel_manual_unrollILi128ELi4EZNS0_15gpu_kernel_implINS0_11FillFunctorIN3c107complexIdEEEEEEvRNS_18TensorIteratorBaseERKT_EUlibE0_EEviT1_ ; -- Begin function _ZN2at6native32elementwise_kernel_manual_unrollILi128ELi4EZNS0_15gpu_kernel_implINS0_11FillFunctorIN3c107complexIdEEEEEEvRNS_18TensorIteratorBaseERKT_EUlibE0_EEviT1_
	.globl	_ZN2at6native32elementwise_kernel_manual_unrollILi128ELi4EZNS0_15gpu_kernel_implINS0_11FillFunctorIN3c107complexIdEEEEEEvRNS_18TensorIteratorBaseERKT_EUlibE0_EEviT1_
	.p2align	8
	.type	_ZN2at6native32elementwise_kernel_manual_unrollILi128ELi4EZNS0_15gpu_kernel_implINS0_11FillFunctorIN3c107complexIdEEEEEEvRNS_18TensorIteratorBaseERKT_EUlibE0_EEviT1_,@function
_ZN2at6native32elementwise_kernel_manual_unrollILi128ELi4EZNS0_15gpu_kernel_implINS0_11FillFunctorIN3c107complexIdEEEEEEvRNS_18TensorIteratorBaseERKT_EUlibE0_EEviT1_: ; @_ZN2at6native32elementwise_kernel_manual_unrollILi128ELi4EZNS0_15gpu_kernel_implINS0_11FillFunctorIN3c107complexIdEEEEEEvRNS_18TensorIteratorBaseERKT_EUlibE0_EEviT1_
; %bb.0:
	s_clause 0x1
	s_load_b32 s24, s[0:1], 0x10
	s_load_b32 s49, s[0:1], 0x0
	v_lshl_or_b32 v10, s15, 9, v0
	s_add_u32 s12, s0, 16
	s_addc_u32 s13, s1, 0
	s_mov_b32 s20, -1
	s_mov_b32 s26, 0
	v_or_b32_e32 v4, 0x180, v10
	s_mov_b32 s6, 0
	s_mov_b32 s0, exec_lo
	s_waitcnt lgkmcnt(0)
	s_add_i32 s25, s24, -1
	s_delay_alu instid0(SALU_CYCLE_1)
	s_cmp_gt_u32 s25, 1
	s_cselect_b32 s27, -1, 0
	v_cmpx_le_i32_e64 s49, v4
	s_xor_b32 s28, exec_lo, s0
	s_cbranch_execz .LBB63_159
; %bb.1:
	s_clause 0x3
	s_load_b128 s[4:7], s[12:13], 0x108
	s_load_b64 s[14:15], s[12:13], 0xc4
	s_load_b64 s[2:3], s[12:13], 0x118
	s_load_b32 s47, s[12:13], 0x120
	s_cmp_lg_u32 s24, 0
	s_clause 0x1
	s_load_b128 s[8:11], s[12:13], 0x4
	s_load_b64 s[16:17], s[12:13], 0x14
	s_cselect_b32 s51, -1, 0
	s_add_u32 s18, s12, 0xc4
	s_addc_u32 s19, s13, 0
	s_min_u32 s50, s25, 15
	s_cmp_gt_u32 s24, 1
	s_movk_i32 s21, 0x7f
	s_cselect_b32 s48, -1, 0
	s_movk_i32 s22, 0x7c
	s_mov_b32 s54, 0
	s_mov_b32 s53, exec_lo
	s_waitcnt lgkmcnt(0)
	v_trunc_f64_e32 v[2:3], s[6:7]
	v_cvt_f32_f64_e32 v0, s[6:7]
	v_cvt_f32_f64_e32 v1, s[2:3]
	v_cmp_neq_f64_e64 s23, s[6:7], 0
	v_cmp_neq_f64_e64 s52, s[2:3], 0
	v_cvt_u32_f64_e32 v17, s[6:7]
	v_cvt_i32_f64_e32 v8, s[6:7]
	v_ldexp_f64 v[4:5], v[2:3], 0xffffffe0
	v_bfe_u32 v7, v0, 23, 8
	v_and_b32_e32 v9, 0x3fffff, v0
	v_readfirstlane_b32 s31, v0
	v_add_f32_e64 v16, 0x46000000, |v0|
	v_bfe_u32 v19, v0, 16, 1
	v_add_f32_e64 v15, 0x42800000, |v0|
	v_or_b32_e32 v13, v7, v9
	s_and_b32 s35, s31, 0x7fffffff
	v_readfirstlane_b32 s29, v16
	v_cmp_eq_u32_e64 s0, 0xff, v7
	v_add_nc_u32_e32 v7, v0, v19
	v_cmp_ne_u32_e64 s1, 0, v13
	v_readfirstlane_b32 s34, v15
	v_bfe_u32 v20, v1, 16, 1
	v_lshrrev_b32_e32 v12, 24, v0
	v_add_nc_u32_e32 v7, 0x7fff, v7
	v_add_f32_e64 v14, 0x46800000, |v0|
	v_add_f32_e64 v18, 0x43000000, |v0|
	v_cvt_f16_f32_e32 v9, v0
	v_cvt_f16_f32_e32 v21, v1
	v_lshrrev_b32_e32 v7, 16, v7
	v_and_b32_e32 v13, 0x80, v12
	v_readfirstlane_b32 s30, v14
	v_and_b32_e32 v14, 0xffff, v9
	v_lshlrev_b32_e32 v12, 16, v21
	v_lshrrev_b32_e32 v6, 23, v0
	v_floor_f64_e32 v[4:5], v[4:5]
	s_delay_alu instid0(VALU_DEP_1) | instskip(NEXT) | instid1(VALU_DEP_1)
	v_fma_f64 v[2:3], 0xc1f00000, v[4:5], v[2:3]
	v_cvt_u32_f64_e32 v2, v[2:3]
	v_and_b32_e32 v11, 0x400000, v0
	v_cvt_u32_f64_e32 v3, v[4:5]
	v_cvt_i32_f64_e32 v5, v[4:5]
	s_delay_alu instid0(VALU_DEP_3)
	v_cmp_ne_u32_e32 vcc_lo, 0, v11
	s_and_b32 s33, vcc_lo, s1
	s_cmp_lt_u32 s35, 0x43800000
	v_cmp_o_f32_e32 vcc_lo, v0, v0
	s_cselect_b32 s45, -1, 0
	s_cmp_gt_u32 s35, 0x3bffffff
	v_add_nc_u32_e32 v11, v1, v20
	s_cselect_b32 s43, -1, 0
	s_bfe_u32 s36, s31, 0x10014
	s_and_b32 s29, s29, 0xff
	s_add_i32 s38, s31, s36
	v_readfirstlane_b32 s1, v18
	s_add_i32 s36, s38, 0x487ffff
	v_add_nc_u32_e32 v18, 0x7fff, v11
	s_lshr_b32 s44, s36, 20
	s_cmp_lg_u32 s29, 0
	v_cndmask_b32_e64 v4, 0, 1, s33
	s_cselect_b32 s46, -1, 0
	s_cmp_gt_u32 s35, 0x477fffff
	v_or_b32_e32 v11, v12, v14
	v_cndmask_b32_e32 v14, 0x7fc0, v7, vcc_lo
	s_cselect_b32 s29, -1, 0
	s_cmp_lt_u32 s35, 0x47800000
	v_and_b32_e32 v12, 0xffff0000, v18
	s_cselect_b32 s41, -1, 0
	s_cmp_gt_u32 s35, 0x37ffffff
	v_cmp_o_f32_e32 vcc_lo, v1, v1
	s_cselect_b32 s37, -1, 0
	s_bfe_u32 s36, s31, 0x10015
	v_add_nc_u32_e32 v18, v6, v4
	s_add_i32 s40, s31, s36
	s_and_b32 s31, s34, 0xff
	s_add_i32 s34, s40, 0x88fffff
	v_cndmask_b32_e32 v7, 0x7fc00000, v12, vcc_lo
	s_lshr_b32 s39, s34, 21
	s_cmp_lg_u32 s31, 0
	v_mov_b32_e32 v4, v2
	s_cselect_b32 s42, -1, 0
	s_cmp_gt_u32 s35, 0x43efffff
	v_or_b32_e32 v19, v7, v14
	s_cselect_b32 s34, -1, 0
	s_cmp_lt_u32 s35, 0x3c800000
	s_cselect_b32 s36, -1, 0
	s_add_i32 s38, s38, 0x407ffff
	s_delay_alu instid0(SALU_CYCLE_1)
	s_and_b32 s31, s38, 0xff00000
	s_lshr_b32 s33, s38, 20
	s_cmp_lg_u32 s31, 0x7f00000
	s_cselect_b32 s38, s33, 0x7e
	s_cmp_lt_u32 s35, 0x38800000
	s_cselect_b32 s31, -1, 0
	s_add_i32 s40, s40, 0x80fffff
	s_delay_alu instid0(SALU_CYCLE_1)
	s_lshr_b32 s33, s40, 21
	s_cmp_gt_u32 s35, 0x7f800000
	s_cselect_b32 s40, s21, 0x7e
	s_cselect_b32 s35, 0x7f, s22
	s_or_b32 s21, s23, s52
	s_mov_b32 s52, 0
	v_cndmask_b32_e64 v12, 0, 1, s21
	v_cmpx_gt_i32_e64 s49, v10
	s_cbranch_execz .LBB63_110
; %bb.2:
	s_and_not1_b32 vcc_lo, exec_lo, s27
	s_cbranch_vccnz .LBB63_7
; %bb.3:
	v_mov_b32_e32 v6, 0
	s_and_not1_b32 vcc_lo, exec_lo, s51
	s_cbranch_vccnz .LBB63_12
; %bb.4:
	s_add_i32 s55, s50, 1
	s_cmp_eq_u32 s25, 2
	s_cbranch_scc1 .LBB63_8
; %bb.5:
	v_dual_mov_b32 v6, 0 :: v_dual_mov_b32 v7, v10
	s_and_b32 s52, s55, 28
	s_mov_b32 s56, 0
	s_mov_b64 s[20:21], s[12:13]
	s_mov_b64 s[22:23], s[18:19]
.LBB63_6:                               ; =>This Inner Loop Header: Depth=1
	s_clause 0x1
	s_load_b256 s[60:67], s[20:21], 0x4
	s_load_b128 s[68:71], s[20:21], 0x24
	s_load_b128 s[72:75], s[22:23], 0x0
	s_add_u32 s20, s20, 48
	s_addc_u32 s21, s21, 0
	s_add_i32 s56, s56, 4
	s_add_u32 s22, s22, 16
	s_addc_u32 s23, s23, 0
	s_cmp_lg_u32 s52, s56
	s_waitcnt lgkmcnt(0)
	v_mul_hi_u32 v20, s61, v7
	s_delay_alu instid0(VALU_DEP_1) | instskip(NEXT) | instid1(VALU_DEP_1)
	v_add_nc_u32_e32 v20, v7, v20
	v_lshrrev_b32_e32 v20, s62, v20
	s_delay_alu instid0(VALU_DEP_1) | instskip(SKIP_1) | instid1(VALU_DEP_2)
	v_mul_hi_u32 v21, s64, v20
	v_mul_lo_u32 v24, v20, s60
	v_add_nc_u32_e32 v21, v20, v21
	s_delay_alu instid0(VALU_DEP_2) | instskip(NEXT) | instid1(VALU_DEP_2)
	v_sub_nc_u32_e32 v24, v7, v24
	v_lshrrev_b32_e32 v21, s65, v21
	s_delay_alu instid0(VALU_DEP_2) | instskip(NEXT) | instid1(VALU_DEP_2)
	v_mul_lo_u32 v24, v24, s72
	v_mul_hi_u32 v22, s67, v21
	v_mul_lo_u32 v25, v21, s63
	s_delay_alu instid0(VALU_DEP_2) | instskip(NEXT) | instid1(VALU_DEP_2)
	v_add_nc_u32_e32 v22, v21, v22
	v_sub_nc_u32_e32 v20, v20, v25
	s_delay_alu instid0(VALU_DEP_2) | instskip(NEXT) | instid1(VALU_DEP_2)
	v_lshrrev_b32_e32 v22, s68, v22
	v_mul_lo_u32 v20, v20, s73
	s_delay_alu instid0(VALU_DEP_2) | instskip(NEXT) | instid1(VALU_DEP_2)
	v_mul_hi_u32 v23, s70, v22
	v_add3_u32 v6, v24, v6, v20
	s_delay_alu instid0(VALU_DEP_2) | instskip(NEXT) | instid1(VALU_DEP_1)
	v_add_nc_u32_e32 v23, v22, v23
	v_lshrrev_b32_e32 v7, s71, v23
	v_mul_lo_u32 v23, v22, s66
	s_delay_alu instid0(VALU_DEP_2) | instskip(NEXT) | instid1(VALU_DEP_2)
	v_mul_lo_u32 v26, v7, s69
	v_sub_nc_u32_e32 v21, v21, v23
	s_delay_alu instid0(VALU_DEP_2) | instskip(NEXT) | instid1(VALU_DEP_2)
	v_sub_nc_u32_e32 v22, v22, v26
	v_mul_lo_u32 v21, v21, s74
	s_delay_alu instid0(VALU_DEP_2) | instskip(NEXT) | instid1(VALU_DEP_1)
	v_mul_lo_u32 v22, v22, s75
	v_add3_u32 v6, v21, v6, v22
	s_cbranch_scc1 .LBB63_6
	s_branch .LBB63_9
.LBB63_7:
                                        ; implicit-def: $vgpr6
	s_and_not1_b32 vcc_lo, exec_lo, s20
	s_cbranch_vccz .LBB63_13
	s_branch .LBB63_15
.LBB63_8:
	v_mov_b32_e32 v7, v10
.LBB63_9:
	s_and_b32 s55, s55, 3
	s_delay_alu instid0(SALU_CYCLE_1)
	s_cmp_eq_u32 s55, 0
	s_cbranch_scc1 .LBB63_12
; %bb.10:
	s_lshl_b32 s20, s52, 2
	s_mul_i32 s22, s52, 12
	s_add_u32 s20, s20, s12
	s_addc_u32 s21, s13, 0
	s_add_u32 s20, s20, 0xc4
	s_addc_u32 s21, s21, 0
	;; [unrolled: 2-line block ×3, first 2 shown]
	.p2align	6
.LBB63_11:                              ; =>This Inner Loop Header: Depth=1
	s_clause 0x1
	s_load_b64 s[56:57], s[22:23], 0x4
	s_load_b32 s52, s[22:23], 0xc
	s_add_u32 s22, s22, 12
	s_addc_u32 s23, s23, 0
	s_waitcnt lgkmcnt(0)
	v_mul_hi_u32 v20, s57, v7
	s_load_b32 s57, s[20:21], 0x0
	s_add_u32 s20, s20, 4
	s_addc_u32 s21, s21, 0
	s_add_i32 s55, s55, -1
	s_delay_alu instid0(SALU_CYCLE_1) | instskip(NEXT) | instid1(VALU_DEP_1)
	s_cmp_lg_u32 s55, 0
	v_add_nc_u32_e32 v20, v7, v20
	s_delay_alu instid0(VALU_DEP_1) | instskip(NEXT) | instid1(VALU_DEP_1)
	v_lshrrev_b32_e32 v22, s52, v20
	v_mul_lo_u32 v20, v22, s56
	s_delay_alu instid0(VALU_DEP_1) | instskip(SKIP_1) | instid1(VALU_DEP_1)
	v_sub_nc_u32_e32 v7, v7, v20
	s_waitcnt lgkmcnt(0)
	v_mad_u64_u32 v[20:21], null, v7, s57, v[6:7]
	s_delay_alu instid0(VALU_DEP_1)
	v_dual_mov_b32 v7, v22 :: v_dual_mov_b32 v6, v20
	s_cbranch_scc1 .LBB63_11
.LBB63_12:
	s_cbranch_execnz .LBB63_15
.LBB63_13:
	v_mul_hi_u32 v6, s9, v10
	s_and_not1_b32 vcc_lo, exec_lo, s48
	s_delay_alu instid0(VALU_DEP_1) | instskip(NEXT) | instid1(VALU_DEP_1)
	v_add_nc_u32_e32 v6, v10, v6
	v_lshrrev_b32_e32 v7, s10, v6
	s_delay_alu instid0(VALU_DEP_1) | instskip(NEXT) | instid1(VALU_DEP_1)
	v_mul_lo_u32 v6, v7, s8
	v_sub_nc_u32_e32 v6, v10, v6
	s_delay_alu instid0(VALU_DEP_1)
	v_mul_lo_u32 v6, v6, s14
	s_cbranch_vccnz .LBB63_15
; %bb.14:
	v_mul_hi_u32 v20, s16, v7
	s_delay_alu instid0(VALU_DEP_1) | instskip(NEXT) | instid1(VALU_DEP_1)
	v_add_nc_u32_e32 v20, v7, v20
	v_lshrrev_b32_e32 v20, s17, v20
	s_delay_alu instid0(VALU_DEP_1) | instskip(NEXT) | instid1(VALU_DEP_1)
	v_mul_lo_u32 v20, v20, s11
	v_sub_nc_u32_e32 v7, v7, v20
	s_delay_alu instid0(VALU_DEP_1) | instskip(NEXT) | instid1(VALU_DEP_1)
	v_mad_u64_u32 v[20:21], null, v7, s15, v[6:7]
	v_mov_b32_e32 v6, v20
.LBB63_15:
	v_and_b32_e64 v20, 0xff, s47
	s_delay_alu instid0(VALU_DEP_2) | instskip(NEXT) | instid1(VALU_DEP_1)
	v_add_co_u32 v6, s21, s4, v6
	v_add_co_ci_u32_e64 v7, null, s5, 0, s21
	s_delay_alu instid0(VALU_DEP_3)
	v_cmp_gt_i16_e32 vcc_lo, 11, v20
	s_mov_b32 s20, 0
	s_mov_b32 s22, -1
	s_mov_b32 s21, 0
	s_cbranch_vccnz .LBB63_69
; %bb.16:
	v_cmp_lt_i16_e32 vcc_lo, 25, v20
	s_cbranch_vccz .LBB63_44
; %bb.17:
	v_cmp_lt_i16_e32 vcc_lo, 28, v20
	s_cbranch_vccz .LBB63_30
	;; [unrolled: 3-line block ×4, first 2 shown]
; %bb.20:
	v_cmp_eq_u16_e32 vcc_lo, 46, v20
	s_mov_b32 s22, 0
	s_mov_b32 s20, -1
	s_cbranch_vccz .LBB63_22
; %bb.21:
	s_mov_b32 s21, -1
	s_mov_b32 s20, 0
	global_store_b32 v[6:7], v19, off
.LBB63_22:
	s_and_b32 vcc_lo, exec_lo, s22
	s_cbranch_vccz .LBB63_25
; %bb.23:
	v_cmp_eq_u16_e32 vcc_lo, 44, v20
	s_mov_b32 s20, -1
	s_cbranch_vccz .LBB63_25
; %bb.24:
	v_cndmask_b32_e64 v21, v18, 0xff, s0
	s_mov_b32 s21, -1
	s_mov_b32 s20, 0
	global_store_b8 v[6:7], v21, off
.LBB63_25:
	s_mov_b32 s22, 0
.LBB63_26:
	s_delay_alu instid0(SALU_CYCLE_1)
	s_and_b32 vcc_lo, exec_lo, s22
	s_cbranch_vccz .LBB63_29
; %bb.27:
	v_cmp_eq_u16_e32 vcc_lo, 29, v20
	s_mov_b32 s20, -1
	s_cbranch_vccz .LBB63_29
; %bb.28:
	s_mov_b32 s21, -1
	s_mov_b32 s20, 0
	global_store_b64 v[6:7], v[2:3], off
.LBB63_29:
	s_mov_b32 s22, 0
.LBB63_30:
	s_delay_alu instid0(SALU_CYCLE_1)
	s_and_b32 vcc_lo, exec_lo, s22
	s_cbranch_vccz .LBB63_43
; %bb.31:
	v_cmp_gt_i16_e32 vcc_lo, 27, v20
	s_mov_b32 s21, -1
	s_cbranch_vccnz .LBB63_37
; %bb.32:
	v_cmp_lt_i16_e32 vcc_lo, 27, v20
	s_cbranch_vccz .LBB63_34
; %bb.33:
	s_mov_b32 s21, 0
	global_store_b32 v[6:7], v17, off
.LBB63_34:
	s_and_not1_b32 vcc_lo, exec_lo, s21
	s_cbranch_vccnz .LBB63_36
; %bb.35:
	global_store_b16 v[6:7], v17, off
.LBB63_36:
	s_mov_b32 s21, 0
.LBB63_37:
	s_delay_alu instid0(SALU_CYCLE_1)
	s_and_not1_b32 vcc_lo, exec_lo, s21
	s_cbranch_vccnz .LBB63_42
; %bb.38:
	v_mov_b32_e32 v21, 0x80
	s_and_not1_b32 vcc_lo, exec_lo, s45
	s_cbranch_vccnz .LBB63_41
; %bb.39:
	v_mov_b32_e32 v21, 0
	s_or_b32 s21, s43, s46
	s_delay_alu instid0(SALU_CYCLE_1)
	s_and_not1_b32 vcc_lo, exec_lo, s21
	s_cbranch_vccnz .LBB63_41
; %bb.40:
	v_cndmask_b32_e64 v21, v16, s44, s43
	s_delay_alu instid0(VALU_DEP_1)
	v_or_b32_e32 v21, v21, v13
.LBB63_41:
	global_store_b8 v[6:7], v21, off
.LBB63_42:
	s_mov_b32 s21, -1
.LBB63_43:
	s_mov_b32 s22, 0
.LBB63_44:
	s_delay_alu instid0(SALU_CYCLE_1)
	s_and_b32 vcc_lo, exec_lo, s22
	s_cbranch_vccz .LBB63_66
; %bb.45:
	v_cmp_lt_i16_e32 vcc_lo, 22, v20
	s_mov_b32 s22, -1
	s_cbranch_vccz .LBB63_58
; %bb.46:
	v_cmp_gt_i16_e32 vcc_lo, 24, v20
	s_mov_b32 s21, -1
	s_cbranch_vccnz .LBB63_55
; %bb.47:
	v_cmp_lt_i16_e32 vcc_lo, 24, v20
	s_cbranch_vccz .LBB63_52
; %bb.48:
	v_mov_b32_e32 v21, 0x80
	s_and_not1_b32 vcc_lo, exec_lo, s41
	s_cbranch_vccnz .LBB63_51
; %bb.49:
	v_mov_b32_e32 v21, 0
	s_or_b32 s21, s37, s42
	s_delay_alu instid0(SALU_CYCLE_1)
	s_and_not1_b32 vcc_lo, exec_lo, s21
	s_cbranch_vccnz .LBB63_51
; %bb.50:
	v_cndmask_b32_e64 v21, v15, s39, s37
	s_delay_alu instid0(VALU_DEP_1)
	v_or_b32_e32 v21, v21, v13
.LBB63_51:
	s_mov_b32 s21, 0
	global_store_b8 v[6:7], v21, off
.LBB63_52:
	s_and_b32 vcc_lo, exec_lo, s21
	s_cbranch_vccz .LBB63_54
; %bb.53:
	s_and_b32 s21, s36, exec_lo
	s_cselect_b32 s21, s30, s38
	s_and_b32 s22, s34, exec_lo
	s_cselect_b32 s21, s40, s21
	s_delay_alu instid0(SALU_CYCLE_1)
	v_or_b32_e32 v21, s21, v13
	global_store_b8 v[6:7], v21, off
.LBB63_54:
	s_mov_b32 s21, 0
.LBB63_55:
	s_delay_alu instid0(SALU_CYCLE_1)
	s_and_not1_b32 vcc_lo, exec_lo, s21
	s_cbranch_vccnz .LBB63_57
; %bb.56:
	s_and_b32 s21, s31, exec_lo
	s_cselect_b32 s21, s1, s33
	s_and_b32 s22, s29, exec_lo
	s_cselect_b32 s21, s35, s21
	s_delay_alu instid0(SALU_CYCLE_1)
	v_or_b32_e32 v21, s21, v13
	global_store_b8 v[6:7], v21, off
.LBB63_57:
	s_mov_b32 s22, 0
	s_mov_b32 s21, -1
.LBB63_58:
	s_and_not1_b32 vcc_lo, exec_lo, s22
	s_cbranch_vccnz .LBB63_66
; %bb.59:
	v_cmp_lt_i16_e32 vcc_lo, 14, v20
	s_mov_b32 s22, -1
	s_cbranch_vccz .LBB63_63
; %bb.60:
	v_cmp_eq_u16_e32 vcc_lo, 15, v20
	s_mov_b32 s20, -1
	s_cbranch_vccz .LBB63_62
; %bb.61:
	s_mov_b32 s21, -1
	s_mov_b32 s20, 0
	global_store_b16 v[6:7], v14, off
.LBB63_62:
	s_mov_b32 s22, 0
.LBB63_63:
	s_delay_alu instid0(SALU_CYCLE_1)
	s_and_b32 vcc_lo, exec_lo, s22
	s_cbranch_vccz .LBB63_66
; %bb.64:
	v_cmp_eq_u16_e32 vcc_lo, 11, v20
	s_mov_b32 s20, -1
	s_cbranch_vccz .LBB63_66
; %bb.65:
	s_mov_b32 s21, -1
	s_mov_b32 s20, 0
	global_store_b8 v[6:7], v12, off
.LBB63_66:
.LBB63_67:
	s_and_not1_b32 vcc_lo, exec_lo, s21
	s_cbranch_vccnz .LBB63_108
.LBB63_68:
	v_add_nc_u32_e32 v10, 0x80, v10
	s_mov_b32 s21, -1
	s_branch .LBB63_109
.LBB63_69:
	s_and_b32 vcc_lo, exec_lo, s22
	s_cbranch_vccz .LBB63_67
; %bb.70:
	v_cmp_gt_i16_e32 vcc_lo, 5, v20
	s_mov_b32 s21, -1
	s_cbranch_vccnz .LBB63_91
; %bb.71:
	v_cmp_gt_i16_e32 vcc_lo, 8, v20
	s_cbranch_vccnz .LBB63_81
; %bb.72:
	v_cmp_gt_i16_e32 vcc_lo, 9, v20
	s_cbranch_vccnz .LBB63_78
; %bb.73:
	v_cmp_lt_i16_e32 vcc_lo, 9, v20
	s_cbranch_vccz .LBB63_75
; %bb.74:
	v_dual_mov_b32 v21, s6 :: v_dual_mov_b32 v22, s7
	v_dual_mov_b32 v23, s2 :: v_dual_mov_b32 v24, s3
	s_mov_b32 s21, 0
	global_store_b128 v[6:7], v[21:24], off
.LBB63_75:
	s_and_not1_b32 vcc_lo, exec_lo, s21
	s_cbranch_vccnz .LBB63_77
; %bb.76:
	global_store_b64 v[6:7], v[0:1], off
.LBB63_77:
	s_mov_b32 s21, 0
.LBB63_78:
	s_delay_alu instid0(SALU_CYCLE_1)
	s_and_not1_b32 vcc_lo, exec_lo, s21
	s_cbranch_vccnz .LBB63_80
; %bb.79:
	global_store_b32 v[6:7], v11, off
.LBB63_80:
	s_mov_b32 s21, 0
.LBB63_81:
	s_delay_alu instid0(SALU_CYCLE_1)
	s_and_not1_b32 vcc_lo, exec_lo, s21
	s_cbranch_vccnz .LBB63_90
; %bb.82:
	v_cmp_gt_i16_e32 vcc_lo, 6, v20
	s_mov_b32 s21, -1
	s_cbranch_vccnz .LBB63_88
; %bb.83:
	v_cmp_lt_i16_e32 vcc_lo, 6, v20
	s_cbranch_vccz .LBB63_85
; %bb.84:
	v_dual_mov_b32 v22, s7 :: v_dual_mov_b32 v21, s6
	s_mov_b32 s21, 0
	global_store_b64 v[6:7], v[21:22], off
.LBB63_85:
	s_and_not1_b32 vcc_lo, exec_lo, s21
	s_cbranch_vccnz .LBB63_87
; %bb.86:
	global_store_b32 v[6:7], v0, off
.LBB63_87:
	s_mov_b32 s21, 0
.LBB63_88:
	s_delay_alu instid0(SALU_CYCLE_1)
	s_and_not1_b32 vcc_lo, exec_lo, s21
	s_cbranch_vccnz .LBB63_90
; %bb.89:
	global_store_b16 v[6:7], v9, off
.LBB63_90:
	s_mov_b32 s21, 0
.LBB63_91:
	s_delay_alu instid0(SALU_CYCLE_1)
	s_and_not1_b32 vcc_lo, exec_lo, s21
	s_cbranch_vccnz .LBB63_107
; %bb.92:
	v_cmp_gt_i16_e32 vcc_lo, 2, v20
	s_mov_b32 s21, -1
	s_cbranch_vccnz .LBB63_102
; %bb.93:
	v_cmp_gt_i16_e32 vcc_lo, 3, v20
	s_cbranch_vccnz .LBB63_99
; %bb.94:
	v_cmp_lt_i16_e32 vcc_lo, 3, v20
	s_cbranch_vccz .LBB63_96
; %bb.95:
	s_mov_b32 s21, 0
	global_store_b64 v[6:7], v[4:5], off
.LBB63_96:
	s_and_not1_b32 vcc_lo, exec_lo, s21
	s_cbranch_vccnz .LBB63_98
; %bb.97:
	global_store_b32 v[6:7], v8, off
.LBB63_98:
	s_mov_b32 s21, 0
.LBB63_99:
	s_delay_alu instid0(SALU_CYCLE_1)
	s_and_not1_b32 vcc_lo, exec_lo, s21
	s_cbranch_vccnz .LBB63_101
; %bb.100:
	global_store_b16 v[6:7], v8, off
.LBB63_101:
	s_mov_b32 s21, 0
.LBB63_102:
	s_delay_alu instid0(SALU_CYCLE_1)
	s_and_not1_b32 vcc_lo, exec_lo, s21
	s_cbranch_vccnz .LBB63_107
; %bb.103:
	v_cmp_lt_i16_e32 vcc_lo, 0, v20
	s_mov_b32 s21, -1
	s_cbranch_vccz .LBB63_105
; %bb.104:
	s_mov_b32 s21, 0
	global_store_b8 v[6:7], v8, off
.LBB63_105:
	s_and_not1_b32 vcc_lo, exec_lo, s21
	s_cbranch_vccnz .LBB63_107
; %bb.106:
	global_store_b8 v[6:7], v2, off
.LBB63_107:
	s_branch .LBB63_68
.LBB63_108:
	s_mov_b32 s21, 0
                                        ; implicit-def: $vgpr10
.LBB63_109:
	s_and_b32 s52, s20, exec_lo
	s_or_not1_b32 s20, s21, exec_lo
.LBB63_110:
	s_or_b32 exec_lo, exec_lo, s53
	s_mov_b32 s21, 0
                                        ; implicit-def: $vgpr20
                                        ; implicit-def: $vgpr6_vgpr7
	s_and_saveexec_b32 s53, s20
	s_cbranch_execz .LBB63_117
; %bb.111:
	s_mov_b32 s22, -1
	s_mov_b32 s54, s52
	s_mov_b32 s55, exec_lo
	v_cmpx_gt_i32_e64 s49, v10
	s_cbranch_execz .LBB63_364
; %bb.112:
	s_and_not1_b32 vcc_lo, exec_lo, s27
	s_cbranch_vccnz .LBB63_219
; %bb.113:
	v_mov_b32_e32 v6, 0
	s_and_not1_b32 vcc_lo, exec_lo, s51
	s_cbranch_vccnz .LBB63_226
; %bb.114:
	s_add_i32 s56, s50, 1
	s_cmp_eq_u32 s25, 2
	s_mov_b32 s54, 0
	s_cbranch_scc1 .LBB63_222
; %bb.115:
	v_dual_mov_b32 v6, 0 :: v_dual_mov_b32 v7, v10
	s_and_b32 s54, s56, 28
	s_mov_b32 s57, 0
	s_mov_b64 s[20:21], s[12:13]
	s_mov_b64 s[22:23], s[18:19]
.LBB63_116:                             ; =>This Inner Loop Header: Depth=1
	s_clause 0x1
	s_load_b256 s[60:67], s[20:21], 0x4
	s_load_b128 s[68:71], s[20:21], 0x24
	s_load_b128 s[72:75], s[22:23], 0x0
	s_add_u32 s20, s20, 48
	s_addc_u32 s21, s21, 0
	s_add_i32 s57, s57, 4
	s_add_u32 s22, s22, 16
	s_addc_u32 s23, s23, 0
	s_cmp_eq_u32 s54, s57
	s_waitcnt lgkmcnt(0)
	v_mul_hi_u32 v20, s61, v7
	s_delay_alu instid0(VALU_DEP_1) | instskip(NEXT) | instid1(VALU_DEP_1)
	v_add_nc_u32_e32 v20, v7, v20
	v_lshrrev_b32_e32 v20, s62, v20
	s_delay_alu instid0(VALU_DEP_1) | instskip(SKIP_1) | instid1(VALU_DEP_2)
	v_mul_hi_u32 v21, s64, v20
	v_mul_lo_u32 v24, v20, s60
	v_add_nc_u32_e32 v21, v20, v21
	s_delay_alu instid0(VALU_DEP_2) | instskip(NEXT) | instid1(VALU_DEP_2)
	v_sub_nc_u32_e32 v24, v7, v24
	v_lshrrev_b32_e32 v21, s65, v21
	s_delay_alu instid0(VALU_DEP_2) | instskip(NEXT) | instid1(VALU_DEP_2)
	v_mul_lo_u32 v24, v24, s72
	v_mul_hi_u32 v22, s67, v21
	v_mul_lo_u32 v25, v21, s63
	s_delay_alu instid0(VALU_DEP_2) | instskip(NEXT) | instid1(VALU_DEP_2)
	v_add_nc_u32_e32 v22, v21, v22
	v_sub_nc_u32_e32 v20, v20, v25
	s_delay_alu instid0(VALU_DEP_2) | instskip(NEXT) | instid1(VALU_DEP_2)
	v_lshrrev_b32_e32 v22, s68, v22
	v_mul_lo_u32 v20, v20, s73
	s_delay_alu instid0(VALU_DEP_2) | instskip(NEXT) | instid1(VALU_DEP_2)
	v_mul_hi_u32 v23, s70, v22
	v_add3_u32 v6, v24, v6, v20
	s_delay_alu instid0(VALU_DEP_2) | instskip(NEXT) | instid1(VALU_DEP_1)
	v_add_nc_u32_e32 v23, v22, v23
	v_lshrrev_b32_e32 v7, s71, v23
	v_mul_lo_u32 v23, v22, s66
	s_delay_alu instid0(VALU_DEP_2) | instskip(NEXT) | instid1(VALU_DEP_2)
	v_mul_lo_u32 v26, v7, s69
	v_sub_nc_u32_e32 v21, v21, v23
	s_delay_alu instid0(VALU_DEP_2) | instskip(NEXT) | instid1(VALU_DEP_2)
	v_sub_nc_u32_e32 v22, v22, v26
	v_mul_lo_u32 v21, v21, s74
	s_delay_alu instid0(VALU_DEP_2) | instskip(NEXT) | instid1(VALU_DEP_1)
	v_mul_lo_u32 v22, v22, s75
	v_add3_u32 v6, v21, v6, v22
	s_cbranch_scc0 .LBB63_116
	s_branch .LBB63_223
.LBB63_117:
	s_or_b32 exec_lo, exec_lo, s53
	s_mov_b32 s0, 0
	s_and_saveexec_b32 s1, s52
	s_cbranch_execnz .LBB63_682
.LBB63_118:
	s_or_b32 exec_lo, exec_lo, s1
	s_and_saveexec_b32 s1, s54
	s_delay_alu instid0(SALU_CYCLE_1)
	s_xor_b32 s1, exec_lo, s1
	s_cbranch_execz .LBB63_120
.LBB63_119:
	global_store_b8 v[6:7], v12, off
.LBB63_120:
	s_or_b32 exec_lo, exec_lo, s1
	s_and_saveexec_b32 s1, s21
	s_delay_alu instid0(SALU_CYCLE_1)
	s_xor_b32 s1, exec_lo, s1
	s_cbranch_execz .LBB63_158
; %bb.121:
	v_cmp_gt_i16_e32 vcc_lo, 5, v20
	s_mov_b32 s4, -1
	s_cbranch_vccnz .LBB63_142
; %bb.122:
	v_cmp_gt_i16_e32 vcc_lo, 8, v20
	s_cbranch_vccnz .LBB63_132
; %bb.123:
	v_cmp_gt_i16_e32 vcc_lo, 9, v20
	s_cbranch_vccnz .LBB63_129
; %bb.124:
	v_cmp_lt_i16_e32 vcc_lo, 9, v20
	s_cbranch_vccz .LBB63_126
; %bb.125:
	v_dual_mov_b32 v12, s6 :: v_dual_mov_b32 v13, s7
	v_dual_mov_b32 v14, s2 :: v_dual_mov_b32 v15, s3
	s_mov_b32 s4, 0
	global_store_b128 v[6:7], v[12:15], off
.LBB63_126:
	s_and_not1_b32 vcc_lo, exec_lo, s4
	s_cbranch_vccnz .LBB63_128
; %bb.127:
	global_store_b64 v[6:7], v[0:1], off
.LBB63_128:
	s_mov_b32 s4, 0
.LBB63_129:
	s_delay_alu instid0(SALU_CYCLE_1)
	s_and_not1_b32 vcc_lo, exec_lo, s4
	s_cbranch_vccnz .LBB63_131
; %bb.130:
	global_store_b32 v[6:7], v11, off
.LBB63_131:
	s_mov_b32 s4, 0
.LBB63_132:
	s_delay_alu instid0(SALU_CYCLE_1)
	s_and_not1_b32 vcc_lo, exec_lo, s4
	s_cbranch_vccnz .LBB63_141
; %bb.133:
	v_cmp_gt_i16_e32 vcc_lo, 6, v20
	s_mov_b32 s2, -1
	s_cbranch_vccnz .LBB63_139
; %bb.134:
	v_cmp_lt_i16_e32 vcc_lo, 6, v20
	s_cbranch_vccz .LBB63_136
; %bb.135:
	v_dual_mov_b32 v11, s7 :: v_dual_mov_b32 v10, s6
	s_mov_b32 s2, 0
	global_store_b64 v[6:7], v[10:11], off
.LBB63_136:
	s_and_not1_b32 vcc_lo, exec_lo, s2
	s_cbranch_vccnz .LBB63_138
; %bb.137:
	global_store_b32 v[6:7], v0, off
.LBB63_138:
	s_mov_b32 s2, 0
.LBB63_139:
	s_delay_alu instid0(SALU_CYCLE_1)
	s_and_not1_b32 vcc_lo, exec_lo, s2
	s_cbranch_vccnz .LBB63_141
; %bb.140:
	global_store_b16 v[6:7], v9, off
.LBB63_141:
	s_mov_b32 s4, 0
.LBB63_142:
	s_delay_alu instid0(SALU_CYCLE_1)
	s_and_not1_b32 vcc_lo, exec_lo, s4
	s_cbranch_vccnz .LBB63_158
; %bb.143:
	v_cmp_gt_i16_e32 vcc_lo, 2, v20
	s_mov_b32 s2, -1
	s_cbranch_vccnz .LBB63_153
; %bb.144:
	v_cmp_gt_i16_e32 vcc_lo, 3, v20
	s_cbranch_vccnz .LBB63_150
; %bb.145:
	v_cmp_lt_i16_e32 vcc_lo, 3, v20
	s_cbranch_vccz .LBB63_147
; %bb.146:
	s_mov_b32 s2, 0
	global_store_b64 v[6:7], v[4:5], off
.LBB63_147:
	s_and_not1_b32 vcc_lo, exec_lo, s2
	s_cbranch_vccnz .LBB63_149
; %bb.148:
	global_store_b32 v[6:7], v8, off
.LBB63_149:
	s_mov_b32 s2, 0
.LBB63_150:
	s_delay_alu instid0(SALU_CYCLE_1)
	s_and_not1_b32 vcc_lo, exec_lo, s2
	s_cbranch_vccnz .LBB63_152
; %bb.151:
	global_store_b16 v[6:7], v8, off
.LBB63_152:
	s_mov_b32 s2, 0
.LBB63_153:
	s_delay_alu instid0(SALU_CYCLE_1)
	s_and_not1_b32 vcc_lo, exec_lo, s2
	s_cbranch_vccnz .LBB63_158
; %bb.154:
	v_cmp_lt_i16_e32 vcc_lo, 0, v20
	s_mov_b32 s2, -1
	s_cbranch_vccz .LBB63_156
; %bb.155:
	s_mov_b32 s2, 0
	global_store_b8 v[6:7], v8, off
.LBB63_156:
	s_and_not1_b32 vcc_lo, exec_lo, s2
	s_cbranch_vccnz .LBB63_158
; %bb.157:
	global_store_b8 v[6:7], v2, off
.LBB63_158:
	s_or_b32 exec_lo, exec_lo, s1
	s_delay_alu instid0(SALU_CYCLE_1)
	s_and_b32 s6, s0, exec_lo
                                        ; implicit-def: $vgpr4
                                        ; implicit-def: $vgpr10
.LBB63_159:
	s_or_saveexec_b32 s7, s28
	s_mov_b32 s0, 0
                                        ; implicit-def: $sgpr8
                                        ; implicit-def: $vgpr0_vgpr1
                                        ; implicit-def: $sgpr4_sgpr5
                                        ; implicit-def: $sgpr2_sgpr3
	s_xor_b32 exec_lo, exec_lo, s7
	s_cbranch_execz .LBB63_912
; %bb.160:
	v_cndmask_b32_e64 v0, 0, 1, s27
	s_and_not1_b32 vcc_lo, exec_lo, s27
	s_cbranch_vccnz .LBB63_166
; %bb.161:
	v_mov_b32_e32 v3, 0
	s_cmp_eq_u32 s24, 0
	s_mov_b32 s4, 0
	s_cbranch_scc1 .LBB63_170
; %bb.162:
	s_min_u32 s5, s25, 15
	v_mov_b32_e32 v3, 0
	s_add_i32 s5, s5, 1
	s_cmp_eq_u32 s25, 2
	s_mov_b32 s8, 0
	s_cbranch_scc1 .LBB63_167
; %bb.163:
	v_mov_b32_e32 v3, 0
	v_mov_b32_e32 v1, v10
	s_add_u32 s0, s12, 0xc4
	s_addc_u32 s1, s13, 0
	s_and_b32 s8, s5, 28
	s_mov_b32 s9, 0
	s_mov_b64 s[2:3], s[12:13]
.LBB63_164:                             ; =>This Inner Loop Header: Depth=1
	s_clause 0x1
	s_load_b256 s[16:23], s[2:3], 0x4
	s_load_b128 s[28:31], s[2:3], 0x24
	s_load_b128 s[36:39], s[0:1], 0x0
	s_add_u32 s2, s2, 48
	s_addc_u32 s3, s3, 0
	s_add_i32 s9, s9, 4
	s_add_u32 s0, s0, 16
	s_addc_u32 s1, s1, 0
	s_cmp_lg_u32 s8, s9
	s_waitcnt lgkmcnt(0)
	v_mul_hi_u32 v2, s17, v1
	s_delay_alu instid0(VALU_DEP_1) | instskip(NEXT) | instid1(VALU_DEP_1)
	v_add_nc_u32_e32 v2, v1, v2
	v_lshrrev_b32_e32 v2, s18, v2
	s_delay_alu instid0(VALU_DEP_1) | instskip(SKIP_1) | instid1(VALU_DEP_2)
	v_mul_hi_u32 v5, s20, v2
	v_mul_lo_u32 v8, v2, s16
	v_add_nc_u32_e32 v5, v2, v5
	s_delay_alu instid0(VALU_DEP_2) | instskip(NEXT) | instid1(VALU_DEP_2)
	v_sub_nc_u32_e32 v8, v1, v8
	v_lshrrev_b32_e32 v5, s21, v5
	s_delay_alu instid0(VALU_DEP_2) | instskip(NEXT) | instid1(VALU_DEP_2)
	v_mul_lo_u32 v8, v8, s36
	v_mul_hi_u32 v6, s23, v5
	v_mul_lo_u32 v9, v5, s19
	s_delay_alu instid0(VALU_DEP_2) | instskip(NEXT) | instid1(VALU_DEP_2)
	v_add_nc_u32_e32 v6, v5, v6
	v_sub_nc_u32_e32 v2, v2, v9
	s_delay_alu instid0(VALU_DEP_2) | instskip(NEXT) | instid1(VALU_DEP_2)
	v_lshrrev_b32_e32 v6, s28, v6
	v_mul_lo_u32 v2, v2, s37
	s_delay_alu instid0(VALU_DEP_2) | instskip(NEXT) | instid1(VALU_DEP_2)
	v_mul_hi_u32 v7, s30, v6
	v_add3_u32 v2, v8, v3, v2
	s_delay_alu instid0(VALU_DEP_2) | instskip(NEXT) | instid1(VALU_DEP_1)
	v_add_nc_u32_e32 v7, v6, v7
	v_lshrrev_b32_e32 v1, s31, v7
	v_mul_lo_u32 v7, v6, s22
	s_delay_alu instid0(VALU_DEP_2) | instskip(NEXT) | instid1(VALU_DEP_2)
	v_mul_lo_u32 v11, v1, s29
	v_sub_nc_u32_e32 v5, v5, v7
	s_delay_alu instid0(VALU_DEP_2) | instskip(NEXT) | instid1(VALU_DEP_2)
	v_sub_nc_u32_e32 v6, v6, v11
	v_mul_lo_u32 v5, v5, s38
	s_delay_alu instid0(VALU_DEP_2) | instskip(NEXT) | instid1(VALU_DEP_1)
	v_mul_lo_u32 v6, v6, s39
	v_add3_u32 v3, v5, v2, v6
	s_cbranch_scc1 .LBB63_164
; %bb.165:
	s_and_b32 s5, s5, 3
	s_delay_alu instid0(SALU_CYCLE_1)
	s_cmp_eq_u32 s5, 0
	s_cbranch_scc0 .LBB63_168
	s_branch .LBB63_170
.LBB63_166:
	s_mov_b32 s4, -1
                                        ; implicit-def: $vgpr3
	s_branch .LBB63_170
.LBB63_167:
	v_mov_b32_e32 v1, v10
	s_and_b32 s5, s5, 3
	s_delay_alu instid0(SALU_CYCLE_1)
	s_cmp_eq_u32 s5, 0
	s_cbranch_scc1 .LBB63_170
.LBB63_168:
	s_lshl_b32 s0, s8, 2
	s_mul_i32 s2, s8, 12
	s_add_u32 s0, s0, s12
	s_addc_u32 s1, 0, s13
	s_add_u32 s0, s0, 0xc4
	s_addc_u32 s1, s1, 0
	;; [unrolled: 2-line block ×3, first 2 shown]
	.p2align	6
.LBB63_169:                             ; =>This Inner Loop Header: Depth=1
	s_clause 0x1
	s_load_b64 s[8:9], s[2:3], 0x4
	s_load_b32 s10, s[2:3], 0xc
	s_add_u32 s2, s2, 12
	s_addc_u32 s3, s3, 0
	s_waitcnt lgkmcnt(0)
	v_mul_hi_u32 v2, s9, v1
	s_load_b32 s9, s[0:1], 0x0
	s_add_u32 s0, s0, 4
	s_addc_u32 s1, s1, 0
	s_add_i32 s5, s5, -1
	s_delay_alu instid0(SALU_CYCLE_1) | instskip(NEXT) | instid1(VALU_DEP_1)
	s_cmp_lg_u32 s5, 0
	v_add_nc_u32_e32 v2, v1, v2
	s_delay_alu instid0(VALU_DEP_1) | instskip(NEXT) | instid1(VALU_DEP_1)
	v_lshrrev_b32_e32 v2, s10, v2
	v_mul_lo_u32 v5, v2, s8
	s_delay_alu instid0(VALU_DEP_1) | instskip(SKIP_1) | instid1(VALU_DEP_1)
	v_sub_nc_u32_e32 v1, v1, v5
	s_waitcnt lgkmcnt(0)
	v_mad_u64_u32 v[5:6], null, v1, s9, v[3:4]
	v_mov_b32_e32 v1, v2
	s_delay_alu instid0(VALU_DEP_2)
	v_mov_b32_e32 v3, v5
	s_cbranch_scc1 .LBB63_169
.LBB63_170:
	s_and_not1_b32 vcc_lo, exec_lo, s4
	s_cbranch_vccnz .LBB63_173
; %bb.171:
	s_load_b128 s[0:3], s[12:13], 0x4
	s_waitcnt lgkmcnt(0)
	s_load_b32 s3, s[12:13], 0xc4
	s_cmp_lt_u32 s24, 2
	v_mul_hi_u32 v1, s1, v10
	s_delay_alu instid0(VALU_DEP_1) | instskip(NEXT) | instid1(VALU_DEP_1)
	v_add_nc_u32_e32 v1, v10, v1
	v_lshrrev_b32_e32 v1, s2, v1
	s_delay_alu instid0(VALU_DEP_1) | instskip(NEXT) | instid1(VALU_DEP_1)
	v_mul_lo_u32 v2, v1, s0
	v_sub_nc_u32_e32 v2, v10, v2
	s_waitcnt lgkmcnt(0)
	s_delay_alu instid0(VALU_DEP_1)
	v_mul_lo_u32 v3, v2, s3
	s_cbranch_scc1 .LBB63_173
; %bb.172:
	s_load_b128 s[0:3], s[12:13], 0x10
	s_waitcnt lgkmcnt(0)
	s_load_b32 s3, s[12:13], 0xc8
	v_mul_hi_u32 v2, s1, v1
	s_delay_alu instid0(VALU_DEP_1) | instskip(NEXT) | instid1(VALU_DEP_1)
	v_add_nc_u32_e32 v2, v1, v2
	v_lshrrev_b32_e32 v2, s2, v2
	s_delay_alu instid0(VALU_DEP_1) | instskip(NEXT) | instid1(VALU_DEP_1)
	v_mul_lo_u32 v2, v2, s0
	v_sub_nc_u32_e32 v5, v1, v2
	s_waitcnt lgkmcnt(0)
	s_delay_alu instid0(VALU_DEP_1) | instskip(NEXT) | instid1(VALU_DEP_1)
	v_mad_u64_u32 v[1:2], null, v5, s3, v[3:4]
	v_mov_b32_e32 v3, v1
.LBB63_173:
	v_cmp_ne_u32_e32 vcc_lo, 1, v0
	v_add_nc_u32_e32 v1, 0x80, v10
	s_cbranch_vccnz .LBB63_179
; %bb.174:
	v_mov_b32_e32 v2, 0
	s_cmp_eq_u32 s24, 0
	s_mov_b32 s4, 0
	s_cbranch_scc1 .LBB63_183
; %bb.175:
	s_min_u32 s5, s25, 15
	v_mov_b32_e32 v2, 0
	s_add_i32 s5, s5, 1
	s_cmp_eq_u32 s25, 2
	s_mov_b32 s8, 0
	s_cbranch_scc1 .LBB63_180
; %bb.176:
	v_dual_mov_b32 v2, 0 :: v_dual_mov_b32 v5, v1
	s_add_u32 s0, s12, 0xc4
	s_addc_u32 s1, s13, 0
	s_and_b32 s8, s5, 28
	s_mov_b32 s9, 0
	s_mov_b64 s[2:3], s[12:13]
.LBB63_177:                             ; =>This Inner Loop Header: Depth=1
	s_clause 0x1
	s_load_b256 s[16:23], s[2:3], 0x4
	s_load_b128 s[28:31], s[2:3], 0x24
	s_load_b128 s[36:39], s[0:1], 0x0
	s_add_u32 s2, s2, 48
	s_addc_u32 s3, s3, 0
	s_add_i32 s9, s9, 4
	s_add_u32 s0, s0, 16
	s_addc_u32 s1, s1, 0
	s_cmp_lg_u32 s8, s9
	s_waitcnt lgkmcnt(0)
	v_mul_hi_u32 v6, s17, v5
	s_delay_alu instid0(VALU_DEP_1) | instskip(NEXT) | instid1(VALU_DEP_1)
	v_add_nc_u32_e32 v6, v5, v6
	v_lshrrev_b32_e32 v6, s18, v6
	s_delay_alu instid0(VALU_DEP_1) | instskip(SKIP_1) | instid1(VALU_DEP_2)
	v_mul_hi_u32 v7, s20, v6
	v_mul_lo_u32 v11, v6, s16
	v_add_nc_u32_e32 v7, v6, v7
	s_delay_alu instid0(VALU_DEP_2) | instskip(NEXT) | instid1(VALU_DEP_2)
	v_sub_nc_u32_e32 v11, v5, v11
	v_lshrrev_b32_e32 v7, s21, v7
	s_delay_alu instid0(VALU_DEP_2) | instskip(NEXT) | instid1(VALU_DEP_2)
	v_mul_lo_u32 v11, v11, s36
	v_mul_hi_u32 v8, s23, v7
	v_mul_lo_u32 v12, v7, s19
	s_delay_alu instid0(VALU_DEP_2) | instskip(NEXT) | instid1(VALU_DEP_2)
	v_add_nc_u32_e32 v8, v7, v8
	v_sub_nc_u32_e32 v6, v6, v12
	s_delay_alu instid0(VALU_DEP_2) | instskip(NEXT) | instid1(VALU_DEP_2)
	v_lshrrev_b32_e32 v8, s28, v8
	v_mul_lo_u32 v6, v6, s37
	s_delay_alu instid0(VALU_DEP_2) | instskip(NEXT) | instid1(VALU_DEP_2)
	v_mul_hi_u32 v9, s30, v8
	v_add3_u32 v2, v11, v2, v6
	s_delay_alu instid0(VALU_DEP_2) | instskip(NEXT) | instid1(VALU_DEP_1)
	v_add_nc_u32_e32 v9, v8, v9
	v_lshrrev_b32_e32 v5, s31, v9
	v_mul_lo_u32 v9, v8, s22
	s_delay_alu instid0(VALU_DEP_2) | instskip(NEXT) | instid1(VALU_DEP_2)
	v_mul_lo_u32 v13, v5, s29
	v_sub_nc_u32_e32 v7, v7, v9
	s_delay_alu instid0(VALU_DEP_2) | instskip(NEXT) | instid1(VALU_DEP_2)
	v_sub_nc_u32_e32 v8, v8, v13
	v_mul_lo_u32 v7, v7, s38
	s_delay_alu instid0(VALU_DEP_2) | instskip(NEXT) | instid1(VALU_DEP_1)
	v_mul_lo_u32 v8, v8, s39
	v_add3_u32 v2, v7, v2, v8
	s_cbranch_scc1 .LBB63_177
; %bb.178:
	s_and_b32 s5, s5, 3
	s_delay_alu instid0(SALU_CYCLE_1)
	s_cmp_eq_u32 s5, 0
	s_cbranch_scc0 .LBB63_181
	s_branch .LBB63_183
.LBB63_179:
	s_mov_b32 s4, -1
                                        ; implicit-def: $vgpr2
	s_branch .LBB63_183
.LBB63_180:
	v_mov_b32_e32 v5, v1
	s_and_b32 s5, s5, 3
	s_delay_alu instid0(SALU_CYCLE_1)
	s_cmp_eq_u32 s5, 0
	s_cbranch_scc1 .LBB63_183
.LBB63_181:
	s_lshl_b32 s0, s8, 2
	s_mul_i32 s2, s8, 12
	s_add_u32 s0, s0, s12
	s_addc_u32 s1, 0, s13
	s_add_u32 s0, s0, 0xc4
	s_addc_u32 s1, s1, 0
	;; [unrolled: 2-line block ×3, first 2 shown]
	.p2align	6
.LBB63_182:                             ; =>This Inner Loop Header: Depth=1
	s_clause 0x1
	s_load_b64 s[8:9], s[2:3], 0x4
	s_load_b32 s10, s[2:3], 0xc
	s_add_u32 s2, s2, 12
	s_addc_u32 s3, s3, 0
	s_waitcnt lgkmcnt(0)
	v_mul_hi_u32 v6, s9, v5
	s_load_b32 s9, s[0:1], 0x0
	s_add_u32 s0, s0, 4
	s_addc_u32 s1, s1, 0
	s_add_i32 s5, s5, -1
	s_delay_alu instid0(SALU_CYCLE_1) | instskip(NEXT) | instid1(VALU_DEP_1)
	s_cmp_lg_u32 s5, 0
	v_add_nc_u32_e32 v6, v5, v6
	s_delay_alu instid0(VALU_DEP_1) | instskip(NEXT) | instid1(VALU_DEP_1)
	v_lshrrev_b32_e32 v8, s10, v6
	v_mul_lo_u32 v6, v8, s8
	s_delay_alu instid0(VALU_DEP_1) | instskip(SKIP_1) | instid1(VALU_DEP_1)
	v_sub_nc_u32_e32 v5, v5, v6
	s_waitcnt lgkmcnt(0)
	v_mad_u64_u32 v[6:7], null, v5, s9, v[2:3]
	s_delay_alu instid0(VALU_DEP_1)
	v_dual_mov_b32 v5, v8 :: v_dual_mov_b32 v2, v6
	s_cbranch_scc1 .LBB63_182
.LBB63_183:
	s_and_not1_b32 vcc_lo, exec_lo, s4
	s_cbranch_vccnz .LBB63_186
; %bb.184:
	s_load_b128 s[0:3], s[12:13], 0x4
	s_waitcnt lgkmcnt(0)
	s_load_b32 s3, s[12:13], 0xc4
	s_cmp_lt_u32 s24, 2
	v_mul_hi_u32 v2, s1, v1
	s_delay_alu instid0(VALU_DEP_1) | instskip(NEXT) | instid1(VALU_DEP_1)
	v_add_nc_u32_e32 v2, v1, v2
	v_lshrrev_b32_e32 v5, s2, v2
	s_delay_alu instid0(VALU_DEP_1) | instskip(NEXT) | instid1(VALU_DEP_1)
	v_mul_lo_u32 v2, v5, s0
	v_sub_nc_u32_e32 v1, v1, v2
	s_waitcnt lgkmcnt(0)
	s_delay_alu instid0(VALU_DEP_1)
	v_mul_lo_u32 v2, v1, s3
	s_cbranch_scc1 .LBB63_186
; %bb.185:
	s_load_b128 s[0:3], s[12:13], 0x10
	s_waitcnt lgkmcnt(0)
	s_load_b32 s3, s[12:13], 0xc8
	v_mul_hi_u32 v1, s1, v5
	s_delay_alu instid0(VALU_DEP_1) | instskip(NEXT) | instid1(VALU_DEP_1)
	v_add_nc_u32_e32 v1, v5, v1
	v_lshrrev_b32_e32 v1, s2, v1
	s_delay_alu instid0(VALU_DEP_1) | instskip(NEXT) | instid1(VALU_DEP_1)
	v_mul_lo_u32 v1, v1, s0
	v_sub_nc_u32_e32 v1, v5, v1
	s_waitcnt lgkmcnt(0)
	s_delay_alu instid0(VALU_DEP_1) | instskip(NEXT) | instid1(VALU_DEP_1)
	v_mad_u64_u32 v[5:6], null, v1, s3, v[2:3]
	v_mov_b32_e32 v2, v5
.LBB63_186:
	v_cmp_ne_u32_e32 vcc_lo, 1, v0
	v_add_nc_u32_e32 v5, 0x100, v10
	s_cbranch_vccnz .LBB63_192
; %bb.187:
	v_mov_b32_e32 v1, 0
	s_cmp_eq_u32 s24, 0
	s_mov_b32 s4, 0
	s_cbranch_scc1 .LBB63_196
; %bb.188:
	s_min_u32 s5, s25, 15
	v_mov_b32_e32 v1, 0
	s_add_i32 s5, s5, 1
	s_cmp_eq_u32 s25, 2
	s_mov_b32 s8, 0
	s_cbranch_scc1 .LBB63_193
; %bb.189:
	v_dual_mov_b32 v1, 0 :: v_dual_mov_b32 v6, v5
	s_add_u32 s0, s12, 0xc4
	s_addc_u32 s1, s13, 0
	s_and_b32 s8, s5, 28
	s_mov_b32 s9, 0
	s_mov_b64 s[2:3], s[12:13]
.LBB63_190:                             ; =>This Inner Loop Header: Depth=1
	s_clause 0x1
	s_load_b256 s[16:23], s[2:3], 0x4
	s_load_b128 s[28:31], s[2:3], 0x24
	s_load_b128 s[36:39], s[0:1], 0x0
	s_add_u32 s2, s2, 48
	s_addc_u32 s3, s3, 0
	s_add_i32 s9, s9, 4
	s_add_u32 s0, s0, 16
	s_addc_u32 s1, s1, 0
	s_cmp_lg_u32 s8, s9
	s_waitcnt lgkmcnt(0)
	v_mul_hi_u32 v7, s17, v6
	s_delay_alu instid0(VALU_DEP_1) | instskip(NEXT) | instid1(VALU_DEP_1)
	v_add_nc_u32_e32 v7, v6, v7
	v_lshrrev_b32_e32 v7, s18, v7
	s_delay_alu instid0(VALU_DEP_1) | instskip(SKIP_1) | instid1(VALU_DEP_2)
	v_mul_hi_u32 v8, s20, v7
	v_mul_lo_u32 v11, v7, s16
	v_add_nc_u32_e32 v8, v7, v8
	s_delay_alu instid0(VALU_DEP_2) | instskip(NEXT) | instid1(VALU_DEP_2)
	v_sub_nc_u32_e32 v11, v6, v11
	v_lshrrev_b32_e32 v8, s21, v8
	s_delay_alu instid0(VALU_DEP_2) | instskip(NEXT) | instid1(VALU_DEP_2)
	v_mul_lo_u32 v11, v11, s36
	v_mul_hi_u32 v9, s23, v8
	v_mul_lo_u32 v12, v8, s19
	s_delay_alu instid0(VALU_DEP_2) | instskip(NEXT) | instid1(VALU_DEP_2)
	v_add_nc_u32_e32 v9, v8, v9
	v_sub_nc_u32_e32 v7, v7, v12
	s_delay_alu instid0(VALU_DEP_2) | instskip(NEXT) | instid1(VALU_DEP_2)
	v_lshrrev_b32_e32 v9, s28, v9
	v_mul_lo_u32 v7, v7, s37
	s_delay_alu instid0(VALU_DEP_2) | instskip(NEXT) | instid1(VALU_DEP_2)
	v_mul_hi_u32 v10, s30, v9
	v_add3_u32 v1, v11, v1, v7
	s_delay_alu instid0(VALU_DEP_2) | instskip(NEXT) | instid1(VALU_DEP_1)
	v_add_nc_u32_e32 v10, v9, v10
	v_lshrrev_b32_e32 v6, s31, v10
	v_mul_lo_u32 v10, v9, s22
	s_delay_alu instid0(VALU_DEP_2) | instskip(NEXT) | instid1(VALU_DEP_2)
	v_mul_lo_u32 v13, v6, s29
	v_sub_nc_u32_e32 v8, v8, v10
	s_delay_alu instid0(VALU_DEP_2) | instskip(NEXT) | instid1(VALU_DEP_2)
	v_sub_nc_u32_e32 v9, v9, v13
	v_mul_lo_u32 v8, v8, s38
	s_delay_alu instid0(VALU_DEP_2) | instskip(NEXT) | instid1(VALU_DEP_1)
	v_mul_lo_u32 v9, v9, s39
	v_add3_u32 v1, v8, v1, v9
	s_cbranch_scc1 .LBB63_190
; %bb.191:
	s_and_b32 s5, s5, 3
	s_delay_alu instid0(SALU_CYCLE_1)
	s_cmp_eq_u32 s5, 0
	s_cbranch_scc0 .LBB63_194
	s_branch .LBB63_196
.LBB63_192:
	s_mov_b32 s4, -1
                                        ; implicit-def: $vgpr1
	s_branch .LBB63_196
.LBB63_193:
	v_mov_b32_e32 v6, v5
	s_and_b32 s5, s5, 3
	s_delay_alu instid0(SALU_CYCLE_1)
	s_cmp_eq_u32 s5, 0
	s_cbranch_scc1 .LBB63_196
.LBB63_194:
	s_lshl_b32 s0, s8, 2
	s_mul_i32 s2, s8, 12
	s_add_u32 s0, s0, s12
	s_addc_u32 s1, 0, s13
	s_add_u32 s0, s0, 0xc4
	s_addc_u32 s1, s1, 0
	;; [unrolled: 2-line block ×3, first 2 shown]
	.p2align	6
.LBB63_195:                             ; =>This Inner Loop Header: Depth=1
	s_clause 0x1
	s_load_b64 s[8:9], s[2:3], 0x4
	s_load_b32 s10, s[2:3], 0xc
	s_add_u32 s2, s2, 12
	s_addc_u32 s3, s3, 0
	s_waitcnt lgkmcnt(0)
	v_mul_hi_u32 v7, s9, v6
	s_load_b32 s9, s[0:1], 0x0
	s_add_u32 s0, s0, 4
	s_addc_u32 s1, s1, 0
	s_add_i32 s5, s5, -1
	s_delay_alu instid0(SALU_CYCLE_1) | instskip(NEXT) | instid1(VALU_DEP_1)
	s_cmp_lg_u32 s5, 0
	v_add_nc_u32_e32 v7, v6, v7
	s_delay_alu instid0(VALU_DEP_1) | instskip(NEXT) | instid1(VALU_DEP_1)
	v_lshrrev_b32_e32 v9, s10, v7
	v_mul_lo_u32 v7, v9, s8
	s_delay_alu instid0(VALU_DEP_1) | instskip(SKIP_1) | instid1(VALU_DEP_1)
	v_sub_nc_u32_e32 v6, v6, v7
	s_waitcnt lgkmcnt(0)
	v_mad_u64_u32 v[7:8], null, v6, s9, v[1:2]
	s_delay_alu instid0(VALU_DEP_1)
	v_dual_mov_b32 v6, v9 :: v_dual_mov_b32 v1, v7
	s_cbranch_scc1 .LBB63_195
.LBB63_196:
	s_and_not1_b32 vcc_lo, exec_lo, s4
	s_cbranch_vccnz .LBB63_199
; %bb.197:
	s_load_b128 s[0:3], s[12:13], 0x4
	s_waitcnt lgkmcnt(0)
	s_load_b32 s3, s[12:13], 0xc4
	s_cmp_lt_u32 s24, 2
	v_mul_hi_u32 v1, s1, v5
	s_delay_alu instid0(VALU_DEP_1) | instskip(NEXT) | instid1(VALU_DEP_1)
	v_add_nc_u32_e32 v1, v5, v1
	v_lshrrev_b32_e32 v6, s2, v1
	s_delay_alu instid0(VALU_DEP_1) | instskip(NEXT) | instid1(VALU_DEP_1)
	v_mul_lo_u32 v1, v6, s0
	v_sub_nc_u32_e32 v1, v5, v1
	s_waitcnt lgkmcnt(0)
	s_delay_alu instid0(VALU_DEP_1)
	v_mul_lo_u32 v1, v1, s3
	s_cbranch_scc1 .LBB63_199
; %bb.198:
	s_load_b128 s[0:3], s[12:13], 0x10
	s_waitcnt lgkmcnt(0)
	s_load_b32 s3, s[12:13], 0xc8
	v_mul_hi_u32 v5, s1, v6
	s_delay_alu instid0(VALU_DEP_1) | instskip(NEXT) | instid1(VALU_DEP_1)
	v_add_nc_u32_e32 v5, v6, v5
	v_lshrrev_b32_e32 v5, s2, v5
	s_delay_alu instid0(VALU_DEP_1) | instskip(NEXT) | instid1(VALU_DEP_1)
	v_mul_lo_u32 v5, v5, s0
	v_sub_nc_u32_e32 v7, v6, v5
	s_waitcnt lgkmcnt(0)
	s_delay_alu instid0(VALU_DEP_1) | instskip(NEXT) | instid1(VALU_DEP_1)
	v_mad_u64_u32 v[5:6], null, v7, s3, v[1:2]
	v_mov_b32_e32 v1, v5
.LBB63_199:
	v_cmp_ne_u32_e32 vcc_lo, 1, v0
	s_cbranch_vccnz .LBB63_205
; %bb.200:
	v_mov_b32_e32 v0, 0
	s_cmp_eq_u32 s24, 0
	s_mov_b32 s4, 0
	s_cbranch_scc1 .LBB63_209
; %bb.201:
	s_min_u32 s5, s25, 15
	v_mov_b32_e32 v0, 0
	s_add_i32 s5, s5, 1
	s_cmp_eq_u32 s25, 2
	s_mov_b32 s8, 0
	s_cbranch_scc1 .LBB63_206
; %bb.202:
	v_dual_mov_b32 v0, 0 :: v_dual_mov_b32 v5, v4
	s_add_u32 s0, s12, 0xc4
	s_addc_u32 s1, s13, 0
	s_and_b32 s8, s5, 28
	s_mov_b32 s9, 0
	s_mov_b64 s[2:3], s[12:13]
.LBB63_203:                             ; =>This Inner Loop Header: Depth=1
	s_clause 0x1
	s_load_b256 s[16:23], s[2:3], 0x4
	s_load_b128 s[28:31], s[2:3], 0x24
	s_load_b128 s[36:39], s[0:1], 0x0
	s_add_u32 s2, s2, 48
	s_addc_u32 s3, s3, 0
	s_add_i32 s9, s9, 4
	s_add_u32 s0, s0, 16
	s_addc_u32 s1, s1, 0
	s_cmp_lg_u32 s8, s9
	s_waitcnt lgkmcnt(0)
	v_mul_hi_u32 v6, s17, v5
	s_delay_alu instid0(VALU_DEP_1) | instskip(NEXT) | instid1(VALU_DEP_1)
	v_add_nc_u32_e32 v6, v5, v6
	v_lshrrev_b32_e32 v6, s18, v6
	s_delay_alu instid0(VALU_DEP_1) | instskip(SKIP_1) | instid1(VALU_DEP_2)
	v_mul_hi_u32 v7, s20, v6
	v_mul_lo_u32 v10, v6, s16
	v_add_nc_u32_e32 v7, v6, v7
	s_delay_alu instid0(VALU_DEP_2) | instskip(NEXT) | instid1(VALU_DEP_2)
	v_sub_nc_u32_e32 v10, v5, v10
	v_lshrrev_b32_e32 v7, s21, v7
	s_delay_alu instid0(VALU_DEP_2) | instskip(NEXT) | instid1(VALU_DEP_2)
	v_mul_lo_u32 v10, v10, s36
	v_mul_hi_u32 v8, s23, v7
	v_mul_lo_u32 v11, v7, s19
	s_delay_alu instid0(VALU_DEP_2) | instskip(NEXT) | instid1(VALU_DEP_2)
	v_add_nc_u32_e32 v8, v7, v8
	v_sub_nc_u32_e32 v6, v6, v11
	s_delay_alu instid0(VALU_DEP_2) | instskip(NEXT) | instid1(VALU_DEP_2)
	v_lshrrev_b32_e32 v8, s28, v8
	v_mul_lo_u32 v6, v6, s37
	s_delay_alu instid0(VALU_DEP_2) | instskip(NEXT) | instid1(VALU_DEP_2)
	v_mul_hi_u32 v9, s30, v8
	v_add3_u32 v0, v10, v0, v6
	s_delay_alu instid0(VALU_DEP_2) | instskip(NEXT) | instid1(VALU_DEP_1)
	v_add_nc_u32_e32 v9, v8, v9
	v_lshrrev_b32_e32 v5, s31, v9
	v_mul_lo_u32 v9, v8, s22
	s_delay_alu instid0(VALU_DEP_2) | instskip(NEXT) | instid1(VALU_DEP_2)
	v_mul_lo_u32 v12, v5, s29
	v_sub_nc_u32_e32 v7, v7, v9
	s_delay_alu instid0(VALU_DEP_2) | instskip(NEXT) | instid1(VALU_DEP_2)
	v_sub_nc_u32_e32 v8, v8, v12
	v_mul_lo_u32 v7, v7, s38
	s_delay_alu instid0(VALU_DEP_2) | instskip(NEXT) | instid1(VALU_DEP_1)
	v_mul_lo_u32 v8, v8, s39
	v_add3_u32 v0, v7, v0, v8
	s_cbranch_scc1 .LBB63_203
; %bb.204:
	s_and_b32 s5, s5, 3
	s_delay_alu instid0(SALU_CYCLE_1)
	s_cmp_eq_u32 s5, 0
	s_cbranch_scc0 .LBB63_207
	s_branch .LBB63_209
.LBB63_205:
	s_mov_b32 s4, -1
                                        ; implicit-def: $vgpr0
	s_branch .LBB63_209
.LBB63_206:
	v_mov_b32_e32 v5, v4
	s_and_b32 s5, s5, 3
	s_delay_alu instid0(SALU_CYCLE_1)
	s_cmp_eq_u32 s5, 0
	s_cbranch_scc1 .LBB63_209
.LBB63_207:
	s_lshl_b32 s0, s8, 2
	s_mul_i32 s2, s8, 12
	s_add_u32 s0, s0, s12
	s_addc_u32 s1, 0, s13
	s_add_u32 s0, s0, 0xc4
	s_addc_u32 s1, s1, 0
	;; [unrolled: 2-line block ×3, first 2 shown]
	.p2align	6
.LBB63_208:                             ; =>This Inner Loop Header: Depth=1
	s_clause 0x1
	s_load_b64 s[8:9], s[2:3], 0x4
	s_load_b32 s10, s[2:3], 0xc
	s_add_u32 s2, s2, 12
	s_addc_u32 s3, s3, 0
	s_waitcnt lgkmcnt(0)
	v_mul_hi_u32 v6, s9, v5
	s_load_b32 s9, s[0:1], 0x0
	s_add_u32 s0, s0, 4
	s_addc_u32 s1, s1, 0
	s_add_i32 s5, s5, -1
	s_delay_alu instid0(SALU_CYCLE_1) | instskip(NEXT) | instid1(VALU_DEP_1)
	s_cmp_lg_u32 s5, 0
	v_add_nc_u32_e32 v6, v5, v6
	s_delay_alu instid0(VALU_DEP_1) | instskip(NEXT) | instid1(VALU_DEP_1)
	v_lshrrev_b32_e32 v8, s10, v6
	v_mul_lo_u32 v6, v8, s8
	s_delay_alu instid0(VALU_DEP_1) | instskip(SKIP_1) | instid1(VALU_DEP_1)
	v_sub_nc_u32_e32 v5, v5, v6
	s_waitcnt lgkmcnt(0)
	v_mad_u64_u32 v[6:7], null, v5, s9, v[0:1]
	s_delay_alu instid0(VALU_DEP_1)
	v_dual_mov_b32 v5, v8 :: v_dual_mov_b32 v0, v6
	s_cbranch_scc1 .LBB63_208
.LBB63_209:
	s_and_not1_b32 vcc_lo, exec_lo, s4
	s_cbranch_vccnz .LBB63_212
; %bb.210:
	s_load_b128 s[0:3], s[12:13], 0x4
	s_waitcnt lgkmcnt(0)
	s_load_b32 s3, s[12:13], 0xc4
	s_cmp_lt_u32 s24, 2
	v_mul_hi_u32 v0, s1, v4
	s_delay_alu instid0(VALU_DEP_1) | instskip(NEXT) | instid1(VALU_DEP_1)
	v_add_nc_u32_e32 v0, v4, v0
	v_lshrrev_b32_e32 v5, s2, v0
	s_delay_alu instid0(VALU_DEP_1) | instskip(NEXT) | instid1(VALU_DEP_1)
	v_mul_lo_u32 v0, v5, s0
	v_sub_nc_u32_e32 v0, v4, v0
	s_waitcnt lgkmcnt(0)
	s_delay_alu instid0(VALU_DEP_1)
	v_mul_lo_u32 v0, v0, s3
	s_cbranch_scc1 .LBB63_212
; %bb.211:
	s_load_b128 s[0:3], s[12:13], 0x10
	s_waitcnt lgkmcnt(0)
	s_load_b32 s3, s[12:13], 0xc8
	v_mul_hi_u32 v4, s1, v5
	s_delay_alu instid0(VALU_DEP_1) | instskip(NEXT) | instid1(VALU_DEP_1)
	v_add_nc_u32_e32 v4, v5, v4
	v_lshrrev_b32_e32 v4, s2, v4
	s_delay_alu instid0(VALU_DEP_1) | instskip(NEXT) | instid1(VALU_DEP_1)
	v_mul_lo_u32 v4, v4, s0
	v_sub_nc_u32_e32 v6, v5, v4
	s_waitcnt lgkmcnt(0)
	s_delay_alu instid0(VALU_DEP_1) | instskip(NEXT) | instid1(VALU_DEP_1)
	v_mad_u64_u32 v[4:5], null, v6, s3, v[0:1]
	v_mov_b32_e32 v0, v4
.LBB63_212:
	s_clause 0x2
	s_load_b32 s8, s[12:13], 0x120
	s_load_b128 s[0:3], s[12:13], 0x108
	s_load_b64 s[4:5], s[12:13], 0x118
	s_mov_b32 s11, 0
	s_waitcnt lgkmcnt(0)
	s_and_b32 s8, s8, 0xff
	v_add_co_u32 v3, s10, s0, v3
	v_cmp_lt_i16_e64 s9, s8, 11
	v_add_co_ci_u32_e64 v4, null, s1, 0, s10
	s_mov_b32 s10, -1
	s_delay_alu instid0(VALU_DEP_2)
	s_and_b32 vcc_lo, exec_lo, s9
	s_mov_b32 s9, s6
	s_cbranch_vccnz .LBB63_473
; %bb.213:
	v_cmp_gt_i16_e64 s9, s8, 25
	s_mov_b32 s12, -1
	s_mov_b32 s10, 0
	s_delay_alu instid0(VALU_DEP_1)
	s_and_b32 vcc_lo, exec_lo, s9
	s_mov_b32 s9, 0
	s_cbranch_vccz .LBB63_308
; %bb.214:
	v_cmp_gt_i16_e64 s9, s8, 28
	s_delay_alu instid0(VALU_DEP_1)
	s_and_b32 vcc_lo, exec_lo, s9
	s_cbranch_vccz .LBB63_220
; %bb.215:
	v_cmp_gt_i16_e64 s9, s8, 43
	s_delay_alu instid0(VALU_DEP_1)
	s_and_b32 vcc_lo, exec_lo, s9
	;; [unrolled: 5-line block ×3, first 2 shown]
	s_cbranch_vccz .LBB63_278
; %bb.217:
	v_cmp_eq_u16_e64 s11, s8, 46
	s_mov_b32 s9, -1
	s_mov_b32 s12, 0
	s_delay_alu instid0(VALU_DEP_1)
	s_and_b32 vcc_lo, exec_lo, s11
	s_mov_b32 s11, 0
	s_cbranch_vccz .LBB63_279
; %bb.218:
	v_cvt_f32_f64_e32 v6, s[2:3]
	v_cvt_f32_f64_e32 v5, s[4:5]
	s_mov_b32 s9, 0
	s_mov_b32 s11, -1
	s_delay_alu instid0(VALU_DEP_2) | instskip(NEXT) | instid1(VALU_DEP_2)
	v_bfe_u32 v8, v6, 16, 1
	v_cmp_o_f32_e32 vcc_lo, v5, v5
	v_bfe_u32 v7, v5, 16, 1
	s_delay_alu instid0(VALU_DEP_3) | instskip(NEXT) | instid1(VALU_DEP_1)
	v_add_nc_u32_e32 v8, v6, v8
	v_add_nc_u32_e32 v8, 0x7fff, v8
	s_delay_alu instid0(VALU_DEP_1) | instskip(NEXT) | instid1(VALU_DEP_4)
	v_lshrrev_b32_e32 v8, 16, v8
	v_add_nc_u32_e32 v7, v5, v7
	s_delay_alu instid0(VALU_DEP_1) | instskip(NEXT) | instid1(VALU_DEP_1)
	v_add_nc_u32_e32 v7, 0x7fff, v7
	v_and_b32_e32 v7, 0xffff0000, v7
	s_delay_alu instid0(VALU_DEP_1) | instskip(SKIP_2) | instid1(VALU_DEP_1)
	v_cndmask_b32_e32 v5, 0x7fc00000, v7, vcc_lo
	v_cmp_o_f32_e32 vcc_lo, v6, v6
	v_cndmask_b32_e32 v6, 0x7fc0, v8, vcc_lo
	v_or_b32_e32 v5, v5, v6
	global_store_b32 v[3:4], v5, off
	s_branch .LBB63_279
.LBB63_219:
                                        ; implicit-def: $vgpr6
	s_branch .LBB63_227
.LBB63_220:
	s_mov_b32 s9, 0
	s_branch .LBB63_288
.LBB63_221:
	s_mov_b32 s9, 0
	s_and_b32 vcc_lo, exec_lo, s12
	s_cbranch_vccnz .LBB63_285
	s_branch .LBB63_287
.LBB63_222:
	v_mov_b32_e32 v7, v10
.LBB63_223:
	s_and_b32 s56, s56, 3
	s_delay_alu instid0(SALU_CYCLE_1)
	s_cmp_eq_u32 s56, 0
	s_cbranch_scc1 .LBB63_226
; %bb.224:
	s_lshl_b32 s20, s54, 2
	s_mul_i32 s22, s54, 12
	s_add_u32 s20, s20, s12
	s_addc_u32 s21, s13, 0
	s_add_u32 s20, s20, 0xc4
	s_addc_u32 s21, s21, 0
	;; [unrolled: 2-line block ×3, first 2 shown]
	.p2align	6
.LBB63_225:                             ; =>This Inner Loop Header: Depth=1
	s_clause 0x1
	s_load_b64 s[58:59], s[22:23], 0x4
	s_load_b32 s54, s[22:23], 0xc
	s_load_b32 s57, s[20:21], 0x0
	s_add_u32 s22, s22, 12
	s_addc_u32 s23, s23, 0
	s_add_u32 s20, s20, 4
	s_addc_u32 s21, s21, 0
	s_add_i32 s56, s56, -1
	s_delay_alu instid0(SALU_CYCLE_1) | instskip(SKIP_2) | instid1(VALU_DEP_1)
	s_cmp_lg_u32 s56, 0
	s_waitcnt lgkmcnt(0)
	v_mul_hi_u32 v20, s59, v7
	v_add_nc_u32_e32 v20, v7, v20
	s_delay_alu instid0(VALU_DEP_1) | instskip(NEXT) | instid1(VALU_DEP_1)
	v_lshrrev_b32_e32 v22, s54, v20
	v_mul_lo_u32 v20, v22, s58
	s_delay_alu instid0(VALU_DEP_1) | instskip(NEXT) | instid1(VALU_DEP_1)
	v_sub_nc_u32_e32 v7, v7, v20
	v_mad_u64_u32 v[20:21], null, v7, s57, v[6:7]
	s_delay_alu instid0(VALU_DEP_1)
	v_dual_mov_b32 v7, v22 :: v_dual_mov_b32 v6, v20
	s_cbranch_scc1 .LBB63_225
.LBB63_226:
	s_cbranch_execnz .LBB63_229
.LBB63_227:
	v_mul_hi_u32 v6, s9, v10
	s_and_not1_b32 vcc_lo, exec_lo, s48
	s_delay_alu instid0(VALU_DEP_1) | instskip(NEXT) | instid1(VALU_DEP_1)
	v_add_nc_u32_e32 v6, v10, v6
	v_lshrrev_b32_e32 v7, s10, v6
	s_delay_alu instid0(VALU_DEP_1) | instskip(NEXT) | instid1(VALU_DEP_1)
	v_mul_lo_u32 v6, v7, s8
	v_sub_nc_u32_e32 v6, v10, v6
	s_delay_alu instid0(VALU_DEP_1)
	v_mul_lo_u32 v6, v6, s14
	s_cbranch_vccnz .LBB63_229
; %bb.228:
	v_mul_hi_u32 v20, s16, v7
	s_delay_alu instid0(VALU_DEP_1) | instskip(NEXT) | instid1(VALU_DEP_1)
	v_add_nc_u32_e32 v20, v7, v20
	v_lshrrev_b32_e32 v20, s17, v20
	s_delay_alu instid0(VALU_DEP_1) | instskip(NEXT) | instid1(VALU_DEP_1)
	v_mul_lo_u32 v20, v20, s11
	v_sub_nc_u32_e32 v7, v7, v20
	s_delay_alu instid0(VALU_DEP_1) | instskip(NEXT) | instid1(VALU_DEP_1)
	v_mad_u64_u32 v[20:21], null, v7, s15, v[6:7]
	v_mov_b32_e32 v6, v20
.LBB63_229:
	v_and_b32_e64 v20, 0xff, s47
	s_delay_alu instid0(VALU_DEP_2) | instskip(NEXT) | instid1(VALU_DEP_1)
	v_add_co_u32 v6, s20, s4, v6
	v_add_co_ci_u32_e64 v7, null, s5, 0, s20
	s_delay_alu instid0(VALU_DEP_3)
	v_cmp_gt_i16_e32 vcc_lo, 11, v20
	s_mov_b32 s21, 0
	s_mov_b32 s22, -1
	s_mov_b32 s20, s52
	s_cbranch_vccnz .LBB63_236
; %bb.230:
	v_cmp_lt_i16_e32 vcc_lo, 25, v20
	s_cbranch_vccz .LBB63_276
; %bb.231:
	v_cmp_lt_i16_e32 vcc_lo, 28, v20
	s_cbranch_vccz .LBB63_277
	;; [unrolled: 3-line block ×4, first 2 shown]
; %bb.234:
	v_cmp_eq_u16_e32 vcc_lo, 46, v20
	s_mov_b32 s22, 0
	s_mov_b32 s20, -1
	s_cbranch_vccz .LBB63_316
; %bb.235:
	s_mov_b32 s21, -1
	s_mov_b32 s20, 0
	global_store_b32 v[6:7], v19, off
	s_branch .LBB63_316
.LBB63_236:
	s_and_b32 vcc_lo, exec_lo, s22
	s_cbranch_vccz .LBB63_361
; %bb.237:
	v_cmp_gt_i16_e32 vcc_lo, 5, v20
	s_mov_b32 s21, -1
	s_cbranch_vccnz .LBB63_258
; %bb.238:
	v_cmp_gt_i16_e32 vcc_lo, 8, v20
	s_cbranch_vccnz .LBB63_248
; %bb.239:
	v_cmp_gt_i16_e32 vcc_lo, 9, v20
	s_cbranch_vccnz .LBB63_245
; %bb.240:
	v_cmp_lt_i16_e32 vcc_lo, 9, v20
	s_cbranch_vccz .LBB63_242
; %bb.241:
	v_dual_mov_b32 v21, s6 :: v_dual_mov_b32 v22, s7
	v_dual_mov_b32 v23, s2 :: v_dual_mov_b32 v24, s3
	s_mov_b32 s21, 0
	global_store_b128 v[6:7], v[21:24], off
.LBB63_242:
	s_and_not1_b32 vcc_lo, exec_lo, s21
	s_cbranch_vccnz .LBB63_244
; %bb.243:
	global_store_b64 v[6:7], v[0:1], off
.LBB63_244:
	s_mov_b32 s21, 0
.LBB63_245:
	s_delay_alu instid0(SALU_CYCLE_1)
	s_and_not1_b32 vcc_lo, exec_lo, s21
	s_cbranch_vccnz .LBB63_247
; %bb.246:
	global_store_b32 v[6:7], v11, off
.LBB63_247:
	s_mov_b32 s21, 0
.LBB63_248:
	s_delay_alu instid0(SALU_CYCLE_1)
	s_and_not1_b32 vcc_lo, exec_lo, s21
	s_cbranch_vccnz .LBB63_257
; %bb.249:
	v_cmp_gt_i16_e32 vcc_lo, 6, v20
	s_mov_b32 s21, -1
	s_cbranch_vccnz .LBB63_255
; %bb.250:
	v_cmp_lt_i16_e32 vcc_lo, 6, v20
	s_cbranch_vccz .LBB63_252
; %bb.251:
	v_dual_mov_b32 v22, s7 :: v_dual_mov_b32 v21, s6
	s_mov_b32 s21, 0
	global_store_b64 v[6:7], v[21:22], off
.LBB63_252:
	s_and_not1_b32 vcc_lo, exec_lo, s21
	s_cbranch_vccnz .LBB63_254
; %bb.253:
	global_store_b32 v[6:7], v0, off
.LBB63_254:
	s_mov_b32 s21, 0
.LBB63_255:
	s_delay_alu instid0(SALU_CYCLE_1)
	s_and_not1_b32 vcc_lo, exec_lo, s21
	s_cbranch_vccnz .LBB63_257
; %bb.256:
	global_store_b16 v[6:7], v9, off
.LBB63_257:
	s_mov_b32 s21, 0
.LBB63_258:
	s_delay_alu instid0(SALU_CYCLE_1)
	s_and_not1_b32 vcc_lo, exec_lo, s21
	s_cbranch_vccnz .LBB63_274
; %bb.259:
	v_cmp_gt_i16_e32 vcc_lo, 2, v20
	s_mov_b32 s21, -1
	s_cbranch_vccnz .LBB63_269
; %bb.260:
	v_cmp_gt_i16_e32 vcc_lo, 3, v20
	s_cbranch_vccnz .LBB63_266
; %bb.261:
	v_cmp_lt_i16_e32 vcc_lo, 3, v20
	s_cbranch_vccz .LBB63_263
; %bb.262:
	s_mov_b32 s21, 0
	global_store_b64 v[6:7], v[4:5], off
.LBB63_263:
	s_and_not1_b32 vcc_lo, exec_lo, s21
	s_cbranch_vccnz .LBB63_265
; %bb.264:
	global_store_b32 v[6:7], v8, off
.LBB63_265:
	s_mov_b32 s21, 0
.LBB63_266:
	s_delay_alu instid0(SALU_CYCLE_1)
	s_and_not1_b32 vcc_lo, exec_lo, s21
	s_cbranch_vccnz .LBB63_268
; %bb.267:
	global_store_b16 v[6:7], v8, off
.LBB63_268:
	s_mov_b32 s21, 0
.LBB63_269:
	s_delay_alu instid0(SALU_CYCLE_1)
	s_and_not1_b32 vcc_lo, exec_lo, s21
	s_cbranch_vccnz .LBB63_274
; %bb.270:
	v_cmp_lt_i16_e32 vcc_lo, 0, v20
	s_mov_b32 s21, -1
	s_cbranch_vccz .LBB63_272
; %bb.271:
	s_mov_b32 s21, 0
	global_store_b8 v[6:7], v8, off
.LBB63_272:
	s_and_not1_b32 vcc_lo, exec_lo, s21
	s_cbranch_vccnz .LBB63_274
; %bb.273:
	global_store_b8 v[6:7], v2, off
.LBB63_274:
	s_branch .LBB63_362
.LBB63_275:
	s_mov_b32 s21, 0
                                        ; implicit-def: $vgpr10
	s_branch .LBB63_363
.LBB63_276:
	s_mov_b32 s20, s52
	s_branch .LBB63_338
.LBB63_277:
	s_mov_b32 s20, s52
	s_branch .LBB63_324
.LBB63_278:
	s_mov_b32 s9, 0
.LBB63_279:
	s_and_b32 vcc_lo, exec_lo, s12
	s_cbranch_vccz .LBB63_284
; %bb.280:
	v_cmp_eq_u16_e64 s9, s8, 44
	s_delay_alu instid0(VALU_DEP_1)
	s_and_b32 vcc_lo, exec_lo, s9
	s_mov_b32 s9, -1
	s_cbranch_vccz .LBB63_284
; %bb.281:
	v_cvt_f32_f64_e32 v5, s[2:3]
	v_mov_b32_e32 v6, 0xff
	s_delay_alu instid0(VALU_DEP_2) | instskip(NEXT) | instid1(VALU_DEP_1)
	v_readfirstlane_b32 s9, v5
	s_bfe_u32 s11, s9, 0x80017
	s_delay_alu instid0(SALU_CYCLE_1)
	s_cmpk_eq_i32 s11, 0xff
	s_cbranch_scc1 .LBB63_283
; %bb.282:
	s_bitcmp1_b32 s9, 22
	v_lshrrev_b32_e32 v5, 23, v5
	s_cselect_b32 s12, -1, 0
	s_and_b32 s9, s9, 0x3fffff
	s_delay_alu instid0(SALU_CYCLE_1) | instskip(NEXT) | instid1(SALU_CYCLE_1)
	s_or_b32 s9, s11, s9
	s_cmp_lg_u32 s9, 0
	s_cselect_b32 s9, -1, 0
	s_delay_alu instid0(SALU_CYCLE_1) | instskip(NEXT) | instid1(SALU_CYCLE_1)
	s_and_b32 s9, s12, s9
	v_cndmask_b32_e64 v6, 0, 1, s9
	s_delay_alu instid0(VALU_DEP_1)
	v_add_nc_u32_e32 v6, v5, v6
.LBB63_283:
	s_mov_b32 s9, 0
	s_mov_b32 s11, -1
	global_store_b8 v[3:4], v6, off
.LBB63_284:
	s_branch .LBB63_287
.LBB63_285:
	v_cmp_eq_u16_e64 s9, s8, 29
	s_delay_alu instid0(VALU_DEP_1)
	s_and_b32 vcc_lo, exec_lo, s9
	s_mov_b32 s9, -1
	s_cbranch_vccz .LBB63_287
; %bb.286:
	v_trunc_f64_e32 v[5:6], s[2:3]
	s_mov_b32 s9, 0
	s_mov_b32 s11, -1
	s_mov_b32 s12, 0
	s_delay_alu instid0(VALU_DEP_1) | instskip(NEXT) | instid1(VALU_DEP_1)
	v_ldexp_f64 v[7:8], v[5:6], 0xffffffe0
	v_floor_f64_e32 v[7:8], v[7:8]
	s_delay_alu instid0(VALU_DEP_1) | instskip(SKIP_1) | instid1(VALU_DEP_2)
	v_fma_f64 v[5:6], 0xc1f00000, v[7:8], v[5:6]
	v_cvt_u32_f64_e32 v7, v[7:8]
	v_cvt_u32_f64_e32 v6, v[5:6]
	global_store_b64 v[3:4], v[6:7], off
	s_branch .LBB63_288
.LBB63_287:
	s_mov_b32 s12, 0
.LBB63_288:
	s_delay_alu instid0(SALU_CYCLE_1)
	s_and_b32 vcc_lo, exec_lo, s12
	s_cbranch_vccz .LBB63_307
; %bb.289:
	v_cmp_lt_i16_e64 s11, s8, 27
	s_delay_alu instid0(VALU_DEP_1)
	s_and_b32 vcc_lo, exec_lo, s11
	s_mov_b32 s11, -1
	s_cbranch_vccnz .LBB63_295
; %bb.290:
	v_cmp_gt_i16_e64 s11, s8, 27
	s_delay_alu instid0(VALU_DEP_1)
	s_and_b32 vcc_lo, exec_lo, s11
	s_mov_b32 s11, -1
	s_cbranch_vccz .LBB63_292
; %bb.291:
	v_cvt_u32_f64_e32 v5, s[2:3]
	s_mov_b32 s11, 0
	global_store_b32 v[3:4], v5, off
.LBB63_292:
	s_and_not1_b32 vcc_lo, exec_lo, s11
	s_cbranch_vccnz .LBB63_294
; %bb.293:
	v_cvt_u32_f64_e32 v5, s[2:3]
	global_store_b16 v[3:4], v5, off
.LBB63_294:
	s_mov_b32 s11, 0
.LBB63_295:
	s_delay_alu instid0(SALU_CYCLE_1)
	s_and_not1_b32 vcc_lo, exec_lo, s11
	s_cbranch_vccnz .LBB63_306
; %bb.296:
	v_cvt_f32_f64_e32 v5, s[2:3]
	v_mov_b32_e32 v6, 0x80
	s_delay_alu instid0(VALU_DEP_2) | instskip(NEXT) | instid1(VALU_DEP_1)
	v_readfirstlane_b32 s11, v5
	s_and_b32 s12, s11, 0x7fffffff
	s_delay_alu instid0(SALU_CYCLE_1)
	s_cmp_gt_u32 s12, 0x437fffff
	s_cbranch_scc1 .LBB63_305
; %bb.297:
	s_cmp_gt_u32 s12, 0x3bffffff
	s_cbranch_scc0 .LBB63_300
; %bb.298:
	s_bfe_u32 s12, s11, 0x10014
	s_mov_b32 s13, 0
	s_add_i32 s12, s11, s12
	s_delay_alu instid0(SALU_CYCLE_1) | instskip(NEXT) | instid1(SALU_CYCLE_1)
	s_add_i32 s12, s12, 0x487ffff
	s_lshr_b32 s14, s12, 20
	s_mov_b32 s12, -1
	s_branch .LBB63_301
.LBB63_299:
	s_mov_b32 s20, s52
	s_branch .LBB63_320
.LBB63_300:
	s_mov_b32 s13, -1
	s_mov_b32 s12, 0
                                        ; implicit-def: $sgpr14
.LBB63_301:
	v_mov_b32_e32 v5, s14
	s_and_not1_b32 vcc_lo, exec_lo, s13
                                        ; implicit-def: $sgpr13
	s_cbranch_vccnz .LBB63_303
; %bb.302:
	v_add_f32_e64 v5, 0x46000000, |s11|
	s_mov_b32 s13, 0
	s_delay_alu instid0(VALU_DEP_1) | instskip(NEXT) | instid1(VALU_DEP_1)
	v_and_b32_e32 v5, 0xff, v5
	v_cmp_ne_u32_e64 s12, 0, v5
.LBB63_303:
	v_mov_b32_e32 v6, s13
	s_delay_alu instid0(VALU_DEP_2)
	s_and_not1_b32 vcc_lo, exec_lo, s12
	s_cbranch_vccnz .LBB63_305
; %bb.304:
	s_lshr_b32 s11, s11, 24
	s_delay_alu instid0(SALU_CYCLE_1) | instskip(NEXT) | instid1(SALU_CYCLE_1)
	s_and_b32 s11, s11, 0x80
	v_or_b32_e32 v6, s11, v5
.LBB63_305:
	global_store_b8 v[3:4], v6, off
.LBB63_306:
	s_mov_b32 s11, -1
.LBB63_307:
	s_mov_b32 s12, 0
.LBB63_308:
	s_delay_alu instid0(SALU_CYCLE_1)
	s_and_b32 vcc_lo, exec_lo, s12
	s_cbranch_vccz .LBB63_469
; %bb.309:
	v_cmp_gt_i16_e64 s10, s8, 22
	s_delay_alu instid0(VALU_DEP_1)
	s_and_b32 vcc_lo, exec_lo, s10
	s_mov_b32 s10, -1
	s_cbranch_vccz .LBB63_462
; %bb.310:
	v_cmp_lt_i16_e64 s10, s8, 24
	s_delay_alu instid0(VALU_DEP_1)
	s_and_b32 vcc_lo, exec_lo, s10
	s_mov_b32 s10, -1
	s_cbranch_vccnz .LBB63_449
; %bb.311:
	v_cmp_gt_i16_e64 s10, s8, 24
	s_delay_alu instid0(VALU_DEP_1)
	s_and_b32 vcc_lo, exec_lo, s10
	s_mov_b32 s10, -1
	s_cbranch_vccz .LBB63_436
; %bb.312:
	v_cvt_f32_f64_e32 v5, s[2:3]
	v_mov_b32_e32 v6, 0x80
	s_delay_alu instid0(VALU_DEP_2) | instskip(NEXT) | instid1(VALU_DEP_1)
	v_readfirstlane_b32 s10, v5
	s_and_b32 s11, s10, 0x7fffffff
	s_delay_alu instid0(SALU_CYCLE_1)
	s_cmp_gt_u32 s11, 0x477fffff
	s_cbranch_scc1 .LBB63_435
; %bb.313:
	s_cmp_gt_u32 s11, 0x37ffffff
	s_cbranch_scc0 .LBB63_430
; %bb.314:
	s_bfe_u32 s11, s10, 0x10015
	s_mov_b32 s12, 0
	s_add_i32 s11, s10, s11
	s_delay_alu instid0(SALU_CYCLE_1) | instskip(NEXT) | instid1(SALU_CYCLE_1)
	s_add_i32 s11, s11, 0x88fffff
	s_lshr_b32 s13, s11, 21
	s_mov_b32 s11, -1
	s_branch .LBB63_431
.LBB63_315:
	s_mov_b32 s20, s52
.LBB63_316:
	s_and_b32 vcc_lo, exec_lo, s22
	s_cbranch_vccz .LBB63_319
; %bb.317:
	v_cmp_eq_u16_e32 vcc_lo, 44, v20
	s_mov_b32 s20, -1
	s_cbranch_vccz .LBB63_319
; %bb.318:
	v_cndmask_b32_e64 v21, v18, 0xff, s0
	s_mov_b32 s21, -1
	s_mov_b32 s20, 0
	global_store_b8 v[6:7], v21, off
.LBB63_319:
	s_mov_b32 s22, 0
.LBB63_320:
	s_delay_alu instid0(SALU_CYCLE_1)
	s_and_b32 vcc_lo, exec_lo, s22
	s_cbranch_vccz .LBB63_323
; %bb.321:
	v_cmp_eq_u16_e32 vcc_lo, 29, v20
	s_mov_b32 s20, -1
	s_cbranch_vccz .LBB63_323
; %bb.322:
	s_mov_b32 s21, -1
	s_mov_b32 s20, 0
	global_store_b64 v[6:7], v[2:3], off
.LBB63_323:
	s_mov_b32 s22, 0
.LBB63_324:
	s_delay_alu instid0(SALU_CYCLE_1)
	s_and_b32 vcc_lo, exec_lo, s22
	s_cbranch_vccz .LBB63_337
; %bb.325:
	v_cmp_gt_i16_e32 vcc_lo, 27, v20
	s_mov_b32 s21, -1
	s_cbranch_vccnz .LBB63_331
; %bb.326:
	v_cmp_lt_i16_e32 vcc_lo, 27, v20
	s_cbranch_vccz .LBB63_328
; %bb.327:
	s_mov_b32 s21, 0
	global_store_b32 v[6:7], v17, off
.LBB63_328:
	s_and_not1_b32 vcc_lo, exec_lo, s21
	s_cbranch_vccnz .LBB63_330
; %bb.329:
	global_store_b16 v[6:7], v17, off
.LBB63_330:
	s_mov_b32 s21, 0
.LBB63_331:
	s_delay_alu instid0(SALU_CYCLE_1)
	s_and_not1_b32 vcc_lo, exec_lo, s21
	s_cbranch_vccnz .LBB63_336
; %bb.332:
	v_mov_b32_e32 v21, 0x80
	s_and_not1_b32 vcc_lo, exec_lo, s45
	s_cbranch_vccnz .LBB63_335
; %bb.333:
	v_mov_b32_e32 v21, 0
	s_or_b32 s21, s43, s46
	s_delay_alu instid0(SALU_CYCLE_1)
	s_and_not1_b32 vcc_lo, exec_lo, s21
	s_cbranch_vccnz .LBB63_335
; %bb.334:
	v_cndmask_b32_e64 v21, v16, s44, s43
	s_delay_alu instid0(VALU_DEP_1)
	v_or_b32_e32 v21, v21, v13
.LBB63_335:
	global_store_b8 v[6:7], v21, off
.LBB63_336:
	s_mov_b32 s21, -1
.LBB63_337:
	s_mov_b32 s22, 0
.LBB63_338:
	s_delay_alu instid0(SALU_CYCLE_1)
	s_and_b32 vcc_lo, exec_lo, s22
	s_cbranch_vccz .LBB63_360
; %bb.339:
	v_cmp_lt_i16_e32 vcc_lo, 22, v20
	s_mov_b32 s22, -1
	s_cbranch_vccz .LBB63_352
; %bb.340:
	v_cmp_gt_i16_e32 vcc_lo, 24, v20
	s_mov_b32 s21, -1
	s_cbranch_vccnz .LBB63_349
; %bb.341:
	v_cmp_lt_i16_e32 vcc_lo, 24, v20
	s_cbranch_vccz .LBB63_346
; %bb.342:
	v_mov_b32_e32 v21, 0x80
	s_and_not1_b32 vcc_lo, exec_lo, s41
	s_cbranch_vccnz .LBB63_345
; %bb.343:
	v_mov_b32_e32 v21, 0
	s_or_b32 s21, s37, s42
	s_delay_alu instid0(SALU_CYCLE_1)
	s_and_not1_b32 vcc_lo, exec_lo, s21
	s_cbranch_vccnz .LBB63_345
; %bb.344:
	v_cndmask_b32_e64 v21, v15, s39, s37
	s_delay_alu instid0(VALU_DEP_1)
	v_or_b32_e32 v21, v21, v13
.LBB63_345:
	s_mov_b32 s21, 0
	global_store_b8 v[6:7], v21, off
.LBB63_346:
	s_and_b32 vcc_lo, exec_lo, s21
	s_cbranch_vccz .LBB63_348
; %bb.347:
	s_and_b32 s21, s36, exec_lo
	s_cselect_b32 s21, s30, s38
	s_and_b32 s22, s34, exec_lo
	s_cselect_b32 s21, s40, s21
	s_delay_alu instid0(SALU_CYCLE_1)
	v_or_b32_e32 v21, s21, v13
	global_store_b8 v[6:7], v21, off
.LBB63_348:
	s_mov_b32 s21, 0
.LBB63_349:
	s_delay_alu instid0(SALU_CYCLE_1)
	s_and_not1_b32 vcc_lo, exec_lo, s21
	s_cbranch_vccnz .LBB63_351
; %bb.350:
	s_and_b32 s21, s31, exec_lo
	s_cselect_b32 s21, s1, s33
	s_and_b32 s22, s29, exec_lo
	s_cselect_b32 s21, s35, s21
	s_delay_alu instid0(SALU_CYCLE_1)
	v_or_b32_e32 v21, s21, v13
	global_store_b8 v[6:7], v21, off
.LBB63_351:
	s_mov_b32 s22, 0
	s_mov_b32 s21, -1
.LBB63_352:
	s_and_not1_b32 vcc_lo, exec_lo, s22
	s_cbranch_vccnz .LBB63_360
; %bb.353:
	v_cmp_lt_i16_e32 vcc_lo, 14, v20
	s_mov_b32 s22, -1
	s_cbranch_vccz .LBB63_357
; %bb.354:
	v_cmp_eq_u16_e32 vcc_lo, 15, v20
	s_mov_b32 s20, -1
	s_cbranch_vccz .LBB63_356
; %bb.355:
	s_mov_b32 s21, -1
	s_mov_b32 s20, 0
	global_store_b16 v[6:7], v14, off
.LBB63_356:
	s_mov_b32 s22, 0
.LBB63_357:
	s_delay_alu instid0(SALU_CYCLE_1)
	s_and_b32 vcc_lo, exec_lo, s22
	s_cbranch_vccz .LBB63_360
; %bb.358:
	v_cmp_eq_u16_e32 vcc_lo, 11, v20
	s_mov_b32 s20, -1
	s_cbranch_vccz .LBB63_360
; %bb.359:
	s_mov_b32 s21, -1
	s_mov_b32 s20, 0
	global_store_b8 v[6:7], v12, off
.LBB63_360:
.LBB63_361:
	s_and_not1_b32 vcc_lo, exec_lo, s21
	s_cbranch_vccnz .LBB63_275
.LBB63_362:
	v_add_nc_u32_e32 v10, 0x80, v10
	s_mov_b32 s21, -1
.LBB63_363:
	s_and_not1_b32 s22, s52, exec_lo
	s_and_b32 s20, s20, exec_lo
	s_delay_alu instid0(SALU_CYCLE_1)
	s_or_b32 s54, s22, s20
	s_or_not1_b32 s22, s21, exec_lo
.LBB63_364:
	s_or_b32 exec_lo, exec_lo, s55
	s_mov_b32 s20, 0
	s_mov_b32 s21, 0
                                        ; implicit-def: $vgpr20
                                        ; implicit-def: $vgpr6_vgpr7
	s_and_saveexec_b32 s55, s22
	s_cbranch_execz .LBB63_681
; %bb.365:
	s_mov_b32 s57, -1
	s_mov_b32 s22, s54
	s_mov_b32 s56, exec_lo
	v_cmpx_gt_i32_e64 s49, v10
	s_cbranch_execz .LBB63_612
; %bb.366:
	s_and_not1_b32 vcc_lo, exec_lo, s27
	s_cbranch_vccnz .LBB63_371
; %bb.367:
	v_mov_b32_e32 v6, 0
	s_and_not1_b32 vcc_lo, exec_lo, s51
	s_cbranch_vccnz .LBB63_376
; %bb.368:
	s_add_i32 s58, s50, 1
	s_cmp_eq_u32 s25, 2
	s_mov_b32 s57, 0
	s_cbranch_scc1 .LBB63_372
; %bb.369:
	v_dual_mov_b32 v6, 0 :: v_dual_mov_b32 v7, v10
	s_and_b32 s57, s58, 28
	s_mov_b32 s59, 0
	s_mov_b64 s[20:21], s[12:13]
	s_mov_b64 s[22:23], s[18:19]
.LBB63_370:                             ; =>This Inner Loop Header: Depth=1
	s_clause 0x1
	s_load_b256 s[60:67], s[20:21], 0x4
	s_load_b128 s[68:71], s[20:21], 0x24
	s_load_b128 s[72:75], s[22:23], 0x0
	s_add_u32 s20, s20, 48
	s_addc_u32 s21, s21, 0
	s_add_i32 s59, s59, 4
	s_add_u32 s22, s22, 16
	s_addc_u32 s23, s23, 0
	s_cmp_eq_u32 s57, s59
	s_waitcnt lgkmcnt(0)
	v_mul_hi_u32 v20, s61, v7
	s_delay_alu instid0(VALU_DEP_1) | instskip(NEXT) | instid1(VALU_DEP_1)
	v_add_nc_u32_e32 v20, v7, v20
	v_lshrrev_b32_e32 v20, s62, v20
	s_delay_alu instid0(VALU_DEP_1) | instskip(SKIP_1) | instid1(VALU_DEP_2)
	v_mul_hi_u32 v21, s64, v20
	v_mul_lo_u32 v24, v20, s60
	v_add_nc_u32_e32 v21, v20, v21
	s_delay_alu instid0(VALU_DEP_2) | instskip(NEXT) | instid1(VALU_DEP_2)
	v_sub_nc_u32_e32 v24, v7, v24
	v_lshrrev_b32_e32 v21, s65, v21
	s_delay_alu instid0(VALU_DEP_2) | instskip(NEXT) | instid1(VALU_DEP_2)
	v_mul_lo_u32 v24, v24, s72
	v_mul_hi_u32 v22, s67, v21
	v_mul_lo_u32 v25, v21, s63
	s_delay_alu instid0(VALU_DEP_2) | instskip(NEXT) | instid1(VALU_DEP_2)
	v_add_nc_u32_e32 v22, v21, v22
	v_sub_nc_u32_e32 v20, v20, v25
	s_delay_alu instid0(VALU_DEP_2) | instskip(NEXT) | instid1(VALU_DEP_2)
	v_lshrrev_b32_e32 v22, s68, v22
	v_mul_lo_u32 v20, v20, s73
	s_delay_alu instid0(VALU_DEP_2) | instskip(NEXT) | instid1(VALU_DEP_2)
	v_mul_hi_u32 v23, s70, v22
	v_add3_u32 v6, v24, v6, v20
	s_delay_alu instid0(VALU_DEP_2) | instskip(NEXT) | instid1(VALU_DEP_1)
	v_add_nc_u32_e32 v23, v22, v23
	v_lshrrev_b32_e32 v7, s71, v23
	v_mul_lo_u32 v23, v22, s66
	s_delay_alu instid0(VALU_DEP_2) | instskip(NEXT) | instid1(VALU_DEP_2)
	v_mul_lo_u32 v26, v7, s69
	v_sub_nc_u32_e32 v21, v21, v23
	s_delay_alu instid0(VALU_DEP_2) | instskip(NEXT) | instid1(VALU_DEP_2)
	v_sub_nc_u32_e32 v22, v22, v26
	v_mul_lo_u32 v21, v21, s74
	s_delay_alu instid0(VALU_DEP_2) | instskip(NEXT) | instid1(VALU_DEP_1)
	v_mul_lo_u32 v22, v22, s75
	v_add3_u32 v6, v21, v6, v22
	s_cbranch_scc0 .LBB63_370
	s_branch .LBB63_373
.LBB63_371:
	s_mov_b32 s20, -1
                                        ; implicit-def: $vgpr6
	s_branch .LBB63_377
.LBB63_372:
	v_mov_b32_e32 v7, v10
.LBB63_373:
	s_and_b32 s58, s58, 3
	s_delay_alu instid0(SALU_CYCLE_1)
	s_cmp_eq_u32 s58, 0
	s_cbranch_scc1 .LBB63_376
; %bb.374:
	s_lshl_b32 s20, s57, 2
	s_mul_i32 s22, s57, 12
	s_add_u32 s20, s20, s12
	s_addc_u32 s21, s13, 0
	s_add_u32 s20, s20, 0xc4
	s_addc_u32 s21, s21, 0
	;; [unrolled: 2-line block ×3, first 2 shown]
	.p2align	6
.LBB63_375:                             ; =>This Inner Loop Header: Depth=1
	s_clause 0x1
	s_load_b64 s[60:61], s[22:23], 0x4
	s_load_b32 s57, s[22:23], 0xc
	s_load_b32 s59, s[20:21], 0x0
	s_add_u32 s22, s22, 12
	s_addc_u32 s23, s23, 0
	s_add_u32 s20, s20, 4
	s_addc_u32 s21, s21, 0
	s_add_i32 s58, s58, -1
	s_delay_alu instid0(SALU_CYCLE_1) | instskip(SKIP_2) | instid1(VALU_DEP_1)
	s_cmp_lg_u32 s58, 0
	s_waitcnt lgkmcnt(0)
	v_mul_hi_u32 v20, s61, v7
	v_add_nc_u32_e32 v20, v7, v20
	s_delay_alu instid0(VALU_DEP_1) | instskip(NEXT) | instid1(VALU_DEP_1)
	v_lshrrev_b32_e32 v22, s57, v20
	v_mul_lo_u32 v20, v22, s60
	s_delay_alu instid0(VALU_DEP_1) | instskip(NEXT) | instid1(VALU_DEP_1)
	v_sub_nc_u32_e32 v7, v7, v20
	v_mad_u64_u32 v[20:21], null, v7, s59, v[6:7]
	s_delay_alu instid0(VALU_DEP_1)
	v_dual_mov_b32 v7, v22 :: v_dual_mov_b32 v6, v20
	s_cbranch_scc1 .LBB63_375
.LBB63_376:
	s_mov_b32 s20, 0
.LBB63_377:
	s_delay_alu instid0(SALU_CYCLE_1)
	s_and_not1_b32 vcc_lo, exec_lo, s20
	s_cbranch_vccnz .LBB63_380
; %bb.378:
	v_mul_hi_u32 v6, s9, v10
	s_and_not1_b32 vcc_lo, exec_lo, s48
	s_delay_alu instid0(VALU_DEP_1) | instskip(NEXT) | instid1(VALU_DEP_1)
	v_add_nc_u32_e32 v6, v10, v6
	v_lshrrev_b32_e32 v7, s10, v6
	s_delay_alu instid0(VALU_DEP_1) | instskip(NEXT) | instid1(VALU_DEP_1)
	v_mul_lo_u32 v6, v7, s8
	v_sub_nc_u32_e32 v6, v10, v6
	s_delay_alu instid0(VALU_DEP_1)
	v_mul_lo_u32 v6, v6, s14
	s_cbranch_vccnz .LBB63_380
; %bb.379:
	v_mul_hi_u32 v20, s16, v7
	s_delay_alu instid0(VALU_DEP_1) | instskip(NEXT) | instid1(VALU_DEP_1)
	v_add_nc_u32_e32 v20, v7, v20
	v_lshrrev_b32_e32 v20, s17, v20
	s_delay_alu instid0(VALU_DEP_1) | instskip(NEXT) | instid1(VALU_DEP_1)
	v_mul_lo_u32 v20, v20, s11
	v_sub_nc_u32_e32 v7, v7, v20
	s_delay_alu instid0(VALU_DEP_1) | instskip(NEXT) | instid1(VALU_DEP_1)
	v_mad_u64_u32 v[20:21], null, v7, s15, v[6:7]
	v_mov_b32_e32 v6, v20
.LBB63_380:
	v_and_b32_e64 v20, 0xff, s47
	s_delay_alu instid0(VALU_DEP_2) | instskip(NEXT) | instid1(VALU_DEP_1)
	v_add_co_u32 v6, s20, s4, v6
	v_add_co_ci_u32_e64 v7, null, s5, 0, s20
	s_delay_alu instid0(VALU_DEP_3)
	v_cmp_gt_i16_e32 vcc_lo, 11, v20
	s_mov_b32 s21, 0
	s_mov_b32 s22, -1
	s_mov_b32 s20, s54
	s_cbranch_vccnz .LBB63_387
; %bb.381:
	v_cmp_lt_i16_e32 vcc_lo, 25, v20
	s_cbranch_vccz .LBB63_427
; %bb.382:
	v_cmp_lt_i16_e32 vcc_lo, 28, v20
	s_cbranch_vccz .LBB63_428
	;; [unrolled: 3-line block ×4, first 2 shown]
; %bb.385:
	v_cmp_eq_u16_e32 vcc_lo, 46, v20
	s_mov_b32 s22, 0
	s_mov_b32 s20, -1
	s_cbranch_vccz .LBB63_564
; %bb.386:
	s_mov_b32 s21, -1
	s_mov_b32 s20, 0
	global_store_b32 v[6:7], v19, off
	s_branch .LBB63_564
.LBB63_387:
	s_and_b32 vcc_lo, exec_lo, s22
	s_cbranch_vccz .LBB63_609
; %bb.388:
	v_cmp_gt_i16_e32 vcc_lo, 5, v20
	s_mov_b32 s21, -1
	s_cbranch_vccnz .LBB63_409
; %bb.389:
	v_cmp_gt_i16_e32 vcc_lo, 8, v20
	s_cbranch_vccnz .LBB63_399
; %bb.390:
	v_cmp_gt_i16_e32 vcc_lo, 9, v20
	s_cbranch_vccnz .LBB63_396
; %bb.391:
	v_cmp_lt_i16_e32 vcc_lo, 9, v20
	s_cbranch_vccz .LBB63_393
; %bb.392:
	v_dual_mov_b32 v21, s6 :: v_dual_mov_b32 v22, s7
	v_dual_mov_b32 v23, s2 :: v_dual_mov_b32 v24, s3
	s_mov_b32 s21, 0
	global_store_b128 v[6:7], v[21:24], off
.LBB63_393:
	s_and_not1_b32 vcc_lo, exec_lo, s21
	s_cbranch_vccnz .LBB63_395
; %bb.394:
	global_store_b64 v[6:7], v[0:1], off
.LBB63_395:
	s_mov_b32 s21, 0
.LBB63_396:
	s_delay_alu instid0(SALU_CYCLE_1)
	s_and_not1_b32 vcc_lo, exec_lo, s21
	s_cbranch_vccnz .LBB63_398
; %bb.397:
	global_store_b32 v[6:7], v11, off
.LBB63_398:
	s_mov_b32 s21, 0
.LBB63_399:
	s_delay_alu instid0(SALU_CYCLE_1)
	s_and_not1_b32 vcc_lo, exec_lo, s21
	s_cbranch_vccnz .LBB63_408
; %bb.400:
	v_cmp_gt_i16_e32 vcc_lo, 6, v20
	s_mov_b32 s21, -1
	s_cbranch_vccnz .LBB63_406
; %bb.401:
	v_cmp_lt_i16_e32 vcc_lo, 6, v20
	s_cbranch_vccz .LBB63_403
; %bb.402:
	v_dual_mov_b32 v22, s7 :: v_dual_mov_b32 v21, s6
	s_mov_b32 s21, 0
	global_store_b64 v[6:7], v[21:22], off
.LBB63_403:
	s_and_not1_b32 vcc_lo, exec_lo, s21
	s_cbranch_vccnz .LBB63_405
; %bb.404:
	global_store_b32 v[6:7], v0, off
.LBB63_405:
	s_mov_b32 s21, 0
.LBB63_406:
	s_delay_alu instid0(SALU_CYCLE_1)
	s_and_not1_b32 vcc_lo, exec_lo, s21
	s_cbranch_vccnz .LBB63_408
; %bb.407:
	global_store_b16 v[6:7], v9, off
.LBB63_408:
	s_mov_b32 s21, 0
.LBB63_409:
	s_delay_alu instid0(SALU_CYCLE_1)
	s_and_not1_b32 vcc_lo, exec_lo, s21
	s_cbranch_vccnz .LBB63_425
; %bb.410:
	v_cmp_gt_i16_e32 vcc_lo, 2, v20
	s_mov_b32 s21, -1
	s_cbranch_vccnz .LBB63_420
; %bb.411:
	v_cmp_gt_i16_e32 vcc_lo, 3, v20
	s_cbranch_vccnz .LBB63_417
; %bb.412:
	v_cmp_lt_i16_e32 vcc_lo, 3, v20
	s_cbranch_vccz .LBB63_414
; %bb.413:
	s_mov_b32 s21, 0
	global_store_b64 v[6:7], v[4:5], off
.LBB63_414:
	s_and_not1_b32 vcc_lo, exec_lo, s21
	s_cbranch_vccnz .LBB63_416
; %bb.415:
	global_store_b32 v[6:7], v8, off
.LBB63_416:
	s_mov_b32 s21, 0
.LBB63_417:
	s_delay_alu instid0(SALU_CYCLE_1)
	s_and_not1_b32 vcc_lo, exec_lo, s21
	s_cbranch_vccnz .LBB63_419
; %bb.418:
	global_store_b16 v[6:7], v8, off
.LBB63_419:
	s_mov_b32 s21, 0
.LBB63_420:
	s_delay_alu instid0(SALU_CYCLE_1)
	s_and_not1_b32 vcc_lo, exec_lo, s21
	s_cbranch_vccnz .LBB63_425
; %bb.421:
	v_cmp_lt_i16_e32 vcc_lo, 0, v20
	s_mov_b32 s21, -1
	s_cbranch_vccz .LBB63_423
; %bb.422:
	s_mov_b32 s21, 0
	global_store_b8 v[6:7], v8, off
.LBB63_423:
	s_and_not1_b32 vcc_lo, exec_lo, s21
	s_cbranch_vccnz .LBB63_425
; %bb.424:
	global_store_b8 v[6:7], v2, off
.LBB63_425:
	s_branch .LBB63_610
.LBB63_426:
	s_mov_b32 s21, 0
                                        ; implicit-def: $vgpr10
	s_branch .LBB63_611
.LBB63_427:
	s_mov_b32 s20, s54
	s_branch .LBB63_586
.LBB63_428:
	s_mov_b32 s20, s54
	s_branch .LBB63_572
.LBB63_429:
	s_mov_b32 s20, s54
	s_branch .LBB63_568
.LBB63_430:
	s_mov_b32 s12, -1
	s_mov_b32 s11, 0
                                        ; implicit-def: $sgpr13
.LBB63_431:
	v_mov_b32_e32 v5, s13
	s_and_not1_b32 vcc_lo, exec_lo, s12
                                        ; implicit-def: $sgpr12
	s_cbranch_vccnz .LBB63_433
; %bb.432:
	v_add_f32_e64 v5, 0x42800000, |s10|
	s_mov_b32 s12, 0
	s_delay_alu instid0(VALU_DEP_1) | instskip(NEXT) | instid1(VALU_DEP_1)
	v_and_b32_e32 v5, 0xff, v5
	v_cmp_ne_u32_e64 s11, 0, v5
.LBB63_433:
	v_mov_b32_e32 v6, s12
	s_delay_alu instid0(VALU_DEP_2)
	s_and_not1_b32 vcc_lo, exec_lo, s11
	s_cbranch_vccnz .LBB63_435
; %bb.434:
	s_lshr_b32 s10, s10, 24
	s_delay_alu instid0(SALU_CYCLE_1) | instskip(NEXT) | instid1(SALU_CYCLE_1)
	s_and_b32 s10, s10, 0x80
	v_or_b32_e32 v6, s10, v5
.LBB63_435:
	s_mov_b32 s10, 0
	global_store_b8 v[3:4], v6, off
.LBB63_436:
	s_and_b32 vcc_lo, exec_lo, s10
	s_cbranch_vccz .LBB63_448
; %bb.437:
	v_cvt_f32_f64_e32 v5, s[2:3]
	s_delay_alu instid0(VALU_DEP_1) | instskip(NEXT) | instid1(VALU_DEP_1)
	v_readfirstlane_b32 s10, v5
	s_and_b32 s11, s10, 0x7fffffff
	s_delay_alu instid0(SALU_CYCLE_1)
	s_cmp_lt_u32 s11, 0x43f00000
	s_cbranch_scc0 .LBB63_440
; %bb.438:
	s_cmp_gt_u32 s11, 0x3c7fffff
	s_cbranch_scc0 .LBB63_441
; %bb.439:
	s_bfe_u32 s12, s10, 0x10014
	s_delay_alu instid0(SALU_CYCLE_1) | instskip(NEXT) | instid1(SALU_CYCLE_1)
	s_add_i32 s12, s10, s12
	s_add_i32 s12, s12, 0x407ffff
	s_delay_alu instid0(SALU_CYCLE_1)
	s_and_b32 s13, s12, 0xff00000
	s_lshr_b32 s12, s12, 20
	s_cmp_lg_u32 s13, 0x7f00000
	s_cselect_b32 s13, s12, 0x7e
	s_mov_b32 s12, 0
	s_branch .LBB63_442
.LBB63_440:
	s_mov_b32 s12, -1
                                        ; implicit-def: $vgpr6
	s_branch .LBB63_445
.LBB63_441:
	s_mov_b32 s12, -1
                                        ; implicit-def: $sgpr13
.LBB63_442:
	v_mov_b32_e32 v6, s13
	s_and_not1_b32 vcc_lo, exec_lo, s12
	s_cbranch_vccnz .LBB63_444
; %bb.443:
	v_add_f32_e64 v6, 0x46800000, |v5|
.LBB63_444:
	s_mov_b32 s12, 0
.LBB63_445:
	s_delay_alu instid0(SALU_CYCLE_1)
	s_and_not1_b32 vcc_lo, exec_lo, s12
	s_cbranch_vccnz .LBB63_447
; %bb.446:
	s_cmp_gt_u32 s11, 0x7f800000
	s_movk_i32 s11, 0x7f
	s_delay_alu instid0(SALU_CYCLE_1) | instskip(NEXT) | instid1(SALU_CYCLE_1)
	s_cselect_b32 s11, s11, 0x7e
	v_mov_b32_e32 v6, s11
.LBB63_447:
	s_lshr_b32 s10, s10, 24
	s_delay_alu instid0(SALU_CYCLE_1)
	s_and_b32 s10, s10, 0x80
	s_delay_alu instid0(VALU_DEP_1) | instid1(SALU_CYCLE_1)
	v_or_b32_e32 v5, s10, v6
	global_store_b8 v[3:4], v5, off
.LBB63_448:
	s_mov_b32 s10, 0
.LBB63_449:
	s_delay_alu instid0(SALU_CYCLE_1)
	s_and_not1_b32 vcc_lo, exec_lo, s10
	s_cbranch_vccnz .LBB63_461
; %bb.450:
	v_cvt_f32_f64_e32 v5, s[2:3]
	s_delay_alu instid0(VALU_DEP_1) | instskip(NEXT) | instid1(VALU_DEP_1)
	v_readfirstlane_b32 s10, v5
	s_and_b32 s11, s10, 0x7fffffff
	s_delay_alu instid0(SALU_CYCLE_1)
	s_cmp_lt_u32 s11, 0x47800000
	s_cbranch_scc0 .LBB63_453
; %bb.451:
	s_cmp_gt_u32 s11, 0x387fffff
	s_cbranch_scc0 .LBB63_454
; %bb.452:
	s_bfe_u32 s12, s10, 0x10015
	s_delay_alu instid0(SALU_CYCLE_1) | instskip(NEXT) | instid1(SALU_CYCLE_1)
	s_add_i32 s12, s10, s12
	s_add_i32 s12, s12, 0x80fffff
	s_delay_alu instid0(SALU_CYCLE_1)
	s_lshr_b32 s13, s12, 21
	s_mov_b32 s12, 0
	s_branch .LBB63_455
.LBB63_453:
	s_mov_b32 s12, -1
                                        ; implicit-def: $vgpr6
	s_branch .LBB63_458
.LBB63_454:
	s_mov_b32 s12, -1
                                        ; implicit-def: $sgpr13
.LBB63_455:
	v_mov_b32_e32 v6, s13
	s_and_not1_b32 vcc_lo, exec_lo, s12
	s_cbranch_vccnz .LBB63_457
; %bb.456:
	v_add_f32_e64 v6, 0x43000000, |v5|
.LBB63_457:
	s_mov_b32 s12, 0
.LBB63_458:
	s_delay_alu instid0(SALU_CYCLE_1)
	s_and_not1_b32 vcc_lo, exec_lo, s12
	s_cbranch_vccnz .LBB63_460
; %bb.459:
	s_cmp_gt_u32 s11, 0x7f800000
	s_movk_i32 s11, 0x7f
	s_delay_alu instid0(SALU_CYCLE_1) | instskip(NEXT) | instid1(SALU_CYCLE_1)
	s_cselect_b32 s11, s11, 0x7c
	v_mov_b32_e32 v6, s11
.LBB63_460:
	s_lshr_b32 s10, s10, 24
	s_delay_alu instid0(SALU_CYCLE_1)
	s_and_b32 s10, s10, 0x80
	s_delay_alu instid0(VALU_DEP_1) | instid1(SALU_CYCLE_1)
	v_or_b32_e32 v5, s10, v6
	global_store_b8 v[3:4], v5, off
.LBB63_461:
	s_mov_b32 s10, 0
	s_mov_b32 s11, -1
.LBB63_462:
	s_and_not1_b32 vcc_lo, exec_lo, s10
	s_mov_b32 s10, 0
	s_cbranch_vccnz .LBB63_469
; %bb.463:
	v_cmp_gt_i16_e64 s10, s8, 14
	s_delay_alu instid0(VALU_DEP_1)
	s_and_b32 vcc_lo, exec_lo, s10
	s_mov_b32 s10, -1
	s_cbranch_vccz .LBB63_467
; %bb.464:
	v_cmp_eq_u16_e64 s9, s8, 15
	s_delay_alu instid0(VALU_DEP_1)
	s_and_b32 vcc_lo, exec_lo, s9
	s_mov_b32 s9, -1
	s_cbranch_vccz .LBB63_466
; %bb.465:
	v_cvt_f32_f64_e32 v5, s[2:3]
	s_mov_b32 s9, 0
	s_mov_b32 s11, -1
	s_delay_alu instid0(VALU_DEP_1) | instskip(SKIP_1) | instid1(VALU_DEP_2)
	v_bfe_u32 v6, v5, 16, 1
	v_cmp_o_f32_e32 vcc_lo, v5, v5
	v_add_nc_u32_e32 v6, v5, v6
	s_delay_alu instid0(VALU_DEP_1) | instskip(NEXT) | instid1(VALU_DEP_1)
	v_add_nc_u32_e32 v6, 0x7fff, v6
	v_lshrrev_b32_e32 v6, 16, v6
	s_delay_alu instid0(VALU_DEP_1)
	v_cndmask_b32_e32 v5, 0x7fc0, v6, vcc_lo
	global_store_b16 v[3:4], v5, off
.LBB63_466:
	s_mov_b32 s10, 0
.LBB63_467:
	s_delay_alu instid0(SALU_CYCLE_1)
	s_and_b32 vcc_lo, exec_lo, s10
	s_mov_b32 s10, 0
	s_cbranch_vccz .LBB63_469
; %bb.468:
	v_cmp_ne_u16_e64 s9, s8, 11
	s_mov_b32 s10, -1
.LBB63_469:
	s_delay_alu instid0(VALU_DEP_1)
	s_and_b32 vcc_lo, exec_lo, s9
	s_mov_b32 s9, s6
	s_cbranch_vccnz .LBB63_522
; %bb.470:
	s_and_not1_b32 vcc_lo, exec_lo, s10
	s_cbranch_vccnz .LBB63_472
.LBB63_471:
	v_cmp_neq_f64_e64 s10, s[2:3], 0
	v_cmp_neq_f64_e64 s11, s[4:5], 0
	s_delay_alu instid0(VALU_DEP_1)
	s_or_b32 s10, s10, s11
	s_mov_b32 s11, -1
	v_cndmask_b32_e64 v5, 0, 1, s10
	global_store_b8 v[3:4], v5, off
.LBB63_472:
	s_mov_b32 s10, 0
.LBB63_473:
	s_delay_alu instid0(SALU_CYCLE_1)
	s_and_b32 vcc_lo, exec_lo, s10
	s_cbranch_vccz .LBB63_512
; %bb.474:
	v_cmp_lt_i16_e64 s10, s8, 5
	s_delay_alu instid0(VALU_DEP_1)
	s_and_b32 vcc_lo, exec_lo, s10
	s_mov_b32 s10, -1
	s_cbranch_vccnz .LBB63_495
; %bb.475:
	v_cmp_lt_i16_e64 s10, s8, 8
	s_delay_alu instid0(VALU_DEP_1)
	s_and_b32 vcc_lo, exec_lo, s10
	s_mov_b32 s10, -1
	s_cbranch_vccnz .LBB63_485
	;; [unrolled: 6-line block ×3, first 2 shown]
; %bb.477:
	v_cmp_gt_i16_e64 s10, s8, 9
	s_delay_alu instid0(VALU_DEP_1)
	s_and_b32 vcc_lo, exec_lo, s10
	s_mov_b32 s10, -1
	s_cbranch_vccz .LBB63_479
; %bb.478:
	v_dual_mov_b32 v5, s2 :: v_dual_mov_b32 v6, s3
	v_dual_mov_b32 v7, s4 :: v_dual_mov_b32 v8, s5
	s_mov_b32 s10, 0
	global_store_b128 v[3:4], v[5:8], off
.LBB63_479:
	s_and_not1_b32 vcc_lo, exec_lo, s10
	s_cbranch_vccnz .LBB63_481
; %bb.480:
	v_cvt_f32_f64_e32 v5, s[2:3]
	v_cvt_f32_f64_e32 v6, s[4:5]
	global_store_b64 v[3:4], v[5:6], off
.LBB63_481:
	s_mov_b32 s10, 0
.LBB63_482:
	s_delay_alu instid0(SALU_CYCLE_1)
	s_and_not1_b32 vcc_lo, exec_lo, s10
	s_cbranch_vccnz .LBB63_484
; %bb.483:
	v_cvt_f32_f64_e32 v5, s[4:5]
	v_cvt_f32_f64_e32 v6, s[2:3]
	s_delay_alu instid0(VALU_DEP_2) | instskip(NEXT) | instid1(VALU_DEP_2)
	v_cvt_f16_f32_e32 v5, v5
	v_cvt_f16_f32_e32 v6, v6
	s_delay_alu instid0(VALU_DEP_2) | instskip(NEXT) | instid1(VALU_DEP_2)
	v_lshlrev_b32_e32 v5, 16, v5
	v_and_b32_e32 v6, 0xffff, v6
	s_delay_alu instid0(VALU_DEP_1)
	v_or_b32_e32 v5, v5, v6
	global_store_b32 v[3:4], v5, off
.LBB63_484:
	s_mov_b32 s10, 0
.LBB63_485:
	s_delay_alu instid0(SALU_CYCLE_1)
	s_and_not1_b32 vcc_lo, exec_lo, s10
	s_cbranch_vccnz .LBB63_494
; %bb.486:
	v_cmp_lt_i16_e64 s10, s8, 6
	s_delay_alu instid0(VALU_DEP_1)
	s_and_b32 vcc_lo, exec_lo, s10
	s_mov_b32 s10, -1
	s_cbranch_vccnz .LBB63_492
; %bb.487:
	v_cmp_gt_i16_e64 s10, s8, 6
	s_delay_alu instid0(VALU_DEP_1)
	s_and_b32 vcc_lo, exec_lo, s10
	s_mov_b32 s10, -1
	s_cbranch_vccz .LBB63_489
; %bb.488:
	v_dual_mov_b32 v6, s3 :: v_dual_mov_b32 v5, s2
	s_mov_b32 s10, 0
	global_store_b64 v[3:4], v[5:6], off
.LBB63_489:
	s_and_not1_b32 vcc_lo, exec_lo, s10
	s_cbranch_vccnz .LBB63_491
; %bb.490:
	v_cvt_f32_f64_e32 v5, s[2:3]
	global_store_b32 v[3:4], v5, off
.LBB63_491:
	s_mov_b32 s10, 0
.LBB63_492:
	s_delay_alu instid0(SALU_CYCLE_1)
	s_and_not1_b32 vcc_lo, exec_lo, s10
	s_cbranch_vccnz .LBB63_494
; %bb.493:
	v_cvt_f32_f64_e32 v5, s[2:3]
	s_delay_alu instid0(VALU_DEP_1)
	v_cvt_f16_f32_e32 v5, v5
	global_store_b16 v[3:4], v5, off
.LBB63_494:
	s_mov_b32 s10, 0
.LBB63_495:
	s_delay_alu instid0(SALU_CYCLE_1)
	s_and_not1_b32 vcc_lo, exec_lo, s10
	s_cbranch_vccnz .LBB63_511
; %bb.496:
	v_cmp_lt_i16_e64 s10, s8, 2
	s_delay_alu instid0(VALU_DEP_1)
	s_and_b32 vcc_lo, exec_lo, s10
	s_mov_b32 s10, -1
	s_cbranch_vccnz .LBB63_506
; %bb.497:
	v_cmp_lt_i16_e64 s10, s8, 3
	s_delay_alu instid0(VALU_DEP_1)
	s_and_b32 vcc_lo, exec_lo, s10
	s_mov_b32 s10, -1
	s_cbranch_vccnz .LBB63_503
; %bb.498:
	v_cmp_gt_i16_e64 s10, s8, 3
	s_delay_alu instid0(VALU_DEP_1)
	s_and_b32 vcc_lo, exec_lo, s10
	s_mov_b32 s10, -1
	s_cbranch_vccz .LBB63_500
; %bb.499:
	v_trunc_f64_e32 v[5:6], s[2:3]
	s_mov_b32 s10, 0
	s_delay_alu instid0(VALU_DEP_1) | instskip(NEXT) | instid1(VALU_DEP_1)
	v_ldexp_f64 v[7:8], v[5:6], 0xffffffe0
	v_floor_f64_e32 v[7:8], v[7:8]
	s_delay_alu instid0(VALU_DEP_1) | instskip(SKIP_1) | instid1(VALU_DEP_2)
	v_fma_f64 v[5:6], 0xc1f00000, v[7:8], v[5:6]
	v_cvt_i32_f64_e32 v7, v[7:8]
	v_cvt_u32_f64_e32 v6, v[5:6]
	global_store_b64 v[3:4], v[6:7], off
.LBB63_500:
	s_and_not1_b32 vcc_lo, exec_lo, s10
	s_cbranch_vccnz .LBB63_502
; %bb.501:
	v_cvt_i32_f64_e32 v5, s[2:3]
	global_store_b32 v[3:4], v5, off
.LBB63_502:
	s_mov_b32 s10, 0
.LBB63_503:
	s_delay_alu instid0(SALU_CYCLE_1)
	s_and_not1_b32 vcc_lo, exec_lo, s10
	s_cbranch_vccnz .LBB63_505
; %bb.504:
	v_cvt_i32_f64_e32 v5, s[2:3]
	global_store_b16 v[3:4], v5, off
.LBB63_505:
	s_mov_b32 s10, 0
.LBB63_506:
	s_delay_alu instid0(SALU_CYCLE_1)
	s_and_not1_b32 vcc_lo, exec_lo, s10
	s_cbranch_vccnz .LBB63_511
; %bb.507:
	v_cmp_gt_i16_e64 s10, s8, 0
	s_delay_alu instid0(VALU_DEP_1)
	s_and_b32 vcc_lo, exec_lo, s10
	s_mov_b32 s10, -1
	s_cbranch_vccz .LBB63_509
; %bb.508:
	v_cvt_i32_f64_e32 v5, s[2:3]
	s_mov_b32 s10, 0
	global_store_b8 v[3:4], v5, off
.LBB63_509:
	s_and_not1_b32 vcc_lo, exec_lo, s10
	s_cbranch_vccnz .LBB63_511
; %bb.510:
	v_trunc_f64_e32 v[5:6], s[2:3]
	s_delay_alu instid0(VALU_DEP_1) | instskip(NEXT) | instid1(VALU_DEP_1)
	v_ldexp_f64 v[7:8], v[5:6], 0xffffffe0
	v_floor_f64_e32 v[7:8], v[7:8]
	s_delay_alu instid0(VALU_DEP_1) | instskip(NEXT) | instid1(VALU_DEP_1)
	v_fma_f64 v[5:6], 0xc1f00000, v[7:8], v[5:6]
	v_cvt_u32_f64_e32 v5, v[5:6]
	global_store_b8 v[3:4], v5, off
.LBB63_511:
	s_mov_b32 s11, -1
.LBB63_512:
	s_delay_alu instid0(SALU_CYCLE_1)
	s_and_not1_b32 vcc_lo, exec_lo, s11
	s_cbranch_vccnz .LBB63_910
; %bb.513:
	v_cmp_lt_i16_e64 s10, s8, 11
	v_add_co_u32 v2, s11, s0, v2
	s_delay_alu instid0(VALU_DEP_1) | instskip(SKIP_1) | instid1(VALU_DEP_3)
	v_add_co_ci_u32_e64 v3, null, s1, 0, s11
	s_mov_b32 s12, 0
	s_and_b32 vcc_lo, exec_lo, s10
	s_mov_b32 s10, -1
	s_cbranch_vccnz .LBB63_729
; %bb.514:
	v_cmp_gt_i16_e64 s10, s8, 25
	s_mov_b32 s13, -1
	s_mov_b32 s11, 0
	s_delay_alu instid0(VALU_DEP_1)
	s_and_b32 vcc_lo, exec_lo, s10
	s_mov_b32 s10, 0
	s_cbranch_vccz .LBB63_556
; %bb.515:
	v_cmp_gt_i16_e64 s10, s8, 28
	s_delay_alu instid0(VALU_DEP_1)
	s_and_b32 vcc_lo, exec_lo, s10
	s_cbranch_vccz .LBB63_520
; %bb.516:
	v_cmp_gt_i16_e64 s10, s8, 43
	s_delay_alu instid0(VALU_DEP_1)
	s_and_b32 vcc_lo, exec_lo, s10
	s_cbranch_vccz .LBB63_521
; %bb.517:
	v_cmp_gt_i16_e64 s10, s8, 45
	s_delay_alu instid0(VALU_DEP_1)
	s_and_b32 vcc_lo, exec_lo, s10
	s_cbranch_vccz .LBB63_524
; %bb.518:
	v_cmp_eq_u16_e64 s12, s8, 46
	s_mov_b32 s10, -1
	s_mov_b32 s13, 0
	s_delay_alu instid0(VALU_DEP_1)
	s_and_b32 vcc_lo, exec_lo, s12
	s_mov_b32 s12, 0
	s_cbranch_vccz .LBB63_525
; %bb.519:
	v_cvt_f32_f64_e32 v5, s[2:3]
	v_cvt_f32_f64_e32 v4, s[4:5]
	s_mov_b32 s10, 0
	s_mov_b32 s12, -1
	s_delay_alu instid0(VALU_DEP_2) | instskip(NEXT) | instid1(VALU_DEP_2)
	v_bfe_u32 v7, v5, 16, 1
	v_cmp_o_f32_e32 vcc_lo, v4, v4
	v_bfe_u32 v6, v4, 16, 1
	s_delay_alu instid0(VALU_DEP_3) | instskip(NEXT) | instid1(VALU_DEP_1)
	v_add_nc_u32_e32 v7, v5, v7
	v_add_nc_u32_e32 v7, 0x7fff, v7
	s_delay_alu instid0(VALU_DEP_1) | instskip(NEXT) | instid1(VALU_DEP_4)
	v_lshrrev_b32_e32 v7, 16, v7
	v_add_nc_u32_e32 v6, v4, v6
	s_delay_alu instid0(VALU_DEP_1) | instskip(NEXT) | instid1(VALU_DEP_1)
	v_add_nc_u32_e32 v6, 0x7fff, v6
	v_and_b32_e32 v6, 0xffff0000, v6
	s_delay_alu instid0(VALU_DEP_1) | instskip(SKIP_2) | instid1(VALU_DEP_1)
	v_cndmask_b32_e32 v4, 0x7fc00000, v6, vcc_lo
	v_cmp_o_f32_e32 vcc_lo, v5, v5
	v_cndmask_b32_e32 v5, 0x7fc0, v7, vcc_lo
	v_or_b32_e32 v4, v4, v5
	global_store_b32 v[2:3], v4, off
	s_branch .LBB63_525
.LBB63_520:
	s_mov_b32 s10, 0
	s_branch .LBB63_535
.LBB63_521:
	s_mov_b32 s10, 0
	s_branch .LBB63_531
.LBB63_522:
	s_cbranch_execnz .LBB63_546
; %bb.523:
	s_or_b32 s9, s6, exec_lo
	s_cbranch_execz .LBB63_471
	s_branch .LBB63_472
.LBB63_524:
	s_mov_b32 s10, 0
.LBB63_525:
	s_and_b32 vcc_lo, exec_lo, s13
	s_cbranch_vccz .LBB63_530
; %bb.526:
	v_cmp_eq_u16_e64 s10, s8, 44
	s_delay_alu instid0(VALU_DEP_1)
	s_and_b32 vcc_lo, exec_lo, s10
	s_mov_b32 s10, -1
	s_cbranch_vccz .LBB63_530
; %bb.527:
	v_cvt_f32_f64_e32 v4, s[2:3]
	v_mov_b32_e32 v5, 0xff
	s_delay_alu instid0(VALU_DEP_2) | instskip(NEXT) | instid1(VALU_DEP_1)
	v_readfirstlane_b32 s10, v4
	s_bfe_u32 s12, s10, 0x80017
	s_delay_alu instid0(SALU_CYCLE_1)
	s_cmpk_eq_i32 s12, 0xff
	s_cbranch_scc1 .LBB63_529
; %bb.528:
	s_bitcmp1_b32 s10, 22
	v_lshrrev_b32_e32 v4, 23, v4
	s_cselect_b32 s13, -1, 0
	s_and_b32 s10, s10, 0x3fffff
	s_delay_alu instid0(SALU_CYCLE_1) | instskip(NEXT) | instid1(SALU_CYCLE_1)
	s_or_b32 s10, s12, s10
	s_cmp_lg_u32 s10, 0
	s_cselect_b32 s10, -1, 0
	s_delay_alu instid0(SALU_CYCLE_1) | instskip(NEXT) | instid1(SALU_CYCLE_1)
	s_and_b32 s10, s13, s10
	v_cndmask_b32_e64 v5, 0, 1, s10
	s_delay_alu instid0(VALU_DEP_1)
	v_add_nc_u32_e32 v5, v4, v5
.LBB63_529:
	s_mov_b32 s10, 0
	s_mov_b32 s12, -1
	global_store_b8 v[2:3], v5, off
.LBB63_530:
	s_mov_b32 s13, 0
.LBB63_531:
	s_delay_alu instid0(SALU_CYCLE_1)
	s_and_b32 vcc_lo, exec_lo, s13
	s_cbranch_vccz .LBB63_534
; %bb.532:
	v_cmp_eq_u16_e64 s10, s8, 29
	s_delay_alu instid0(VALU_DEP_1)
	s_and_b32 vcc_lo, exec_lo, s10
	s_mov_b32 s10, -1
	s_cbranch_vccz .LBB63_534
; %bb.533:
	v_trunc_f64_e32 v[4:5], s[2:3]
	s_mov_b32 s10, 0
	s_mov_b32 s12, -1
	s_mov_b32 s13, 0
	s_delay_alu instid0(VALU_DEP_1) | instskip(NEXT) | instid1(VALU_DEP_1)
	v_ldexp_f64 v[6:7], v[4:5], 0xffffffe0
	v_floor_f64_e32 v[6:7], v[6:7]
	s_delay_alu instid0(VALU_DEP_1) | instskip(SKIP_1) | instid1(VALU_DEP_2)
	v_fma_f64 v[4:5], 0xc1f00000, v[6:7], v[4:5]
	v_cvt_u32_f64_e32 v6, v[6:7]
	v_cvt_u32_f64_e32 v5, v[4:5]
	global_store_b64 v[2:3], v[5:6], off
	s_branch .LBB63_535
.LBB63_534:
	s_mov_b32 s13, 0
.LBB63_535:
	s_delay_alu instid0(SALU_CYCLE_1)
	s_and_b32 vcc_lo, exec_lo, s13
	s_cbranch_vccz .LBB63_555
; %bb.536:
	v_cmp_lt_i16_e64 s12, s8, 27
	s_delay_alu instid0(VALU_DEP_1)
	s_and_b32 vcc_lo, exec_lo, s12
	s_mov_b32 s12, -1
	s_cbranch_vccnz .LBB63_542
; %bb.537:
	v_cmp_gt_i16_e64 s12, s8, 27
	s_delay_alu instid0(VALU_DEP_1)
	s_and_b32 vcc_lo, exec_lo, s12
	s_mov_b32 s12, -1
	s_cbranch_vccz .LBB63_539
; %bb.538:
	v_cvt_u32_f64_e32 v4, s[2:3]
	s_mov_b32 s12, 0
	global_store_b32 v[2:3], v4, off
.LBB63_539:
	s_and_not1_b32 vcc_lo, exec_lo, s12
	s_cbranch_vccnz .LBB63_541
; %bb.540:
	v_cvt_u32_f64_e32 v4, s[2:3]
	global_store_b16 v[2:3], v4, off
.LBB63_541:
	s_mov_b32 s12, 0
.LBB63_542:
	s_delay_alu instid0(SALU_CYCLE_1)
	s_and_not1_b32 vcc_lo, exec_lo, s12
	s_cbranch_vccnz .LBB63_554
; %bb.543:
	v_cvt_f32_f64_e32 v4, s[2:3]
	v_mov_b32_e32 v5, 0x80
	s_delay_alu instid0(VALU_DEP_2) | instskip(NEXT) | instid1(VALU_DEP_1)
	v_readfirstlane_b32 s12, v4
	s_and_b32 s13, s12, 0x7fffffff
	s_delay_alu instid0(SALU_CYCLE_1)
	s_cmp_gt_u32 s13, 0x437fffff
	s_cbranch_scc1 .LBB63_553
; %bb.544:
	s_cmp_gt_u32 s13, 0x3bffffff
	s_cbranch_scc0 .LBB63_548
; %bb.545:
	s_bfe_u32 s13, s12, 0x10014
	s_mov_b32 s14, 0
	s_add_i32 s13, s12, s13
	s_delay_alu instid0(SALU_CYCLE_1) | instskip(NEXT) | instid1(SALU_CYCLE_1)
	s_add_i32 s13, s13, 0x487ffff
	s_lshr_b32 s15, s13, 20
	s_mov_b32 s13, -1
	s_branch .LBB63_549
.LBB63_546:
	s_trap 2
	s_sendmsg_rtn_b32 s0, sendmsg(MSG_RTN_GET_DOORBELL)
	s_mov_b32 ttmp2, m0
	s_waitcnt lgkmcnt(0)
	s_and_b32 s0, s0, 0x3ff
	s_delay_alu instid0(SALU_CYCLE_1) | instskip(NEXT) | instid1(SALU_CYCLE_1)
	s_bitset1_b32 s0, 10
	s_mov_b32 m0, s0
	s_sendmsg sendmsg(MSG_INTERRUPT)
	s_mov_b32 m0, ttmp2
.LBB63_547:                             ; =>This Inner Loop Header: Depth=1
	s_sethalt 5
	s_branch .LBB63_547
.LBB63_548:
	s_mov_b32 s14, -1
	s_mov_b32 s13, 0
                                        ; implicit-def: $sgpr15
.LBB63_549:
	v_mov_b32_e32 v4, s15
	s_and_not1_b32 vcc_lo, exec_lo, s14
                                        ; implicit-def: $sgpr14
	s_cbranch_vccnz .LBB63_551
; %bb.550:
	v_add_f32_e64 v4, 0x46000000, |s12|
	s_mov_b32 s14, 0
	s_delay_alu instid0(VALU_DEP_1) | instskip(NEXT) | instid1(VALU_DEP_1)
	v_and_b32_e32 v4, 0xff, v4
	v_cmp_ne_u32_e64 s13, 0, v4
.LBB63_551:
	v_mov_b32_e32 v5, s14
	s_delay_alu instid0(VALU_DEP_2)
	s_and_not1_b32 vcc_lo, exec_lo, s13
	s_cbranch_vccnz .LBB63_553
; %bb.552:
	s_lshr_b32 s12, s12, 24
	s_delay_alu instid0(SALU_CYCLE_1) | instskip(NEXT) | instid1(SALU_CYCLE_1)
	s_and_b32 s12, s12, 0x80
	v_or_b32_e32 v5, s12, v4
.LBB63_553:
	global_store_b8 v[2:3], v5, off
.LBB63_554:
	s_mov_b32 s12, -1
.LBB63_555:
	s_mov_b32 s13, 0
.LBB63_556:
	s_delay_alu instid0(SALU_CYCLE_1)
	s_and_b32 vcc_lo, exec_lo, s13
	s_cbranch_vccz .LBB63_725
; %bb.557:
	v_cmp_gt_i16_e64 s11, s8, 22
	s_delay_alu instid0(VALU_DEP_1)
	s_and_b32 vcc_lo, exec_lo, s11
	s_mov_b32 s11, -1
	s_cbranch_vccz .LBB63_718
; %bb.558:
	v_cmp_lt_i16_e64 s11, s8, 24
	s_delay_alu instid0(VALU_DEP_1)
	s_and_b32 vcc_lo, exec_lo, s11
	s_mov_b32 s11, -1
	s_cbranch_vccnz .LBB63_705
; %bb.559:
	v_cmp_gt_i16_e64 s11, s8, 24
	s_delay_alu instid0(VALU_DEP_1)
	s_and_b32 vcc_lo, exec_lo, s11
	s_mov_b32 s11, -1
	s_cbranch_vccz .LBB63_692
; %bb.560:
	v_cvt_f32_f64_e32 v4, s[2:3]
	v_mov_b32_e32 v5, 0x80
	s_delay_alu instid0(VALU_DEP_2) | instskip(NEXT) | instid1(VALU_DEP_1)
	v_readfirstlane_b32 s11, v4
	s_and_b32 s12, s11, 0x7fffffff
	s_delay_alu instid0(SALU_CYCLE_1)
	s_cmp_gt_u32 s12, 0x477fffff
	s_cbranch_scc1 .LBB63_691
; %bb.561:
	s_cmp_gt_u32 s12, 0x37ffffff
	s_cbranch_scc0 .LBB63_686
; %bb.562:
	s_bfe_u32 s12, s11, 0x10015
	s_mov_b32 s13, 0
	s_add_i32 s12, s11, s12
	s_delay_alu instid0(SALU_CYCLE_1) | instskip(NEXT) | instid1(SALU_CYCLE_1)
	s_add_i32 s12, s12, 0x88fffff
	s_lshr_b32 s14, s12, 21
	s_mov_b32 s12, -1
	s_branch .LBB63_687
.LBB63_563:
	s_mov_b32 s20, s54
.LBB63_564:
	s_and_b32 vcc_lo, exec_lo, s22
	s_cbranch_vccz .LBB63_567
; %bb.565:
	v_cmp_eq_u16_e32 vcc_lo, 44, v20
	s_mov_b32 s20, -1
	s_cbranch_vccz .LBB63_567
; %bb.566:
	v_cndmask_b32_e64 v21, v18, 0xff, s0
	s_mov_b32 s21, -1
	s_mov_b32 s20, 0
	global_store_b8 v[6:7], v21, off
.LBB63_567:
	s_mov_b32 s22, 0
.LBB63_568:
	s_delay_alu instid0(SALU_CYCLE_1)
	s_and_b32 vcc_lo, exec_lo, s22
	s_cbranch_vccz .LBB63_571
; %bb.569:
	v_cmp_eq_u16_e32 vcc_lo, 29, v20
	s_mov_b32 s20, -1
	s_cbranch_vccz .LBB63_571
; %bb.570:
	s_mov_b32 s21, -1
	s_mov_b32 s20, 0
	global_store_b64 v[6:7], v[2:3], off
.LBB63_571:
	s_mov_b32 s22, 0
.LBB63_572:
	s_delay_alu instid0(SALU_CYCLE_1)
	s_and_b32 vcc_lo, exec_lo, s22
	s_cbranch_vccz .LBB63_585
; %bb.573:
	v_cmp_gt_i16_e32 vcc_lo, 27, v20
	s_mov_b32 s21, -1
	s_cbranch_vccnz .LBB63_579
; %bb.574:
	v_cmp_lt_i16_e32 vcc_lo, 27, v20
	s_cbranch_vccz .LBB63_576
; %bb.575:
	s_mov_b32 s21, 0
	global_store_b32 v[6:7], v17, off
.LBB63_576:
	s_and_not1_b32 vcc_lo, exec_lo, s21
	s_cbranch_vccnz .LBB63_578
; %bb.577:
	global_store_b16 v[6:7], v17, off
.LBB63_578:
	s_mov_b32 s21, 0
.LBB63_579:
	s_delay_alu instid0(SALU_CYCLE_1)
	s_and_not1_b32 vcc_lo, exec_lo, s21
	s_cbranch_vccnz .LBB63_584
; %bb.580:
	v_mov_b32_e32 v21, 0x80
	s_and_not1_b32 vcc_lo, exec_lo, s45
	s_cbranch_vccnz .LBB63_583
; %bb.581:
	v_mov_b32_e32 v21, 0
	s_or_b32 s21, s43, s46
	s_delay_alu instid0(SALU_CYCLE_1)
	s_and_not1_b32 vcc_lo, exec_lo, s21
	s_cbranch_vccnz .LBB63_583
; %bb.582:
	v_cndmask_b32_e64 v21, v16, s44, s43
	s_delay_alu instid0(VALU_DEP_1)
	v_or_b32_e32 v21, v21, v13
.LBB63_583:
	global_store_b8 v[6:7], v21, off
.LBB63_584:
	s_mov_b32 s21, -1
.LBB63_585:
	s_mov_b32 s22, 0
.LBB63_586:
	s_delay_alu instid0(SALU_CYCLE_1)
	s_and_b32 vcc_lo, exec_lo, s22
	s_cbranch_vccz .LBB63_608
; %bb.587:
	v_cmp_lt_i16_e32 vcc_lo, 22, v20
	s_mov_b32 s22, -1
	s_cbranch_vccz .LBB63_600
; %bb.588:
	v_cmp_gt_i16_e32 vcc_lo, 24, v20
	s_mov_b32 s21, -1
	s_cbranch_vccnz .LBB63_597
; %bb.589:
	v_cmp_lt_i16_e32 vcc_lo, 24, v20
	s_cbranch_vccz .LBB63_594
; %bb.590:
	v_mov_b32_e32 v21, 0x80
	s_and_not1_b32 vcc_lo, exec_lo, s41
	s_cbranch_vccnz .LBB63_593
; %bb.591:
	v_mov_b32_e32 v21, 0
	s_or_b32 s21, s37, s42
	s_delay_alu instid0(SALU_CYCLE_1)
	s_and_not1_b32 vcc_lo, exec_lo, s21
	s_cbranch_vccnz .LBB63_593
; %bb.592:
	v_cndmask_b32_e64 v21, v15, s39, s37
	s_delay_alu instid0(VALU_DEP_1)
	v_or_b32_e32 v21, v21, v13
.LBB63_593:
	s_mov_b32 s21, 0
	global_store_b8 v[6:7], v21, off
.LBB63_594:
	s_and_b32 vcc_lo, exec_lo, s21
	s_cbranch_vccz .LBB63_596
; %bb.595:
	s_and_b32 s21, s36, exec_lo
	s_cselect_b32 s21, s30, s38
	s_and_b32 s22, s34, exec_lo
	s_cselect_b32 s21, s40, s21
	s_delay_alu instid0(SALU_CYCLE_1)
	v_or_b32_e32 v21, s21, v13
	global_store_b8 v[6:7], v21, off
.LBB63_596:
	s_mov_b32 s21, 0
.LBB63_597:
	s_delay_alu instid0(SALU_CYCLE_1)
	s_and_not1_b32 vcc_lo, exec_lo, s21
	s_cbranch_vccnz .LBB63_599
; %bb.598:
	s_and_b32 s21, s31, exec_lo
	s_cselect_b32 s21, s1, s33
	s_and_b32 s22, s29, exec_lo
	s_cselect_b32 s21, s35, s21
	s_delay_alu instid0(SALU_CYCLE_1)
	v_or_b32_e32 v21, s21, v13
	global_store_b8 v[6:7], v21, off
.LBB63_599:
	s_mov_b32 s22, 0
	s_mov_b32 s21, -1
.LBB63_600:
	s_and_not1_b32 vcc_lo, exec_lo, s22
	s_cbranch_vccnz .LBB63_608
; %bb.601:
	v_cmp_lt_i16_e32 vcc_lo, 14, v20
	s_mov_b32 s22, -1
	s_cbranch_vccz .LBB63_605
; %bb.602:
	v_cmp_eq_u16_e32 vcc_lo, 15, v20
	s_mov_b32 s20, -1
	s_cbranch_vccz .LBB63_604
; %bb.603:
	s_mov_b32 s21, -1
	s_mov_b32 s20, 0
	global_store_b16 v[6:7], v14, off
.LBB63_604:
	s_mov_b32 s22, 0
.LBB63_605:
	s_delay_alu instid0(SALU_CYCLE_1)
	s_and_b32 vcc_lo, exec_lo, s22
	s_cbranch_vccz .LBB63_608
; %bb.606:
	v_cmp_eq_u16_e32 vcc_lo, 11, v20
	s_mov_b32 s20, -1
	s_cbranch_vccz .LBB63_608
; %bb.607:
	s_mov_b32 s21, -1
	s_mov_b32 s20, 0
	global_store_b8 v[6:7], v12, off
.LBB63_608:
.LBB63_609:
	s_and_not1_b32 vcc_lo, exec_lo, s21
	s_cbranch_vccnz .LBB63_426
.LBB63_610:
	v_add_nc_u32_e32 v10, 0x80, v10
	s_mov_b32 s21, -1
.LBB63_611:
	s_and_not1_b32 s22, s54, exec_lo
	s_and_b32 s20, s20, exec_lo
	s_or_not1_b32 s57, s21, exec_lo
	s_or_b32 s22, s22, s20
.LBB63_612:
	s_or_b32 exec_lo, exec_lo, s56
	s_mov_b32 s20, 0
	s_mov_b32 s21, 0
                                        ; implicit-def: $vgpr20
                                        ; implicit-def: $vgpr6_vgpr7
	s_and_saveexec_b32 s23, s57
	s_cbranch_execz .LBB63_680
; %bb.613:
	v_cmp_gt_i32_e32 vcc_lo, s49, v10
	s_mov_b32 s56, s22
                                        ; implicit-def: $vgpr20
                                        ; implicit-def: $vgpr6_vgpr7
	s_and_saveexec_b32 s49, vcc_lo
	s_cbranch_execz .LBB63_679
; %bb.614:
	s_and_not1_b32 vcc_lo, exec_lo, s27
	s_cbranch_vccnz .LBB63_619
; %bb.615:
	v_mov_b32_e32 v6, 0
	s_and_not1_b32 vcc_lo, exec_lo, s51
	s_cbranch_vccnz .LBB63_624
; %bb.616:
	s_add_i32 s51, s50, 1
	s_cmp_eq_u32 s25, 2
	s_mov_b32 s50, 0
	s_cbranch_scc1 .LBB63_620
; %bb.617:
	v_dual_mov_b32 v6, 0 :: v_dual_mov_b32 v7, v10
	s_and_b32 s50, s51, 28
	s_mov_b32 s56, 0
	s_mov_b64 s[20:21], s[12:13]
.LBB63_618:                             ; =>This Inner Loop Header: Depth=1
	s_clause 0x1
	s_load_b256 s[60:67], s[20:21], 0x4
	s_load_b128 s[68:71], s[20:21], 0x24
	s_load_b128 s[72:75], s[18:19], 0x0
	s_add_u32 s20, s20, 48
	s_addc_u32 s21, s21, 0
	s_add_i32 s56, s56, 4
	s_add_u32 s18, s18, 16
	s_addc_u32 s19, s19, 0
	s_cmp_eq_u32 s50, s56
	s_waitcnt lgkmcnt(0)
	v_mul_hi_u32 v20, s61, v7
	s_delay_alu instid0(VALU_DEP_1) | instskip(NEXT) | instid1(VALU_DEP_1)
	v_add_nc_u32_e32 v20, v7, v20
	v_lshrrev_b32_e32 v20, s62, v20
	s_delay_alu instid0(VALU_DEP_1) | instskip(SKIP_1) | instid1(VALU_DEP_2)
	v_mul_hi_u32 v21, s64, v20
	v_mul_lo_u32 v24, v20, s60
	v_add_nc_u32_e32 v21, v20, v21
	s_delay_alu instid0(VALU_DEP_2) | instskip(NEXT) | instid1(VALU_DEP_2)
	v_sub_nc_u32_e32 v24, v7, v24
	v_lshrrev_b32_e32 v21, s65, v21
	s_delay_alu instid0(VALU_DEP_2) | instskip(NEXT) | instid1(VALU_DEP_2)
	v_mul_lo_u32 v24, v24, s72
	v_mul_hi_u32 v22, s67, v21
	v_mul_lo_u32 v25, v21, s63
	s_delay_alu instid0(VALU_DEP_2) | instskip(NEXT) | instid1(VALU_DEP_2)
	v_add_nc_u32_e32 v22, v21, v22
	v_sub_nc_u32_e32 v20, v20, v25
	s_delay_alu instid0(VALU_DEP_2) | instskip(NEXT) | instid1(VALU_DEP_2)
	v_lshrrev_b32_e32 v22, s68, v22
	v_mul_lo_u32 v20, v20, s73
	s_delay_alu instid0(VALU_DEP_2) | instskip(NEXT) | instid1(VALU_DEP_2)
	v_mul_hi_u32 v23, s70, v22
	v_add3_u32 v6, v24, v6, v20
	s_delay_alu instid0(VALU_DEP_2) | instskip(NEXT) | instid1(VALU_DEP_1)
	v_add_nc_u32_e32 v23, v22, v23
	v_lshrrev_b32_e32 v7, s71, v23
	v_mul_lo_u32 v23, v22, s66
	s_delay_alu instid0(VALU_DEP_2) | instskip(NEXT) | instid1(VALU_DEP_2)
	v_mul_lo_u32 v26, v7, s69
	v_sub_nc_u32_e32 v21, v21, v23
	s_delay_alu instid0(VALU_DEP_2) | instskip(NEXT) | instid1(VALU_DEP_2)
	v_sub_nc_u32_e32 v22, v22, v26
	v_mul_lo_u32 v21, v21, s74
	s_delay_alu instid0(VALU_DEP_2) | instskip(NEXT) | instid1(VALU_DEP_1)
	v_mul_lo_u32 v22, v22, s75
	v_add3_u32 v6, v21, v6, v22
	s_cbranch_scc0 .LBB63_618
	s_branch .LBB63_621
.LBB63_619:
	s_mov_b32 s18, -1
                                        ; implicit-def: $vgpr6
	s_branch .LBB63_625
.LBB63_620:
	v_mov_b32_e32 v7, v10
.LBB63_621:
	s_and_b32 s51, s51, 3
	s_delay_alu instid0(SALU_CYCLE_1)
	s_cmp_eq_u32 s51, 0
	s_cbranch_scc1 .LBB63_624
; %bb.622:
	s_lshl_b32 s18, s50, 2
	s_mul_i32 s20, s50, 12
	s_add_u32 s18, s18, s12
	s_addc_u32 s19, s13, 0
	s_add_u32 s18, s18, 0xc4
	s_addc_u32 s19, s19, 0
	;; [unrolled: 2-line block ×3, first 2 shown]
.LBB63_623:                             ; =>This Inner Loop Header: Depth=1
	s_clause 0x1
	s_load_b64 s[56:57], s[20:21], 0x4
	s_load_b32 s50, s[20:21], 0xc
	s_add_u32 s20, s20, 12
	s_addc_u32 s21, s21, 0
	s_waitcnt lgkmcnt(0)
	v_mul_hi_u32 v20, s57, v7
	s_load_b32 s57, s[18:19], 0x0
	s_add_u32 s18, s18, 4
	s_addc_u32 s19, s19, 0
	s_add_i32 s51, s51, -1
	s_delay_alu instid0(SALU_CYCLE_1) | instskip(NEXT) | instid1(VALU_DEP_1)
	s_cmp_lg_u32 s51, 0
	v_add_nc_u32_e32 v20, v7, v20
	s_delay_alu instid0(VALU_DEP_1) | instskip(NEXT) | instid1(VALU_DEP_1)
	v_lshrrev_b32_e32 v22, s50, v20
	v_mul_lo_u32 v20, v22, s56
	s_delay_alu instid0(VALU_DEP_1) | instskip(SKIP_1) | instid1(VALU_DEP_1)
	v_sub_nc_u32_e32 v7, v7, v20
	s_waitcnt lgkmcnt(0)
	v_mad_u64_u32 v[20:21], null, v7, s57, v[6:7]
	s_delay_alu instid0(VALU_DEP_1)
	v_dual_mov_b32 v7, v22 :: v_dual_mov_b32 v6, v20
	s_cbranch_scc1 .LBB63_623
.LBB63_624:
	s_mov_b32 s18, 0
.LBB63_625:
	s_delay_alu instid0(SALU_CYCLE_1)
	s_and_not1_b32 vcc_lo, exec_lo, s18
	s_cbranch_vccnz .LBB63_628
; %bb.626:
	v_mul_hi_u32 v6, s9, v10
	s_and_not1_b32 vcc_lo, exec_lo, s48
	s_delay_alu instid0(VALU_DEP_1) | instskip(NEXT) | instid1(VALU_DEP_1)
	v_add_nc_u32_e32 v6, v10, v6
	v_lshrrev_b32_e32 v7, s10, v6
	s_delay_alu instid0(VALU_DEP_1) | instskip(NEXT) | instid1(VALU_DEP_1)
	v_mul_lo_u32 v6, v7, s8
	v_sub_nc_u32_e32 v6, v10, v6
	s_delay_alu instid0(VALU_DEP_1)
	v_mul_lo_u32 v6, v6, s14
	s_cbranch_vccnz .LBB63_628
; %bb.627:
	v_mul_hi_u32 v10, s16, v7
	s_delay_alu instid0(VALU_DEP_1) | instskip(NEXT) | instid1(VALU_DEP_1)
	v_add_nc_u32_e32 v10, v7, v10
	v_lshrrev_b32_e32 v10, s17, v10
	s_delay_alu instid0(VALU_DEP_1) | instskip(NEXT) | instid1(VALU_DEP_1)
	v_mul_lo_u32 v10, v10, s11
	v_sub_nc_u32_e32 v7, v7, v10
	s_delay_alu instid0(VALU_DEP_1) | instskip(NEXT) | instid1(VALU_DEP_1)
	v_mad_u64_u32 v[20:21], null, v7, s15, v[6:7]
	v_mov_b32_e32 v6, v20
.LBB63_628:
	v_and_b32_e64 v20, 0xff, s47
	s_delay_alu instid0(VALU_DEP_2) | instskip(NEXT) | instid1(VALU_DEP_1)
	v_add_co_u32 v6, s4, s4, v6
	v_add_co_ci_u32_e64 v7, null, s5, 0, s4
	s_delay_alu instid0(VALU_DEP_3)
	v_cmp_gt_i16_e32 vcc_lo, 11, v20
	s_mov_b32 s8, 0
	s_mov_b32 s5, -1
	s_mov_b32 s4, s22
	s_cbranch_vccnz .LBB63_678
; %bb.629:
	v_cmp_lt_i16_e32 vcc_lo, 25, v20
	s_mov_b32 s4, s22
	s_cbranch_vccz .LBB63_657
; %bb.630:
	v_cmp_lt_i16_e32 vcc_lo, 28, v20
	s_mov_b32 s4, s22
	s_cbranch_vccz .LBB63_644
	;; [unrolled: 4-line block ×4, first 2 shown]
; %bb.633:
	v_cmp_eq_u16_e32 vcc_lo, 46, v20
	s_mov_b32 s4, -1
	s_cbranch_vccz .LBB63_635
; %bb.634:
	s_mov_b32 s4, 0
	global_store_b32 v[6:7], v19, off
.LBB63_635:
	s_mov_b32 s5, 0
.LBB63_636:
	s_delay_alu instid0(SALU_CYCLE_1)
	s_and_b32 vcc_lo, exec_lo, s5
	s_cbranch_vccz .LBB63_639
; %bb.637:
	v_cmp_eq_u16_e32 vcc_lo, 44, v20
	s_mov_b32 s4, -1
	s_cbranch_vccz .LBB63_639
; %bb.638:
	v_cndmask_b32_e64 v10, v18, 0xff, s0
	s_mov_b32 s4, 0
	global_store_b8 v[6:7], v10, off
.LBB63_639:
	s_mov_b32 s5, 0
.LBB63_640:
	s_delay_alu instid0(SALU_CYCLE_1)
	s_and_b32 vcc_lo, exec_lo, s5
	s_cbranch_vccz .LBB63_643
; %bb.641:
	v_cmp_eq_u16_e32 vcc_lo, 29, v20
	s_mov_b32 s4, -1
	s_cbranch_vccz .LBB63_643
; %bb.642:
	s_mov_b32 s4, 0
	global_store_b64 v[6:7], v[2:3], off
.LBB63_643:
	s_mov_b32 s5, 0
.LBB63_644:
	s_delay_alu instid0(SALU_CYCLE_1)
	s_and_b32 vcc_lo, exec_lo, s5
	s_cbranch_vccz .LBB63_656
; %bb.645:
	v_cmp_gt_i16_e32 vcc_lo, 27, v20
	s_mov_b32 s0, -1
	s_cbranch_vccnz .LBB63_651
; %bb.646:
	v_cmp_lt_i16_e32 vcc_lo, 27, v20
	s_cbranch_vccz .LBB63_648
; %bb.647:
	s_mov_b32 s0, 0
	global_store_b32 v[6:7], v17, off
.LBB63_648:
	s_and_not1_b32 vcc_lo, exec_lo, s0
	s_cbranch_vccnz .LBB63_650
; %bb.649:
	global_store_b16 v[6:7], v17, off
.LBB63_650:
	s_mov_b32 s0, 0
.LBB63_651:
	s_delay_alu instid0(SALU_CYCLE_1)
	s_and_not1_b32 vcc_lo, exec_lo, s0
	s_cbranch_vccnz .LBB63_656
; %bb.652:
	v_mov_b32_e32 v3, 0x80
	s_and_not1_b32 vcc_lo, exec_lo, s45
	s_cbranch_vccnz .LBB63_655
; %bb.653:
	v_mov_b32_e32 v3, 0
	s_or_b32 s0, s43, s46
	s_delay_alu instid0(SALU_CYCLE_1)
	s_and_not1_b32 vcc_lo, exec_lo, s0
	s_cbranch_vccnz .LBB63_655
; %bb.654:
	v_cndmask_b32_e64 v3, v16, s44, s43
	s_delay_alu instid0(VALU_DEP_1)
	v_or_b32_e32 v3, v3, v13
.LBB63_655:
	global_store_b8 v[6:7], v3, off
.LBB63_656:
	s_mov_b32 s5, 0
.LBB63_657:
	s_delay_alu instid0(SALU_CYCLE_1)
	s_and_b32 vcc_lo, exec_lo, s5
	s_mov_b32 s5, 0
	s_cbranch_vccz .LBB63_678
; %bb.658:
	v_cmp_lt_i16_e32 vcc_lo, 22, v20
	s_mov_b32 s0, -1
	s_cbranch_vccz .LBB63_671
; %bb.659:
	v_cmp_gt_i16_e32 vcc_lo, 24, v20
	s_cbranch_vccnz .LBB63_668
; %bb.660:
	v_cmp_lt_i16_e32 vcc_lo, 24, v20
	s_cbranch_vccz .LBB63_665
; %bb.661:
	v_mov_b32_e32 v3, 0x80
	s_and_not1_b32 vcc_lo, exec_lo, s41
	s_cbranch_vccnz .LBB63_664
; %bb.662:
	v_mov_b32_e32 v3, 0
	s_or_b32 s0, s37, s42
	s_delay_alu instid0(SALU_CYCLE_1)
	s_and_not1_b32 vcc_lo, exec_lo, s0
	s_cbranch_vccnz .LBB63_664
; %bb.663:
	v_cndmask_b32_e64 v3, v15, s39, s37
	s_delay_alu instid0(VALU_DEP_1)
	v_or_b32_e32 v3, v3, v13
.LBB63_664:
	s_mov_b32 s0, 0
	global_store_b8 v[6:7], v3, off
.LBB63_665:
	s_and_b32 vcc_lo, exec_lo, s0
	s_cbranch_vccz .LBB63_667
; %bb.666:
	s_and_b32 s0, s36, exec_lo
	s_cselect_b32 s0, s30, s38
	s_and_b32 s8, s34, exec_lo
	s_cselect_b32 s0, s40, s0
	s_delay_alu instid0(SALU_CYCLE_1)
	v_or_b32_e32 v3, s0, v13
	global_store_b8 v[6:7], v3, off
.LBB63_667:
	s_mov_b32 s0, 0
.LBB63_668:
	s_delay_alu instid0(SALU_CYCLE_1)
	s_and_not1_b32 vcc_lo, exec_lo, s0
	s_cbranch_vccnz .LBB63_670
; %bb.669:
	s_and_b32 s0, s31, exec_lo
	s_cselect_b32 s0, s1, s33
	s_and_b32 s1, s29, exec_lo
	s_cselect_b32 s0, s35, s0
	s_delay_alu instid0(SALU_CYCLE_1)
	v_or_b32_e32 v3, s0, v13
	global_store_b8 v[6:7], v3, off
.LBB63_670:
	s_mov_b32 s0, 0
.LBB63_671:
	s_delay_alu instid0(SALU_CYCLE_1)
	s_and_not1_b32 vcc_lo, exec_lo, s0
	s_mov_b32 s8, 0
	s_cbranch_vccnz .LBB63_678
; %bb.672:
	v_cmp_lt_i16_e32 vcc_lo, 14, v20
	s_mov_b32 s0, -1
	s_cbranch_vccz .LBB63_676
; %bb.673:
	v_cmp_eq_u16_e32 vcc_lo, 15, v20
	s_mov_b32 s4, -1
	s_cbranch_vccz .LBB63_675
; %bb.674:
	s_mov_b32 s4, 0
	global_store_b16 v[6:7], v14, off
.LBB63_675:
	s_mov_b32 s0, 0
.LBB63_676:
	s_delay_alu instid0(SALU_CYCLE_1)
	s_and_b32 vcc_lo, exec_lo, s0
	s_cbranch_vccz .LBB63_678
; %bb.677:
	v_cmp_ne_u16_e32 vcc_lo, 11, v20
	s_and_not1_b32 s0, s4, exec_lo
	s_mov_b32 s8, -1
	s_and_b32 s1, vcc_lo, exec_lo
	s_delay_alu instid0(SALU_CYCLE_1)
	s_or_b32 s4, s0, s1
.LBB63_678:
	s_and_not1_b32 s0, s22, exec_lo
	s_and_b32 s1, s4, exec_lo
	s_and_b32 s21, s5, exec_lo
	;; [unrolled: 1-line block ×3, first 2 shown]
	s_or_b32 s56, s0, s1
.LBB63_679:
	s_or_b32 exec_lo, exec_lo, s49
	s_delay_alu instid0(SALU_CYCLE_1)
	s_and_not1_b32 s0, s22, exec_lo
	s_and_b32 s1, s56, exec_lo
	s_and_b32 s21, s21, exec_lo
	;; [unrolled: 1-line block ×3, first 2 shown]
	s_or_b32 s22, s0, s1
.LBB63_680:
	s_or_b32 exec_lo, exec_lo, s23
	s_delay_alu instid0(SALU_CYCLE_1)
	s_and_not1_b32 s0, s54, exec_lo
	s_and_b32 s1, s22, exec_lo
	s_and_b32 s21, s21, exec_lo
	;; [unrolled: 1-line block ×3, first 2 shown]
	s_or_b32 s54, s0, s1
.LBB63_681:
	s_or_b32 exec_lo, exec_lo, s55
	s_delay_alu instid0(SALU_CYCLE_1)
	s_and_not1_b32 s0, s52, exec_lo
	s_and_b32 s1, s54, exec_lo
	s_and_b32 s21, s21, exec_lo
	s_and_b32 s54, s20, exec_lo
	s_or_b32 s52, s0, s1
	s_or_b32 exec_lo, exec_lo, s53
	s_mov_b32 s0, 0
	s_and_saveexec_b32 s1, s52
	s_cbranch_execz .LBB63_118
.LBB63_682:
	s_cbranch_execnz .LBB63_684
; %bb.683:
	s_mov_b32 s0, exec_lo
	s_and_not1_b32 s54, s54, exec_lo
	s_or_b32 exec_lo, exec_lo, s1
	s_and_saveexec_b32 s1, s54
	s_delay_alu instid0(SALU_CYCLE_1)
	s_xor_b32 s1, exec_lo, s1
	s_cbranch_execnz .LBB63_119
	s_branch .LBB63_120
.LBB63_684:
	s_trap 2
	s_sendmsg_rtn_b32 s0, sendmsg(MSG_RTN_GET_DOORBELL)
	s_mov_b32 ttmp2, m0
	s_waitcnt lgkmcnt(0)
	s_and_b32 s0, s0, 0x3ff
	s_delay_alu instid0(SALU_CYCLE_1) | instskip(NEXT) | instid1(SALU_CYCLE_1)
	s_bitset1_b32 s0, 10
	s_mov_b32 m0, s0
	s_sendmsg sendmsg(MSG_INTERRUPT)
	s_mov_b32 m0, ttmp2
.LBB63_685:                             ; =>This Inner Loop Header: Depth=1
	s_sethalt 5
	s_branch .LBB63_685
.LBB63_686:
	s_mov_b32 s13, -1
	s_mov_b32 s12, 0
                                        ; implicit-def: $sgpr14
.LBB63_687:
	v_mov_b32_e32 v4, s14
	s_and_not1_b32 vcc_lo, exec_lo, s13
                                        ; implicit-def: $sgpr13
	s_cbranch_vccnz .LBB63_689
; %bb.688:
	v_add_f32_e64 v4, 0x42800000, |s11|
	s_mov_b32 s13, 0
	s_delay_alu instid0(VALU_DEP_1) | instskip(NEXT) | instid1(VALU_DEP_1)
	v_and_b32_e32 v4, 0xff, v4
	v_cmp_ne_u32_e64 s12, 0, v4
.LBB63_689:
	v_mov_b32_e32 v5, s13
	s_delay_alu instid0(VALU_DEP_2)
	s_and_not1_b32 vcc_lo, exec_lo, s12
	s_cbranch_vccnz .LBB63_691
; %bb.690:
	s_lshr_b32 s11, s11, 24
	s_delay_alu instid0(SALU_CYCLE_1) | instskip(NEXT) | instid1(SALU_CYCLE_1)
	s_and_b32 s11, s11, 0x80
	v_or_b32_e32 v5, s11, v4
.LBB63_691:
	s_mov_b32 s11, 0
	global_store_b8 v[2:3], v5, off
.LBB63_692:
	s_and_b32 vcc_lo, exec_lo, s11
	s_cbranch_vccz .LBB63_704
; %bb.693:
	v_cvt_f32_f64_e32 v4, s[2:3]
	s_delay_alu instid0(VALU_DEP_1) | instskip(NEXT) | instid1(VALU_DEP_1)
	v_readfirstlane_b32 s11, v4
	s_and_b32 s12, s11, 0x7fffffff
	s_delay_alu instid0(SALU_CYCLE_1)
	s_cmp_lt_u32 s12, 0x43f00000
	s_cbranch_scc0 .LBB63_696
; %bb.694:
	s_cmp_gt_u32 s12, 0x3c7fffff
	s_cbranch_scc0 .LBB63_697
; %bb.695:
	s_bfe_u32 s13, s11, 0x10014
	s_delay_alu instid0(SALU_CYCLE_1) | instskip(NEXT) | instid1(SALU_CYCLE_1)
	s_add_i32 s13, s11, s13
	s_add_i32 s13, s13, 0x407ffff
	s_delay_alu instid0(SALU_CYCLE_1)
	s_and_b32 s14, s13, 0xff00000
	s_lshr_b32 s13, s13, 20
	s_cmp_lg_u32 s14, 0x7f00000
	s_cselect_b32 s14, s13, 0x7e
	s_mov_b32 s13, 0
	s_branch .LBB63_698
.LBB63_696:
	s_mov_b32 s13, -1
                                        ; implicit-def: $vgpr5
	s_branch .LBB63_701
.LBB63_697:
	s_mov_b32 s13, -1
                                        ; implicit-def: $sgpr14
.LBB63_698:
	v_mov_b32_e32 v5, s14
	s_and_not1_b32 vcc_lo, exec_lo, s13
	s_cbranch_vccnz .LBB63_700
; %bb.699:
	v_add_f32_e64 v5, 0x46800000, |v4|
.LBB63_700:
	s_mov_b32 s13, 0
.LBB63_701:
	s_delay_alu instid0(SALU_CYCLE_1)
	s_and_not1_b32 vcc_lo, exec_lo, s13
	s_cbranch_vccnz .LBB63_703
; %bb.702:
	s_cmp_gt_u32 s12, 0x7f800000
	s_movk_i32 s12, 0x7f
	s_delay_alu instid0(SALU_CYCLE_1) | instskip(NEXT) | instid1(SALU_CYCLE_1)
	s_cselect_b32 s12, s12, 0x7e
	v_mov_b32_e32 v5, s12
.LBB63_703:
	s_lshr_b32 s11, s11, 24
	s_delay_alu instid0(SALU_CYCLE_1)
	s_and_b32 s11, s11, 0x80
	s_delay_alu instid0(VALU_DEP_1) | instid1(SALU_CYCLE_1)
	v_or_b32_e32 v4, s11, v5
	global_store_b8 v[2:3], v4, off
.LBB63_704:
	s_mov_b32 s11, 0
.LBB63_705:
	s_delay_alu instid0(SALU_CYCLE_1)
	s_and_not1_b32 vcc_lo, exec_lo, s11
	s_cbranch_vccnz .LBB63_717
; %bb.706:
	v_cvt_f32_f64_e32 v4, s[2:3]
	s_delay_alu instid0(VALU_DEP_1) | instskip(NEXT) | instid1(VALU_DEP_1)
	v_readfirstlane_b32 s11, v4
	s_and_b32 s12, s11, 0x7fffffff
	s_delay_alu instid0(SALU_CYCLE_1)
	s_cmp_lt_u32 s12, 0x47800000
	s_cbranch_scc0 .LBB63_709
; %bb.707:
	s_cmp_gt_u32 s12, 0x387fffff
	s_cbranch_scc0 .LBB63_710
; %bb.708:
	s_bfe_u32 s13, s11, 0x10015
	s_delay_alu instid0(SALU_CYCLE_1) | instskip(NEXT) | instid1(SALU_CYCLE_1)
	s_add_i32 s13, s11, s13
	s_add_i32 s13, s13, 0x80fffff
	s_delay_alu instid0(SALU_CYCLE_1)
	s_lshr_b32 s14, s13, 21
	s_mov_b32 s13, 0
	s_branch .LBB63_711
.LBB63_709:
	s_mov_b32 s13, -1
                                        ; implicit-def: $vgpr5
	s_branch .LBB63_714
.LBB63_710:
	s_mov_b32 s13, -1
                                        ; implicit-def: $sgpr14
.LBB63_711:
	v_mov_b32_e32 v5, s14
	s_and_not1_b32 vcc_lo, exec_lo, s13
	s_cbranch_vccnz .LBB63_713
; %bb.712:
	v_add_f32_e64 v5, 0x43000000, |v4|
.LBB63_713:
	s_mov_b32 s13, 0
.LBB63_714:
	s_delay_alu instid0(SALU_CYCLE_1)
	s_and_not1_b32 vcc_lo, exec_lo, s13
	s_cbranch_vccnz .LBB63_716
; %bb.715:
	s_cmp_gt_u32 s12, 0x7f800000
	s_movk_i32 s12, 0x7f
	s_delay_alu instid0(SALU_CYCLE_1) | instskip(NEXT) | instid1(SALU_CYCLE_1)
	s_cselect_b32 s12, s12, 0x7c
	v_mov_b32_e32 v5, s12
.LBB63_716:
	s_lshr_b32 s11, s11, 24
	s_delay_alu instid0(SALU_CYCLE_1)
	s_and_b32 s11, s11, 0x80
	s_delay_alu instid0(VALU_DEP_1) | instid1(SALU_CYCLE_1)
	v_or_b32_e32 v4, s11, v5
	global_store_b8 v[2:3], v4, off
.LBB63_717:
	s_mov_b32 s11, 0
	s_mov_b32 s12, -1
.LBB63_718:
	s_and_not1_b32 vcc_lo, exec_lo, s11
	s_mov_b32 s11, 0
	s_cbranch_vccnz .LBB63_725
; %bb.719:
	v_cmp_gt_i16_e64 s11, s8, 14
	s_delay_alu instid0(VALU_DEP_1)
	s_and_b32 vcc_lo, exec_lo, s11
	s_mov_b32 s11, -1
	s_cbranch_vccz .LBB63_723
; %bb.720:
	v_cmp_eq_u16_e64 s10, s8, 15
	s_delay_alu instid0(VALU_DEP_1)
	s_and_b32 vcc_lo, exec_lo, s10
	s_mov_b32 s10, -1
	s_cbranch_vccz .LBB63_722
; %bb.721:
	v_cvt_f32_f64_e32 v4, s[2:3]
	s_mov_b32 s10, 0
	s_mov_b32 s12, -1
	s_delay_alu instid0(VALU_DEP_1) | instskip(SKIP_1) | instid1(VALU_DEP_2)
	v_bfe_u32 v5, v4, 16, 1
	v_cmp_o_f32_e32 vcc_lo, v4, v4
	v_add_nc_u32_e32 v5, v4, v5
	s_delay_alu instid0(VALU_DEP_1) | instskip(NEXT) | instid1(VALU_DEP_1)
	v_add_nc_u32_e32 v5, 0x7fff, v5
	v_lshrrev_b32_e32 v5, 16, v5
	s_delay_alu instid0(VALU_DEP_1)
	v_cndmask_b32_e32 v4, 0x7fc0, v5, vcc_lo
	global_store_b16 v[2:3], v4, off
.LBB63_722:
	s_mov_b32 s11, 0
.LBB63_723:
	s_delay_alu instid0(SALU_CYCLE_1)
	s_and_b32 vcc_lo, exec_lo, s11
	s_mov_b32 s11, 0
	s_cbranch_vccz .LBB63_725
; %bb.724:
	v_cmp_ne_u16_e64 s10, s8, 11
	s_mov_b32 s11, -1
.LBB63_725:
	s_delay_alu instid0(VALU_DEP_1)
	s_and_b32 vcc_lo, exec_lo, s10
	s_cbranch_vccnz .LBB63_778
; %bb.726:
	s_and_not1_b32 vcc_lo, exec_lo, s11
	s_cbranch_vccnz .LBB63_728
.LBB63_727:
	v_cmp_neq_f64_e64 s10, s[2:3], 0
	v_cmp_neq_f64_e64 s11, s[4:5], 0
	s_mov_b32 s12, -1
	s_delay_alu instid0(VALU_DEP_1) | instskip(NEXT) | instid1(SALU_CYCLE_1)
	s_or_b32 s10, s10, s11
	v_cndmask_b32_e64 v4, 0, 1, s10
	global_store_b8 v[2:3], v4, off
.LBB63_728:
	s_mov_b32 s10, 0
.LBB63_729:
	s_delay_alu instid0(SALU_CYCLE_1)
	s_and_b32 vcc_lo, exec_lo, s10
	s_cbranch_vccz .LBB63_768
; %bb.730:
	v_cmp_lt_i16_e64 s10, s8, 5
	s_delay_alu instid0(VALU_DEP_1)
	s_and_b32 vcc_lo, exec_lo, s10
	s_mov_b32 s10, -1
	s_cbranch_vccnz .LBB63_751
; %bb.731:
	v_cmp_lt_i16_e64 s10, s8, 8
	s_delay_alu instid0(VALU_DEP_1)
	s_and_b32 vcc_lo, exec_lo, s10
	s_mov_b32 s10, -1
	s_cbranch_vccnz .LBB63_741
	;; [unrolled: 6-line block ×3, first 2 shown]
; %bb.733:
	v_cmp_gt_i16_e64 s10, s8, 9
	s_delay_alu instid0(VALU_DEP_1)
	s_and_b32 vcc_lo, exec_lo, s10
	s_mov_b32 s10, -1
	s_cbranch_vccz .LBB63_735
; %bb.734:
	v_dual_mov_b32 v4, s2 :: v_dual_mov_b32 v5, s3
	v_dual_mov_b32 v6, s4 :: v_dual_mov_b32 v7, s5
	s_mov_b32 s10, 0
	global_store_b128 v[2:3], v[4:7], off
.LBB63_735:
	s_and_not1_b32 vcc_lo, exec_lo, s10
	s_cbranch_vccnz .LBB63_737
; %bb.736:
	v_cvt_f32_f64_e32 v4, s[2:3]
	v_cvt_f32_f64_e32 v5, s[4:5]
	global_store_b64 v[2:3], v[4:5], off
.LBB63_737:
	s_mov_b32 s10, 0
.LBB63_738:
	s_delay_alu instid0(SALU_CYCLE_1)
	s_and_not1_b32 vcc_lo, exec_lo, s10
	s_cbranch_vccnz .LBB63_740
; %bb.739:
	v_cvt_f32_f64_e32 v4, s[4:5]
	v_cvt_f32_f64_e32 v5, s[2:3]
	s_delay_alu instid0(VALU_DEP_2) | instskip(NEXT) | instid1(VALU_DEP_2)
	v_cvt_f16_f32_e32 v4, v4
	v_cvt_f16_f32_e32 v5, v5
	s_delay_alu instid0(VALU_DEP_2) | instskip(NEXT) | instid1(VALU_DEP_2)
	v_lshlrev_b32_e32 v4, 16, v4
	v_and_b32_e32 v5, 0xffff, v5
	s_delay_alu instid0(VALU_DEP_1)
	v_or_b32_e32 v4, v4, v5
	global_store_b32 v[2:3], v4, off
.LBB63_740:
	s_mov_b32 s10, 0
.LBB63_741:
	s_delay_alu instid0(SALU_CYCLE_1)
	s_and_not1_b32 vcc_lo, exec_lo, s10
	s_cbranch_vccnz .LBB63_750
; %bb.742:
	v_cmp_lt_i16_e64 s10, s8, 6
	s_delay_alu instid0(VALU_DEP_1)
	s_and_b32 vcc_lo, exec_lo, s10
	s_mov_b32 s10, -1
	s_cbranch_vccnz .LBB63_748
; %bb.743:
	v_cmp_gt_i16_e64 s10, s8, 6
	s_delay_alu instid0(VALU_DEP_1)
	s_and_b32 vcc_lo, exec_lo, s10
	s_mov_b32 s10, -1
	s_cbranch_vccz .LBB63_745
; %bb.744:
	v_dual_mov_b32 v5, s3 :: v_dual_mov_b32 v4, s2
	s_mov_b32 s10, 0
	global_store_b64 v[2:3], v[4:5], off
.LBB63_745:
	s_and_not1_b32 vcc_lo, exec_lo, s10
	s_cbranch_vccnz .LBB63_747
; %bb.746:
	v_cvt_f32_f64_e32 v4, s[2:3]
	global_store_b32 v[2:3], v4, off
.LBB63_747:
	s_mov_b32 s10, 0
.LBB63_748:
	s_delay_alu instid0(SALU_CYCLE_1)
	s_and_not1_b32 vcc_lo, exec_lo, s10
	s_cbranch_vccnz .LBB63_750
; %bb.749:
	v_cvt_f32_f64_e32 v4, s[2:3]
	s_delay_alu instid0(VALU_DEP_1)
	v_cvt_f16_f32_e32 v4, v4
	global_store_b16 v[2:3], v4, off
.LBB63_750:
	s_mov_b32 s10, 0
.LBB63_751:
	s_delay_alu instid0(SALU_CYCLE_1)
	s_and_not1_b32 vcc_lo, exec_lo, s10
	s_cbranch_vccnz .LBB63_767
; %bb.752:
	v_cmp_lt_i16_e64 s10, s8, 2
	s_delay_alu instid0(VALU_DEP_1)
	s_and_b32 vcc_lo, exec_lo, s10
	s_mov_b32 s10, -1
	s_cbranch_vccnz .LBB63_762
; %bb.753:
	v_cmp_lt_i16_e64 s10, s8, 3
	s_delay_alu instid0(VALU_DEP_1)
	s_and_b32 vcc_lo, exec_lo, s10
	s_mov_b32 s10, -1
	s_cbranch_vccnz .LBB63_759
; %bb.754:
	v_cmp_gt_i16_e64 s10, s8, 3
	s_delay_alu instid0(VALU_DEP_1)
	s_and_b32 vcc_lo, exec_lo, s10
	s_mov_b32 s10, -1
	s_cbranch_vccz .LBB63_756
; %bb.755:
	v_trunc_f64_e32 v[4:5], s[2:3]
	s_mov_b32 s10, 0
	s_delay_alu instid0(VALU_DEP_1) | instskip(NEXT) | instid1(VALU_DEP_1)
	v_ldexp_f64 v[6:7], v[4:5], 0xffffffe0
	v_floor_f64_e32 v[6:7], v[6:7]
	s_delay_alu instid0(VALU_DEP_1) | instskip(SKIP_1) | instid1(VALU_DEP_2)
	v_fma_f64 v[4:5], 0xc1f00000, v[6:7], v[4:5]
	v_cvt_i32_f64_e32 v6, v[6:7]
	v_cvt_u32_f64_e32 v5, v[4:5]
	global_store_b64 v[2:3], v[5:6], off
.LBB63_756:
	s_and_not1_b32 vcc_lo, exec_lo, s10
	s_cbranch_vccnz .LBB63_758
; %bb.757:
	v_cvt_i32_f64_e32 v4, s[2:3]
	global_store_b32 v[2:3], v4, off
.LBB63_758:
	s_mov_b32 s10, 0
.LBB63_759:
	s_delay_alu instid0(SALU_CYCLE_1)
	s_and_not1_b32 vcc_lo, exec_lo, s10
	s_cbranch_vccnz .LBB63_761
; %bb.760:
	v_cvt_i32_f64_e32 v4, s[2:3]
	global_store_b16 v[2:3], v4, off
.LBB63_761:
	s_mov_b32 s10, 0
.LBB63_762:
	s_delay_alu instid0(SALU_CYCLE_1)
	s_and_not1_b32 vcc_lo, exec_lo, s10
	s_cbranch_vccnz .LBB63_767
; %bb.763:
	v_cmp_gt_i16_e64 s10, s8, 0
	s_delay_alu instid0(VALU_DEP_1)
	s_and_b32 vcc_lo, exec_lo, s10
	s_mov_b32 s10, -1
	s_cbranch_vccz .LBB63_765
; %bb.764:
	v_cvt_i32_f64_e32 v4, s[2:3]
	s_mov_b32 s10, 0
	global_store_b8 v[2:3], v4, off
.LBB63_765:
	s_and_not1_b32 vcc_lo, exec_lo, s10
	s_cbranch_vccnz .LBB63_767
; %bb.766:
	v_trunc_f64_e32 v[4:5], s[2:3]
	s_delay_alu instid0(VALU_DEP_1) | instskip(NEXT) | instid1(VALU_DEP_1)
	v_ldexp_f64 v[6:7], v[4:5], 0xffffffe0
	v_floor_f64_e32 v[6:7], v[6:7]
	s_delay_alu instid0(VALU_DEP_1) | instskip(NEXT) | instid1(VALU_DEP_1)
	v_fma_f64 v[4:5], 0xc1f00000, v[6:7], v[4:5]
	v_cvt_u32_f64_e32 v4, v[4:5]
	global_store_b8 v[2:3], v4, off
.LBB63_767:
	s_mov_b32 s12, -1
.LBB63_768:
	s_delay_alu instid0(SALU_CYCLE_1)
	s_and_not1_b32 vcc_lo, exec_lo, s12
	s_cbranch_vccnz .LBB63_910
; %bb.769:
	v_cmp_lt_i16_e64 s10, s8, 11
	v_add_co_u32 v1, s11, s0, v1
	s_delay_alu instid0(VALU_DEP_1) | instskip(SKIP_1) | instid1(VALU_DEP_3)
	v_add_co_ci_u32_e64 v2, null, s1, 0, s11
	s_mov_b32 s12, 0
	s_and_b32 vcc_lo, exec_lo, s10
	s_mov_b32 s10, -1
	s_cbranch_vccnz .LBB63_862
; %bb.770:
	v_cmp_gt_i16_e64 s10, s8, 25
	s_mov_b32 s13, -1
	s_mov_b32 s11, 0
	s_delay_alu instid0(VALU_DEP_1)
	s_and_b32 vcc_lo, exec_lo, s10
	s_mov_b32 s10, 0
	s_cbranch_vccz .LBB63_812
; %bb.771:
	v_cmp_gt_i16_e64 s10, s8, 28
	s_delay_alu instid0(VALU_DEP_1)
	s_and_b32 vcc_lo, exec_lo, s10
	s_cbranch_vccz .LBB63_776
; %bb.772:
	v_cmp_gt_i16_e64 s10, s8, 43
	s_delay_alu instid0(VALU_DEP_1)
	s_and_b32 vcc_lo, exec_lo, s10
	;; [unrolled: 5-line block ×3, first 2 shown]
	s_cbranch_vccz .LBB63_780
; %bb.774:
	v_cmp_eq_u16_e64 s12, s8, 46
	s_mov_b32 s10, -1
	s_mov_b32 s13, 0
	s_delay_alu instid0(VALU_DEP_1)
	s_and_b32 vcc_lo, exec_lo, s12
	s_mov_b32 s12, 0
	s_cbranch_vccz .LBB63_781
; %bb.775:
	v_cvt_f32_f64_e32 v4, s[2:3]
	v_cvt_f32_f64_e32 v3, s[4:5]
	s_mov_b32 s10, 0
	s_mov_b32 s12, -1
	s_delay_alu instid0(VALU_DEP_2) | instskip(NEXT) | instid1(VALU_DEP_2)
	v_bfe_u32 v6, v4, 16, 1
	v_cmp_o_f32_e32 vcc_lo, v3, v3
	v_bfe_u32 v5, v3, 16, 1
	s_delay_alu instid0(VALU_DEP_3) | instskip(NEXT) | instid1(VALU_DEP_1)
	v_add_nc_u32_e32 v6, v4, v6
	v_add_nc_u32_e32 v6, 0x7fff, v6
	s_delay_alu instid0(VALU_DEP_1) | instskip(NEXT) | instid1(VALU_DEP_4)
	v_lshrrev_b32_e32 v6, 16, v6
	v_add_nc_u32_e32 v5, v3, v5
	s_delay_alu instid0(VALU_DEP_1) | instskip(NEXT) | instid1(VALU_DEP_1)
	v_add_nc_u32_e32 v5, 0x7fff, v5
	v_and_b32_e32 v5, 0xffff0000, v5
	s_delay_alu instid0(VALU_DEP_1) | instskip(SKIP_2) | instid1(VALU_DEP_1)
	v_cndmask_b32_e32 v3, 0x7fc00000, v5, vcc_lo
	v_cmp_o_f32_e32 vcc_lo, v4, v4
	v_cndmask_b32_e32 v4, 0x7fc0, v6, vcc_lo
	v_or_b32_e32 v3, v3, v4
	global_store_b32 v[1:2], v3, off
	s_branch .LBB63_781
.LBB63_776:
	s_mov_b32 s10, 0
	s_branch .LBB63_791
.LBB63_777:
	s_mov_b32 s10, 0
	s_branch .LBB63_787
.LBB63_778:
	s_cbranch_execnz .LBB63_802
; %bb.779:
	s_or_b32 s9, s9, exec_lo
	s_cbranch_execz .LBB63_727
	s_branch .LBB63_728
.LBB63_780:
	s_mov_b32 s10, 0
.LBB63_781:
	s_and_b32 vcc_lo, exec_lo, s13
	s_cbranch_vccz .LBB63_786
; %bb.782:
	v_cmp_eq_u16_e64 s10, s8, 44
	s_delay_alu instid0(VALU_DEP_1)
	s_and_b32 vcc_lo, exec_lo, s10
	s_mov_b32 s10, -1
	s_cbranch_vccz .LBB63_786
; %bb.783:
	v_cvt_f32_f64_e32 v3, s[2:3]
	v_mov_b32_e32 v4, 0xff
	s_delay_alu instid0(VALU_DEP_2) | instskip(NEXT) | instid1(VALU_DEP_1)
	v_readfirstlane_b32 s10, v3
	s_bfe_u32 s12, s10, 0x80017
	s_delay_alu instid0(SALU_CYCLE_1)
	s_cmpk_eq_i32 s12, 0xff
	s_cbranch_scc1 .LBB63_785
; %bb.784:
	s_bitcmp1_b32 s10, 22
	v_lshrrev_b32_e32 v3, 23, v3
	s_cselect_b32 s13, -1, 0
	s_and_b32 s10, s10, 0x3fffff
	s_delay_alu instid0(SALU_CYCLE_1) | instskip(NEXT) | instid1(SALU_CYCLE_1)
	s_or_b32 s10, s12, s10
	s_cmp_lg_u32 s10, 0
	s_cselect_b32 s10, -1, 0
	s_delay_alu instid0(SALU_CYCLE_1) | instskip(NEXT) | instid1(SALU_CYCLE_1)
	s_and_b32 s10, s13, s10
	v_cndmask_b32_e64 v4, 0, 1, s10
	s_delay_alu instid0(VALU_DEP_1)
	v_add_nc_u32_e32 v4, v3, v4
.LBB63_785:
	s_mov_b32 s10, 0
	s_mov_b32 s12, -1
	global_store_b8 v[1:2], v4, off
.LBB63_786:
	s_mov_b32 s13, 0
.LBB63_787:
	s_delay_alu instid0(SALU_CYCLE_1)
	s_and_b32 vcc_lo, exec_lo, s13
	s_cbranch_vccz .LBB63_790
; %bb.788:
	v_cmp_eq_u16_e64 s10, s8, 29
	s_delay_alu instid0(VALU_DEP_1)
	s_and_b32 vcc_lo, exec_lo, s10
	s_mov_b32 s10, -1
	s_cbranch_vccz .LBB63_790
; %bb.789:
	v_trunc_f64_e32 v[3:4], s[2:3]
	s_mov_b32 s10, 0
	s_mov_b32 s12, -1
	s_mov_b32 s13, 0
	s_delay_alu instid0(VALU_DEP_1) | instskip(NEXT) | instid1(VALU_DEP_1)
	v_ldexp_f64 v[5:6], v[3:4], 0xffffffe0
	v_floor_f64_e32 v[5:6], v[5:6]
	s_delay_alu instid0(VALU_DEP_1) | instskip(SKIP_1) | instid1(VALU_DEP_2)
	v_fma_f64 v[3:4], 0xc1f00000, v[5:6], v[3:4]
	v_cvt_u32_f64_e32 v5, v[5:6]
	v_cvt_u32_f64_e32 v4, v[3:4]
	global_store_b64 v[1:2], v[4:5], off
	s_branch .LBB63_791
.LBB63_790:
	s_mov_b32 s13, 0
.LBB63_791:
	s_delay_alu instid0(SALU_CYCLE_1)
	s_and_b32 vcc_lo, exec_lo, s13
	s_cbranch_vccz .LBB63_811
; %bb.792:
	v_cmp_lt_i16_e64 s12, s8, 27
	s_delay_alu instid0(VALU_DEP_1)
	s_and_b32 vcc_lo, exec_lo, s12
	s_mov_b32 s12, -1
	s_cbranch_vccnz .LBB63_798
; %bb.793:
	v_cmp_gt_i16_e64 s12, s8, 27
	s_delay_alu instid0(VALU_DEP_1)
	s_and_b32 vcc_lo, exec_lo, s12
	s_mov_b32 s12, -1
	s_cbranch_vccz .LBB63_795
; %bb.794:
	v_cvt_u32_f64_e32 v3, s[2:3]
	s_mov_b32 s12, 0
	global_store_b32 v[1:2], v3, off
.LBB63_795:
	s_and_not1_b32 vcc_lo, exec_lo, s12
	s_cbranch_vccnz .LBB63_797
; %bb.796:
	v_cvt_u32_f64_e32 v3, s[2:3]
	global_store_b16 v[1:2], v3, off
.LBB63_797:
	s_mov_b32 s12, 0
.LBB63_798:
	s_delay_alu instid0(SALU_CYCLE_1)
	s_and_not1_b32 vcc_lo, exec_lo, s12
	s_cbranch_vccnz .LBB63_810
; %bb.799:
	v_cvt_f32_f64_e32 v3, s[2:3]
	v_mov_b32_e32 v4, 0x80
	s_delay_alu instid0(VALU_DEP_2) | instskip(NEXT) | instid1(VALU_DEP_1)
	v_readfirstlane_b32 s12, v3
	s_and_b32 s13, s12, 0x7fffffff
	s_delay_alu instid0(SALU_CYCLE_1)
	s_cmp_gt_u32 s13, 0x437fffff
	s_cbranch_scc1 .LBB63_809
; %bb.800:
	s_cmp_gt_u32 s13, 0x3bffffff
	s_cbranch_scc0 .LBB63_804
; %bb.801:
	s_bfe_u32 s13, s12, 0x10014
	s_mov_b32 s14, 0
	s_add_i32 s13, s12, s13
	s_delay_alu instid0(SALU_CYCLE_1) | instskip(NEXT) | instid1(SALU_CYCLE_1)
	s_add_i32 s13, s13, 0x487ffff
	s_lshr_b32 s15, s13, 20
	s_mov_b32 s13, -1
	s_branch .LBB63_805
.LBB63_802:
	s_trap 2
	s_sendmsg_rtn_b32 s0, sendmsg(MSG_RTN_GET_DOORBELL)
	s_mov_b32 ttmp2, m0
	s_waitcnt lgkmcnt(0)
	s_and_b32 s0, s0, 0x3ff
	s_delay_alu instid0(SALU_CYCLE_1) | instskip(NEXT) | instid1(SALU_CYCLE_1)
	s_bitset1_b32 s0, 10
	s_mov_b32 m0, s0
	s_sendmsg sendmsg(MSG_INTERRUPT)
	s_mov_b32 m0, ttmp2
.LBB63_803:                             ; =>This Inner Loop Header: Depth=1
	s_sethalt 5
	s_branch .LBB63_803
.LBB63_804:
	s_mov_b32 s14, -1
	s_mov_b32 s13, 0
                                        ; implicit-def: $sgpr15
.LBB63_805:
	v_mov_b32_e32 v3, s15
	s_and_not1_b32 vcc_lo, exec_lo, s14
                                        ; implicit-def: $sgpr14
	s_cbranch_vccnz .LBB63_807
; %bb.806:
	v_add_f32_e64 v3, 0x46000000, |s12|
	s_mov_b32 s14, 0
	s_delay_alu instid0(VALU_DEP_1) | instskip(NEXT) | instid1(VALU_DEP_1)
	v_and_b32_e32 v3, 0xff, v3
	v_cmp_ne_u32_e64 s13, 0, v3
.LBB63_807:
	v_mov_b32_e32 v4, s14
	s_delay_alu instid0(VALU_DEP_2)
	s_and_not1_b32 vcc_lo, exec_lo, s13
	s_cbranch_vccnz .LBB63_809
; %bb.808:
	s_lshr_b32 s12, s12, 24
	s_delay_alu instid0(SALU_CYCLE_1) | instskip(NEXT) | instid1(SALU_CYCLE_1)
	s_and_b32 s12, s12, 0x80
	v_or_b32_e32 v4, s12, v3
.LBB63_809:
	global_store_b8 v[1:2], v4, off
.LBB63_810:
	s_mov_b32 s12, -1
.LBB63_811:
	s_mov_b32 s13, 0
.LBB63_812:
	s_delay_alu instid0(SALU_CYCLE_1)
	s_and_b32 vcc_lo, exec_lo, s13
	s_cbranch_vccz .LBB63_858
; %bb.813:
	v_cmp_gt_i16_e64 s11, s8, 22
	s_delay_alu instid0(VALU_DEP_1)
	s_and_b32 vcc_lo, exec_lo, s11
	s_mov_b32 s11, -1
	s_cbranch_vccz .LBB63_851
; %bb.814:
	v_cmp_lt_i16_e64 s11, s8, 24
	s_delay_alu instid0(VALU_DEP_1)
	s_and_b32 vcc_lo, exec_lo, s11
	s_mov_b32 s11, -1
	s_cbranch_vccnz .LBB63_838
; %bb.815:
	v_cmp_gt_i16_e64 s11, s8, 24
	s_delay_alu instid0(VALU_DEP_1)
	s_and_b32 vcc_lo, exec_lo, s11
	s_mov_b32 s11, -1
	s_cbranch_vccz .LBB63_825
; %bb.816:
	v_cvt_f32_f64_e32 v3, s[2:3]
	v_mov_b32_e32 v4, 0x80
	s_delay_alu instid0(VALU_DEP_2) | instskip(NEXT) | instid1(VALU_DEP_1)
	v_readfirstlane_b32 s11, v3
	s_and_b32 s12, s11, 0x7fffffff
	s_delay_alu instid0(SALU_CYCLE_1)
	s_cmp_gt_u32 s12, 0x477fffff
	s_cbranch_scc1 .LBB63_824
; %bb.817:
	s_cmp_gt_u32 s12, 0x37ffffff
	s_cbranch_scc0 .LBB63_819
; %bb.818:
	s_bfe_u32 s12, s11, 0x10015
	s_mov_b32 s13, 0
	s_add_i32 s12, s11, s12
	s_delay_alu instid0(SALU_CYCLE_1) | instskip(NEXT) | instid1(SALU_CYCLE_1)
	s_add_i32 s12, s12, 0x88fffff
	s_lshr_b32 s14, s12, 21
	s_mov_b32 s12, -1
	s_branch .LBB63_820
.LBB63_819:
	s_mov_b32 s13, -1
	s_mov_b32 s12, 0
                                        ; implicit-def: $sgpr14
.LBB63_820:
	v_mov_b32_e32 v3, s14
	s_and_not1_b32 vcc_lo, exec_lo, s13
                                        ; implicit-def: $sgpr13
	s_cbranch_vccnz .LBB63_822
; %bb.821:
	v_add_f32_e64 v3, 0x42800000, |s11|
	s_mov_b32 s13, 0
	s_delay_alu instid0(VALU_DEP_1) | instskip(NEXT) | instid1(VALU_DEP_1)
	v_and_b32_e32 v3, 0xff, v3
	v_cmp_ne_u32_e64 s12, 0, v3
.LBB63_822:
	v_mov_b32_e32 v4, s13
	s_delay_alu instid0(VALU_DEP_2)
	s_and_not1_b32 vcc_lo, exec_lo, s12
	s_cbranch_vccnz .LBB63_824
; %bb.823:
	s_lshr_b32 s11, s11, 24
	s_delay_alu instid0(SALU_CYCLE_1) | instskip(NEXT) | instid1(SALU_CYCLE_1)
	s_and_b32 s11, s11, 0x80
	v_or_b32_e32 v4, s11, v3
.LBB63_824:
	s_mov_b32 s11, 0
	global_store_b8 v[1:2], v4, off
.LBB63_825:
	s_and_b32 vcc_lo, exec_lo, s11
	s_cbranch_vccz .LBB63_837
; %bb.826:
	v_cvt_f32_f64_e32 v3, s[2:3]
	s_delay_alu instid0(VALU_DEP_1) | instskip(NEXT) | instid1(VALU_DEP_1)
	v_readfirstlane_b32 s11, v3
	s_and_b32 s12, s11, 0x7fffffff
	s_delay_alu instid0(SALU_CYCLE_1)
	s_cmp_lt_u32 s12, 0x43f00000
	s_cbranch_scc0 .LBB63_829
; %bb.827:
	s_cmp_gt_u32 s12, 0x3c7fffff
	s_cbranch_scc0 .LBB63_830
; %bb.828:
	s_bfe_u32 s13, s11, 0x10014
	s_delay_alu instid0(SALU_CYCLE_1) | instskip(NEXT) | instid1(SALU_CYCLE_1)
	s_add_i32 s13, s11, s13
	s_add_i32 s13, s13, 0x407ffff
	s_delay_alu instid0(SALU_CYCLE_1)
	s_and_b32 s14, s13, 0xff00000
	s_lshr_b32 s13, s13, 20
	s_cmp_lg_u32 s14, 0x7f00000
	s_cselect_b32 s14, s13, 0x7e
	s_mov_b32 s13, 0
	s_branch .LBB63_831
.LBB63_829:
	s_mov_b32 s13, -1
                                        ; implicit-def: $vgpr4
	s_branch .LBB63_834
.LBB63_830:
	s_mov_b32 s13, -1
                                        ; implicit-def: $sgpr14
.LBB63_831:
	v_mov_b32_e32 v4, s14
	s_and_not1_b32 vcc_lo, exec_lo, s13
	s_cbranch_vccnz .LBB63_833
; %bb.832:
	v_add_f32_e64 v4, 0x46800000, |v3|
.LBB63_833:
	s_mov_b32 s13, 0
.LBB63_834:
	s_delay_alu instid0(SALU_CYCLE_1)
	s_and_not1_b32 vcc_lo, exec_lo, s13
	s_cbranch_vccnz .LBB63_836
; %bb.835:
	s_cmp_gt_u32 s12, 0x7f800000
	s_movk_i32 s12, 0x7f
	s_delay_alu instid0(SALU_CYCLE_1) | instskip(NEXT) | instid1(SALU_CYCLE_1)
	s_cselect_b32 s12, s12, 0x7e
	v_mov_b32_e32 v4, s12
.LBB63_836:
	s_lshr_b32 s11, s11, 24
	s_delay_alu instid0(SALU_CYCLE_1)
	s_and_b32 s11, s11, 0x80
	s_delay_alu instid0(VALU_DEP_1) | instid1(SALU_CYCLE_1)
	v_or_b32_e32 v3, s11, v4
	global_store_b8 v[1:2], v3, off
.LBB63_837:
	s_mov_b32 s11, 0
.LBB63_838:
	s_delay_alu instid0(SALU_CYCLE_1)
	s_and_not1_b32 vcc_lo, exec_lo, s11
	s_cbranch_vccnz .LBB63_850
; %bb.839:
	v_cvt_f32_f64_e32 v3, s[2:3]
	s_delay_alu instid0(VALU_DEP_1) | instskip(NEXT) | instid1(VALU_DEP_1)
	v_readfirstlane_b32 s11, v3
	s_and_b32 s12, s11, 0x7fffffff
	s_delay_alu instid0(SALU_CYCLE_1)
	s_cmp_lt_u32 s12, 0x47800000
	s_cbranch_scc0 .LBB63_842
; %bb.840:
	s_cmp_gt_u32 s12, 0x387fffff
	s_cbranch_scc0 .LBB63_843
; %bb.841:
	s_bfe_u32 s13, s11, 0x10015
	s_delay_alu instid0(SALU_CYCLE_1) | instskip(NEXT) | instid1(SALU_CYCLE_1)
	s_add_i32 s13, s11, s13
	s_add_i32 s13, s13, 0x80fffff
	s_delay_alu instid0(SALU_CYCLE_1)
	s_lshr_b32 s14, s13, 21
	s_mov_b32 s13, 0
	s_branch .LBB63_844
.LBB63_842:
	s_mov_b32 s13, -1
                                        ; implicit-def: $vgpr4
	s_branch .LBB63_847
.LBB63_843:
	s_mov_b32 s13, -1
                                        ; implicit-def: $sgpr14
.LBB63_844:
	v_mov_b32_e32 v4, s14
	s_and_not1_b32 vcc_lo, exec_lo, s13
	s_cbranch_vccnz .LBB63_846
; %bb.845:
	v_add_f32_e64 v4, 0x43000000, |v3|
.LBB63_846:
	s_mov_b32 s13, 0
.LBB63_847:
	s_delay_alu instid0(SALU_CYCLE_1)
	s_and_not1_b32 vcc_lo, exec_lo, s13
	s_cbranch_vccnz .LBB63_849
; %bb.848:
	s_cmp_gt_u32 s12, 0x7f800000
	s_movk_i32 s12, 0x7f
	s_delay_alu instid0(SALU_CYCLE_1) | instskip(NEXT) | instid1(SALU_CYCLE_1)
	s_cselect_b32 s12, s12, 0x7c
	v_mov_b32_e32 v4, s12
.LBB63_849:
	s_lshr_b32 s11, s11, 24
	s_delay_alu instid0(SALU_CYCLE_1)
	s_and_b32 s11, s11, 0x80
	s_delay_alu instid0(VALU_DEP_1) | instid1(SALU_CYCLE_1)
	v_or_b32_e32 v3, s11, v4
	global_store_b8 v[1:2], v3, off
.LBB63_850:
	s_mov_b32 s11, 0
	s_mov_b32 s12, -1
.LBB63_851:
	s_and_not1_b32 vcc_lo, exec_lo, s11
	s_mov_b32 s11, 0
	s_cbranch_vccnz .LBB63_858
; %bb.852:
	v_cmp_gt_i16_e64 s11, s8, 14
	s_delay_alu instid0(VALU_DEP_1)
	s_and_b32 vcc_lo, exec_lo, s11
	s_mov_b32 s11, -1
	s_cbranch_vccz .LBB63_856
; %bb.853:
	v_cmp_eq_u16_e64 s10, s8, 15
	s_delay_alu instid0(VALU_DEP_1)
	s_and_b32 vcc_lo, exec_lo, s10
	s_mov_b32 s10, -1
	s_cbranch_vccz .LBB63_855
; %bb.854:
	v_cvt_f32_f64_e32 v3, s[2:3]
	s_mov_b32 s10, 0
	s_mov_b32 s12, -1
	s_delay_alu instid0(VALU_DEP_1) | instskip(SKIP_1) | instid1(VALU_DEP_2)
	v_bfe_u32 v4, v3, 16, 1
	v_cmp_o_f32_e32 vcc_lo, v3, v3
	v_add_nc_u32_e32 v4, v3, v4
	s_delay_alu instid0(VALU_DEP_1) | instskip(NEXT) | instid1(VALU_DEP_1)
	v_add_nc_u32_e32 v4, 0x7fff, v4
	v_lshrrev_b32_e32 v4, 16, v4
	s_delay_alu instid0(VALU_DEP_1)
	v_cndmask_b32_e32 v3, 0x7fc0, v4, vcc_lo
	global_store_b16 v[1:2], v3, off
.LBB63_855:
	s_mov_b32 s11, 0
.LBB63_856:
	s_delay_alu instid0(SALU_CYCLE_1)
	s_and_b32 vcc_lo, exec_lo, s11
	s_mov_b32 s11, 0
	s_cbranch_vccz .LBB63_858
; %bb.857:
	v_cmp_ne_u16_e64 s10, s8, 11
	s_mov_b32 s11, -1
.LBB63_858:
	s_delay_alu instid0(VALU_DEP_1)
	s_and_b32 vcc_lo, exec_lo, s10
	s_cbranch_vccnz .LBB63_957
; %bb.859:
	s_and_not1_b32 vcc_lo, exec_lo, s11
	s_cbranch_vccnz .LBB63_861
.LBB63_860:
	v_cmp_neq_f64_e64 s10, s[2:3], 0
	v_cmp_neq_f64_e64 s11, s[4:5], 0
	s_mov_b32 s12, -1
	s_delay_alu instid0(VALU_DEP_1) | instskip(NEXT) | instid1(SALU_CYCLE_1)
	s_or_b32 s10, s10, s11
	v_cndmask_b32_e64 v3, 0, 1, s10
	global_store_b8 v[1:2], v3, off
.LBB63_861:
	s_mov_b32 s10, 0
.LBB63_862:
	s_delay_alu instid0(SALU_CYCLE_1)
	s_and_b32 vcc_lo, exec_lo, s10
	s_cbranch_vccz .LBB63_901
; %bb.863:
	v_cmp_lt_i16_e64 s10, s8, 5
	s_delay_alu instid0(VALU_DEP_1)
	s_and_b32 vcc_lo, exec_lo, s10
	s_mov_b32 s10, -1
	s_cbranch_vccnz .LBB63_884
; %bb.864:
	v_cmp_lt_i16_e64 s10, s8, 8
	s_delay_alu instid0(VALU_DEP_1)
	s_and_b32 vcc_lo, exec_lo, s10
	s_mov_b32 s10, -1
	s_cbranch_vccnz .LBB63_874
	;; [unrolled: 6-line block ×3, first 2 shown]
; %bb.866:
	v_cmp_gt_i16_e64 s10, s8, 9
	s_delay_alu instid0(VALU_DEP_1)
	s_and_b32 vcc_lo, exec_lo, s10
	s_mov_b32 s10, -1
	s_cbranch_vccz .LBB63_868
; %bb.867:
	v_dual_mov_b32 v3, s2 :: v_dual_mov_b32 v4, s3
	v_dual_mov_b32 v5, s4 :: v_dual_mov_b32 v6, s5
	s_mov_b32 s10, 0
	global_store_b128 v[1:2], v[3:6], off
.LBB63_868:
	s_and_not1_b32 vcc_lo, exec_lo, s10
	s_cbranch_vccnz .LBB63_870
; %bb.869:
	v_cvt_f32_f64_e32 v3, s[2:3]
	v_cvt_f32_f64_e32 v4, s[4:5]
	global_store_b64 v[1:2], v[3:4], off
.LBB63_870:
	s_mov_b32 s10, 0
.LBB63_871:
	s_delay_alu instid0(SALU_CYCLE_1)
	s_and_not1_b32 vcc_lo, exec_lo, s10
	s_cbranch_vccnz .LBB63_873
; %bb.872:
	v_cvt_f32_f64_e32 v3, s[4:5]
	v_cvt_f32_f64_e32 v4, s[2:3]
	s_delay_alu instid0(VALU_DEP_2) | instskip(NEXT) | instid1(VALU_DEP_2)
	v_cvt_f16_f32_e32 v3, v3
	v_cvt_f16_f32_e32 v4, v4
	s_delay_alu instid0(VALU_DEP_2) | instskip(NEXT) | instid1(VALU_DEP_2)
	v_lshlrev_b32_e32 v3, 16, v3
	v_and_b32_e32 v4, 0xffff, v4
	s_delay_alu instid0(VALU_DEP_1)
	v_or_b32_e32 v3, v3, v4
	global_store_b32 v[1:2], v3, off
.LBB63_873:
	s_mov_b32 s10, 0
.LBB63_874:
	s_delay_alu instid0(SALU_CYCLE_1)
	s_and_not1_b32 vcc_lo, exec_lo, s10
	s_cbranch_vccnz .LBB63_883
; %bb.875:
	v_cmp_lt_i16_e64 s10, s8, 6
	s_delay_alu instid0(VALU_DEP_1)
	s_and_b32 vcc_lo, exec_lo, s10
	s_mov_b32 s10, -1
	s_cbranch_vccnz .LBB63_881
; %bb.876:
	v_cmp_gt_i16_e64 s10, s8, 6
	s_delay_alu instid0(VALU_DEP_1)
	s_and_b32 vcc_lo, exec_lo, s10
	s_mov_b32 s10, -1
	s_cbranch_vccz .LBB63_878
; %bb.877:
	v_dual_mov_b32 v4, s3 :: v_dual_mov_b32 v3, s2
	s_mov_b32 s10, 0
	global_store_b64 v[1:2], v[3:4], off
.LBB63_878:
	s_and_not1_b32 vcc_lo, exec_lo, s10
	s_cbranch_vccnz .LBB63_880
; %bb.879:
	v_cvt_f32_f64_e32 v3, s[2:3]
	global_store_b32 v[1:2], v3, off
.LBB63_880:
	s_mov_b32 s10, 0
.LBB63_881:
	s_delay_alu instid0(SALU_CYCLE_1)
	s_and_not1_b32 vcc_lo, exec_lo, s10
	s_cbranch_vccnz .LBB63_883
; %bb.882:
	v_cvt_f32_f64_e32 v3, s[2:3]
	s_delay_alu instid0(VALU_DEP_1)
	v_cvt_f16_f32_e32 v3, v3
	global_store_b16 v[1:2], v3, off
.LBB63_883:
	s_mov_b32 s10, 0
.LBB63_884:
	s_delay_alu instid0(SALU_CYCLE_1)
	s_and_not1_b32 vcc_lo, exec_lo, s10
	s_cbranch_vccnz .LBB63_900
; %bb.885:
	v_cmp_lt_i16_e64 s10, s8, 2
	s_delay_alu instid0(VALU_DEP_1)
	s_and_b32 vcc_lo, exec_lo, s10
	s_mov_b32 s10, -1
	s_cbranch_vccnz .LBB63_895
; %bb.886:
	v_cmp_lt_i16_e64 s10, s8, 3
	s_delay_alu instid0(VALU_DEP_1)
	s_and_b32 vcc_lo, exec_lo, s10
	s_mov_b32 s10, -1
	s_cbranch_vccnz .LBB63_892
; %bb.887:
	v_cmp_gt_i16_e64 s10, s8, 3
	s_delay_alu instid0(VALU_DEP_1)
	s_and_b32 vcc_lo, exec_lo, s10
	s_mov_b32 s10, -1
	s_cbranch_vccz .LBB63_889
; %bb.888:
	v_trunc_f64_e32 v[3:4], s[2:3]
	s_mov_b32 s10, 0
	s_delay_alu instid0(VALU_DEP_1) | instskip(NEXT) | instid1(VALU_DEP_1)
	v_ldexp_f64 v[5:6], v[3:4], 0xffffffe0
	v_floor_f64_e32 v[5:6], v[5:6]
	s_delay_alu instid0(VALU_DEP_1) | instskip(SKIP_1) | instid1(VALU_DEP_2)
	v_fma_f64 v[3:4], 0xc1f00000, v[5:6], v[3:4]
	v_cvt_i32_f64_e32 v5, v[5:6]
	v_cvt_u32_f64_e32 v4, v[3:4]
	global_store_b64 v[1:2], v[4:5], off
.LBB63_889:
	s_and_not1_b32 vcc_lo, exec_lo, s10
	s_cbranch_vccnz .LBB63_891
; %bb.890:
	v_cvt_i32_f64_e32 v3, s[2:3]
	global_store_b32 v[1:2], v3, off
.LBB63_891:
	s_mov_b32 s10, 0
.LBB63_892:
	s_delay_alu instid0(SALU_CYCLE_1)
	s_and_not1_b32 vcc_lo, exec_lo, s10
	s_cbranch_vccnz .LBB63_894
; %bb.893:
	v_cvt_i32_f64_e32 v3, s[2:3]
	global_store_b16 v[1:2], v3, off
.LBB63_894:
	s_mov_b32 s10, 0
.LBB63_895:
	s_delay_alu instid0(SALU_CYCLE_1)
	s_and_not1_b32 vcc_lo, exec_lo, s10
	s_cbranch_vccnz .LBB63_900
; %bb.896:
	v_cmp_gt_i16_e64 s10, s8, 0
	s_delay_alu instid0(VALU_DEP_1)
	s_and_b32 vcc_lo, exec_lo, s10
	s_mov_b32 s10, -1
	s_cbranch_vccz .LBB63_898
; %bb.897:
	v_cvt_i32_f64_e32 v3, s[2:3]
	s_mov_b32 s10, 0
	global_store_b8 v[1:2], v3, off
.LBB63_898:
	s_and_not1_b32 vcc_lo, exec_lo, s10
	s_cbranch_vccnz .LBB63_900
; %bb.899:
	v_trunc_f64_e32 v[3:4], s[2:3]
	s_delay_alu instid0(VALU_DEP_1) | instskip(NEXT) | instid1(VALU_DEP_1)
	v_ldexp_f64 v[5:6], v[3:4], 0xffffffe0
	v_floor_f64_e32 v[5:6], v[5:6]
	s_delay_alu instid0(VALU_DEP_1) | instskip(NEXT) | instid1(VALU_DEP_1)
	v_fma_f64 v[3:4], 0xc1f00000, v[5:6], v[3:4]
	v_cvt_u32_f64_e32 v3, v[3:4]
	global_store_b8 v[1:2], v3, off
.LBB63_900:
	s_mov_b32 s12, -1
.LBB63_901:
	s_delay_alu instid0(SALU_CYCLE_1)
	s_and_not1_b32 vcc_lo, exec_lo, s12
	s_cbranch_vccnz .LBB63_910
; %bb.902:
	v_cmp_lt_i16_e64 s11, s8, 11
	v_add_co_u32 v0, s0, s0, v0
	s_delay_alu instid0(VALU_DEP_1) | instskip(SKIP_1) | instid1(VALU_DEP_3)
	v_add_co_ci_u32_e64 v1, null, s1, 0, s0
	s_mov_b32 s10, 0
	s_and_b32 vcc_lo, exec_lo, s11
	s_mov_b32 s0, -1
	s_cbranch_vccnz .LBB63_911
; %bb.903:
	v_cmp_gt_i16_e64 s0, s8, 25
	s_mov_b32 s1, -1
	s_delay_alu instid0(VALU_DEP_1)
	s_and_b32 vcc_lo, exec_lo, s0
	s_mov_b32 s0, 0
	s_cbranch_vccz .LBB63_990
; %bb.904:
	v_cmp_gt_i16_e64 s0, s8, 28
	s_delay_alu instid0(VALU_DEP_1)
	s_and_b32 vcc_lo, exec_lo, s0
	s_cbranch_vccz .LBB63_955
; %bb.905:
	v_cmp_gt_i16_e64 s0, s8, 43
	s_delay_alu instid0(VALU_DEP_1)
	s_and_b32 vcc_lo, exec_lo, s0
	;; [unrolled: 5-line block ×3, first 2 shown]
	s_cbranch_vccz .LBB63_959
; %bb.907:
	v_cmp_eq_u16_e64 s0, s8, 46
	s_delay_alu instid0(VALU_DEP_1)
	s_and_b32 vcc_lo, exec_lo, s0
	s_mov_b32 s0, -1
	s_cbranch_vccz .LBB63_909
; %bb.908:
	v_cvt_f32_f64_e32 v3, s[2:3]
	v_cvt_f32_f64_e32 v2, s[4:5]
	s_mov_b32 s0, 0
	s_delay_alu instid0(VALU_DEP_2) | instskip(NEXT) | instid1(VALU_DEP_2)
	v_bfe_u32 v5, v3, 16, 1
	v_cmp_o_f32_e32 vcc_lo, v2, v2
	v_bfe_u32 v4, v2, 16, 1
	s_delay_alu instid0(VALU_DEP_3) | instskip(NEXT) | instid1(VALU_DEP_1)
	v_add_nc_u32_e32 v5, v3, v5
	v_add_nc_u32_e32 v5, 0x7fff, v5
	s_delay_alu instid0(VALU_DEP_1) | instskip(NEXT) | instid1(VALU_DEP_4)
	v_lshrrev_b32_e32 v5, 16, v5
	v_add_nc_u32_e32 v4, v2, v4
	s_delay_alu instid0(VALU_DEP_1) | instskip(NEXT) | instid1(VALU_DEP_1)
	v_add_nc_u32_e32 v4, 0x7fff, v4
	v_and_b32_e32 v4, 0xffff0000, v4
	s_delay_alu instid0(VALU_DEP_1) | instskip(SKIP_2) | instid1(VALU_DEP_1)
	v_cndmask_b32_e32 v2, 0x7fc00000, v4, vcc_lo
	v_cmp_o_f32_e32 vcc_lo, v3, v3
	v_cndmask_b32_e32 v3, 0x7fc0, v5, vcc_lo
	v_or_b32_e32 v2, v2, v3
	global_store_b32 v[0:1], v2, off
.LBB63_909:
	s_mov_b32 s1, 0
	s_branch .LBB63_960
.LBB63_910:
	s_mov_b32 s0, 0
	s_mov_b32 s10, 0
                                        ; implicit-def: $sgpr8
                                        ; implicit-def: $vgpr0_vgpr1
.LBB63_911:
	s_and_not1_b32 s1, s6, exec_lo
	s_and_b32 s6, s9, exec_lo
	s_and_b32 s0, s0, exec_lo
	;; [unrolled: 1-line block ×3, first 2 shown]
	s_or_b32 s6, s1, s6
.LBB63_912:
	s_or_b32 exec_lo, exec_lo, s7
	s_and_saveexec_b32 s1, s6
	s_cbranch_execz .LBB63_915
; %bb.913:
	; divergent unreachable
	s_or_b32 exec_lo, exec_lo, s1
	s_and_saveexec_b32 s1, s26
	s_delay_alu instid0(SALU_CYCLE_1)
	s_xor_b32 s1, exec_lo, s1
	s_cbranch_execnz .LBB63_916
.LBB63_914:
	s_or_b32 exec_lo, exec_lo, s1
	s_and_saveexec_b32 s1, s0
	s_cbranch_execnz .LBB63_917
	s_branch .LBB63_954
.LBB63_915:
	s_or_b32 exec_lo, exec_lo, s1
	s_and_saveexec_b32 s1, s26
	s_delay_alu instid0(SALU_CYCLE_1)
	s_xor_b32 s1, exec_lo, s1
	s_cbranch_execz .LBB63_914
.LBB63_916:
	v_cmp_neq_f64_e64 s6, s[2:3], 0
	v_cmp_neq_f64_e64 s7, s[4:5], 0
	s_delay_alu instid0(VALU_DEP_1) | instskip(NEXT) | instid1(SALU_CYCLE_1)
	s_or_b32 s6, s6, s7
	v_cndmask_b32_e64 v2, 0, 1, s6
	global_store_b8 v[0:1], v2, off
	s_or_b32 exec_lo, exec_lo, s1
	s_and_saveexec_b32 s1, s0
	s_cbranch_execz .LBB63_954
.LBB63_917:
	v_cmp_lt_i16_e64 s0, s8, 5
	s_delay_alu instid0(VALU_DEP_1)
	s_and_b32 vcc_lo, exec_lo, s0
	s_mov_b32 s0, -1
	s_cbranch_vccnz .LBB63_938
; %bb.918:
	v_cmp_lt_i16_e64 s0, s8, 8
	s_delay_alu instid0(VALU_DEP_1)
	s_and_b32 vcc_lo, exec_lo, s0
	s_mov_b32 s0, -1
	s_cbranch_vccnz .LBB63_928
; %bb.919:
	;; [unrolled: 6-line block ×3, first 2 shown]
	v_cmp_gt_i16_e64 s0, s8, 9
	s_delay_alu instid0(VALU_DEP_1)
	s_and_b32 vcc_lo, exec_lo, s0
	s_mov_b32 s0, -1
	s_cbranch_vccz .LBB63_922
; %bb.921:
	v_dual_mov_b32 v2, s2 :: v_dual_mov_b32 v3, s3
	v_dual_mov_b32 v4, s4 :: v_dual_mov_b32 v5, s5
	s_mov_b32 s0, 0
	global_store_b128 v[0:1], v[2:5], off
.LBB63_922:
	s_and_not1_b32 vcc_lo, exec_lo, s0
	s_cbranch_vccnz .LBB63_924
; %bb.923:
	v_cvt_f32_f64_e32 v2, s[2:3]
	v_cvt_f32_f64_e32 v3, s[4:5]
	global_store_b64 v[0:1], v[2:3], off
.LBB63_924:
	s_mov_b32 s0, 0
.LBB63_925:
	s_delay_alu instid0(SALU_CYCLE_1)
	s_and_not1_b32 vcc_lo, exec_lo, s0
	s_cbranch_vccnz .LBB63_927
; %bb.926:
	v_cvt_f32_f64_e32 v2, s[4:5]
	v_cvt_f32_f64_e32 v3, s[2:3]
	s_delay_alu instid0(VALU_DEP_2) | instskip(NEXT) | instid1(VALU_DEP_2)
	v_cvt_f16_f32_e32 v2, v2
	v_cvt_f16_f32_e32 v3, v3
	s_delay_alu instid0(VALU_DEP_2) | instskip(NEXT) | instid1(VALU_DEP_2)
	v_lshlrev_b32_e32 v2, 16, v2
	v_and_b32_e32 v3, 0xffff, v3
	s_delay_alu instid0(VALU_DEP_1)
	v_or_b32_e32 v2, v2, v3
	global_store_b32 v[0:1], v2, off
.LBB63_927:
	s_mov_b32 s0, 0
.LBB63_928:
	s_delay_alu instid0(SALU_CYCLE_1)
	s_and_not1_b32 vcc_lo, exec_lo, s0
	s_cbranch_vccnz .LBB63_937
; %bb.929:
	v_cmp_lt_i16_e64 s0, s8, 6
	s_delay_alu instid0(VALU_DEP_1)
	s_and_b32 vcc_lo, exec_lo, s0
	s_mov_b32 s0, -1
	s_cbranch_vccnz .LBB63_935
; %bb.930:
	v_cmp_gt_i16_e64 s0, s8, 6
	s_delay_alu instid0(VALU_DEP_1)
	s_and_b32 vcc_lo, exec_lo, s0
	s_mov_b32 s0, -1
	s_cbranch_vccz .LBB63_932
; %bb.931:
	v_dual_mov_b32 v2, s2 :: v_dual_mov_b32 v3, s3
	s_mov_b32 s0, 0
	global_store_b64 v[0:1], v[2:3], off
.LBB63_932:
	s_and_not1_b32 vcc_lo, exec_lo, s0
	s_cbranch_vccnz .LBB63_934
; %bb.933:
	v_cvt_f32_f64_e32 v2, s[2:3]
	global_store_b32 v[0:1], v2, off
.LBB63_934:
	s_mov_b32 s0, 0
.LBB63_935:
	s_delay_alu instid0(SALU_CYCLE_1)
	s_and_not1_b32 vcc_lo, exec_lo, s0
	s_cbranch_vccnz .LBB63_937
; %bb.936:
	v_cvt_f32_f64_e32 v2, s[2:3]
	s_delay_alu instid0(VALU_DEP_1)
	v_cvt_f16_f32_e32 v2, v2
	global_store_b16 v[0:1], v2, off
.LBB63_937:
	s_mov_b32 s0, 0
.LBB63_938:
	s_delay_alu instid0(SALU_CYCLE_1)
	s_and_not1_b32 vcc_lo, exec_lo, s0
	s_cbranch_vccnz .LBB63_954
; %bb.939:
	v_cmp_lt_i16_e64 s0, s8, 2
	s_delay_alu instid0(VALU_DEP_1)
	s_and_b32 vcc_lo, exec_lo, s0
	s_mov_b32 s0, -1
	s_cbranch_vccnz .LBB63_949
; %bb.940:
	v_cmp_lt_i16_e64 s0, s8, 3
	s_delay_alu instid0(VALU_DEP_1)
	s_and_b32 vcc_lo, exec_lo, s0
	s_mov_b32 s0, -1
	s_cbranch_vccnz .LBB63_946
; %bb.941:
	v_cmp_gt_i16_e64 s0, s8, 3
	s_delay_alu instid0(VALU_DEP_1)
	s_and_b32 vcc_lo, exec_lo, s0
	s_mov_b32 s0, -1
	s_cbranch_vccz .LBB63_943
; %bb.942:
	v_trunc_f64_e32 v[2:3], s[2:3]
	s_mov_b32 s0, 0
	s_delay_alu instid0(VALU_DEP_1) | instskip(NEXT) | instid1(VALU_DEP_1)
	v_ldexp_f64 v[4:5], v[2:3], 0xffffffe0
	v_floor_f64_e32 v[4:5], v[4:5]
	s_delay_alu instid0(VALU_DEP_1) | instskip(SKIP_1) | instid1(VALU_DEP_2)
	v_fma_f64 v[2:3], 0xc1f00000, v[4:5], v[2:3]
	v_cvt_i32_f64_e32 v4, v[4:5]
	v_cvt_u32_f64_e32 v3, v[2:3]
	global_store_b64 v[0:1], v[3:4], off
.LBB63_943:
	s_and_not1_b32 vcc_lo, exec_lo, s0
	s_cbranch_vccnz .LBB63_945
; %bb.944:
	v_cvt_i32_f64_e32 v2, s[2:3]
	global_store_b32 v[0:1], v2, off
.LBB63_945:
	s_mov_b32 s0, 0
.LBB63_946:
	s_delay_alu instid0(SALU_CYCLE_1)
	s_and_not1_b32 vcc_lo, exec_lo, s0
	s_cbranch_vccnz .LBB63_948
; %bb.947:
	v_cvt_i32_f64_e32 v2, s[2:3]
	global_store_b16 v[0:1], v2, off
.LBB63_948:
	s_mov_b32 s0, 0
.LBB63_949:
	s_delay_alu instid0(SALU_CYCLE_1)
	s_and_not1_b32 vcc_lo, exec_lo, s0
	s_cbranch_vccnz .LBB63_954
; %bb.950:
	v_cmp_gt_i16_e64 s0, s8, 0
	s_delay_alu instid0(VALU_DEP_1)
	s_and_b32 vcc_lo, exec_lo, s0
	s_mov_b32 s0, -1
	s_cbranch_vccz .LBB63_952
; %bb.951:
	v_cvt_i32_f64_e32 v2, s[2:3]
	s_mov_b32 s0, 0
	global_store_b8 v[0:1], v2, off
.LBB63_952:
	s_and_not1_b32 vcc_lo, exec_lo, s0
	s_cbranch_vccnz .LBB63_954
; %bb.953:
	v_trunc_f64_e32 v[2:3], s[2:3]
	s_delay_alu instid0(VALU_DEP_1) | instskip(NEXT) | instid1(VALU_DEP_1)
	v_ldexp_f64 v[4:5], v[2:3], 0xffffffe0
	v_floor_f64_e32 v[4:5], v[4:5]
	s_delay_alu instid0(VALU_DEP_1) | instskip(NEXT) | instid1(VALU_DEP_1)
	v_fma_f64 v[2:3], 0xc1f00000, v[4:5], v[2:3]
	v_cvt_u32_f64_e32 v2, v[2:3]
	global_store_b8 v[0:1], v2, off
	s_nop 0
	s_sendmsg sendmsg(MSG_DEALLOC_VGPRS)
	s_endpgm
.LBB63_954:
	s_nop 0
	s_sendmsg sendmsg(MSG_DEALLOC_VGPRS)
	s_endpgm
.LBB63_955:
	s_mov_b32 s0, 0
	s_branch .LBB63_970
.LBB63_956:
	s_mov_b32 s0, 0
	s_branch .LBB63_966
.LBB63_957:
	s_cbranch_execnz .LBB63_981
; %bb.958:
	s_or_b32 s9, s9, exec_lo
	s_cbranch_execz .LBB63_860
	s_branch .LBB63_861
.LBB63_959:
	s_mov_b32 s0, 0
.LBB63_960:
	s_and_b32 vcc_lo, exec_lo, s1
	s_cbranch_vccz .LBB63_965
; %bb.961:
	v_cmp_eq_u16_e64 s0, s8, 44
	s_delay_alu instid0(VALU_DEP_1)
	s_and_b32 vcc_lo, exec_lo, s0
	s_mov_b32 s0, -1
	s_cbranch_vccz .LBB63_965
; %bb.962:
	v_cvt_f32_f64_e32 v2, s[2:3]
	v_mov_b32_e32 v3, 0xff
	s_delay_alu instid0(VALU_DEP_2) | instskip(NEXT) | instid1(VALU_DEP_1)
	v_readfirstlane_b32 s0, v2
	s_bfe_u32 s1, s0, 0x80017
	s_delay_alu instid0(SALU_CYCLE_1)
	s_cmpk_eq_i32 s1, 0xff
	s_cbranch_scc1 .LBB63_964
; %bb.963:
	s_bitcmp1_b32 s0, 22
	v_lshrrev_b32_e32 v2, 23, v2
	s_cselect_b32 s11, -1, 0
	s_and_b32 s0, s0, 0x3fffff
	s_delay_alu instid0(SALU_CYCLE_1) | instskip(NEXT) | instid1(SALU_CYCLE_1)
	s_or_b32 s0, s1, s0
	s_cmp_lg_u32 s0, 0
	s_cselect_b32 s0, -1, 0
	s_delay_alu instid0(SALU_CYCLE_1) | instskip(NEXT) | instid1(SALU_CYCLE_1)
	s_and_b32 s0, s11, s0
	v_cndmask_b32_e64 v3, 0, 1, s0
	s_delay_alu instid0(VALU_DEP_1)
	v_add_nc_u32_e32 v3, v2, v3
.LBB63_964:
	s_mov_b32 s0, 0
	global_store_b8 v[0:1], v3, off
.LBB63_965:
	s_mov_b32 s1, 0
.LBB63_966:
	s_delay_alu instid0(SALU_CYCLE_1)
	s_and_b32 vcc_lo, exec_lo, s1
	s_cbranch_vccz .LBB63_969
; %bb.967:
	v_cmp_eq_u16_e64 s0, s8, 29
	s_delay_alu instid0(VALU_DEP_1)
	s_and_b32 vcc_lo, exec_lo, s0
	s_mov_b32 s0, -1
	s_cbranch_vccz .LBB63_969
; %bb.968:
	v_trunc_f64_e32 v[2:3], s[2:3]
	s_mov_b32 s0, 0
	s_delay_alu instid0(VALU_DEP_1) | instskip(NEXT) | instid1(VALU_DEP_1)
	v_ldexp_f64 v[4:5], v[2:3], 0xffffffe0
	v_floor_f64_e32 v[4:5], v[4:5]
	s_delay_alu instid0(VALU_DEP_1) | instskip(SKIP_1) | instid1(VALU_DEP_2)
	v_fma_f64 v[2:3], 0xc1f00000, v[4:5], v[2:3]
	v_cvt_u32_f64_e32 v4, v[4:5]
	v_cvt_u32_f64_e32 v3, v[2:3]
	global_store_b64 v[0:1], v[3:4], off
.LBB63_969:
	s_mov_b32 s1, 0
.LBB63_970:
	s_delay_alu instid0(SALU_CYCLE_1)
	s_and_b32 vcc_lo, exec_lo, s1
	s_cbranch_vccz .LBB63_989
; %bb.971:
	v_cmp_lt_i16_e64 s1, s8, 27
	s_delay_alu instid0(VALU_DEP_1)
	s_and_b32 vcc_lo, exec_lo, s1
	s_mov_b32 s1, -1
	s_cbranch_vccnz .LBB63_977
; %bb.972:
	v_cvt_u32_f64_e32 v2, s[2:3]
	v_cmp_gt_i16_e64 s1, s8, 27
	s_delay_alu instid0(VALU_DEP_1)
	s_and_b32 vcc_lo, exec_lo, s1
	s_mov_b32 s1, -1
	s_cbranch_vccz .LBB63_974
; %bb.973:
	s_mov_b32 s1, 0
	global_store_b32 v[0:1], v2, off
.LBB63_974:
	s_and_not1_b32 vcc_lo, exec_lo, s1
	s_cbranch_vccnz .LBB63_976
; %bb.975:
	global_store_b16 v[0:1], v2, off
.LBB63_976:
	s_mov_b32 s1, 0
.LBB63_977:
	s_delay_alu instid0(SALU_CYCLE_1)
	s_and_not1_b32 vcc_lo, exec_lo, s1
	s_cbranch_vccnz .LBB63_989
; %bb.978:
	v_cvt_f32_f64_e32 v2, s[2:3]
	v_mov_b32_e32 v3, 0x80
	s_delay_alu instid0(VALU_DEP_2) | instskip(NEXT) | instid1(VALU_DEP_1)
	v_readfirstlane_b32 s1, v2
	s_and_b32 s11, s1, 0x7fffffff
	s_delay_alu instid0(SALU_CYCLE_1)
	s_cmp_gt_u32 s11, 0x437fffff
	s_cbranch_scc1 .LBB63_988
; %bb.979:
	s_cmp_gt_u32 s11, 0x3bffffff
	s_cbranch_scc0 .LBB63_983
; %bb.980:
	s_bfe_u32 s11, s1, 0x10014
	s_mov_b32 s12, 0
	s_add_i32 s11, s1, s11
	s_delay_alu instid0(SALU_CYCLE_1) | instskip(NEXT) | instid1(SALU_CYCLE_1)
	s_add_i32 s11, s11, 0x487ffff
	s_lshr_b32 s13, s11, 20
	s_mov_b32 s11, -1
	s_branch .LBB63_984
.LBB63_981:
	s_trap 2
	s_sendmsg_rtn_b32 s0, sendmsg(MSG_RTN_GET_DOORBELL)
	s_mov_b32 ttmp2, m0
	s_waitcnt lgkmcnt(0)
	s_and_b32 s0, s0, 0x3ff
	s_delay_alu instid0(SALU_CYCLE_1) | instskip(NEXT) | instid1(SALU_CYCLE_1)
	s_bitset1_b32 s0, 10
	s_mov_b32 m0, s0
	s_sendmsg sendmsg(MSG_INTERRUPT)
	s_mov_b32 m0, ttmp2
.LBB63_982:                             ; =>This Inner Loop Header: Depth=1
	s_sethalt 5
	s_branch .LBB63_982
.LBB63_983:
	s_mov_b32 s12, -1
	s_mov_b32 s11, 0
                                        ; implicit-def: $sgpr13
.LBB63_984:
	v_mov_b32_e32 v2, s13
	s_and_not1_b32 vcc_lo, exec_lo, s12
                                        ; implicit-def: $sgpr12
	s_cbranch_vccnz .LBB63_986
; %bb.985:
	v_add_f32_e64 v2, 0x46000000, |s1|
	s_mov_b32 s12, 0
	s_delay_alu instid0(VALU_DEP_1) | instskip(NEXT) | instid1(VALU_DEP_1)
	v_and_b32_e32 v2, 0xff, v2
	v_cmp_ne_u32_e64 s11, 0, v2
.LBB63_986:
	v_mov_b32_e32 v3, s12
	s_delay_alu instid0(VALU_DEP_2)
	s_and_not1_b32 vcc_lo, exec_lo, s11
	s_cbranch_vccnz .LBB63_988
; %bb.987:
	s_lshr_b32 s1, s1, 24
	s_delay_alu instid0(SALU_CYCLE_1) | instskip(NEXT) | instid1(SALU_CYCLE_1)
	s_and_b32 s1, s1, 0x80
	v_or_b32_e32 v3, s1, v2
.LBB63_988:
	global_store_b8 v[0:1], v3, off
.LBB63_989:
	s_mov_b32 s1, 0
.LBB63_990:
	s_delay_alu instid0(SALU_CYCLE_1)
	s_and_b32 vcc_lo, exec_lo, s1
	s_cbranch_vccz .LBB63_1036
; %bb.991:
	v_cmp_gt_i16_e64 s1, s8, 22
	s_delay_alu instid0(VALU_DEP_1)
	s_and_b32 vcc_lo, exec_lo, s1
	s_mov_b32 s1, -1
	s_cbranch_vccz .LBB63_1029
; %bb.992:
	v_cmp_lt_i16_e64 s1, s8, 24
	s_delay_alu instid0(VALU_DEP_1)
	s_and_b32 vcc_lo, exec_lo, s1
	s_mov_b32 s1, -1
	s_cbranch_vccnz .LBB63_1016
; %bb.993:
	v_cmp_gt_i16_e64 s1, s8, 24
	s_delay_alu instid0(VALU_DEP_1)
	s_and_b32 vcc_lo, exec_lo, s1
	s_mov_b32 s1, -1
	s_cbranch_vccz .LBB63_1003
; %bb.994:
	v_cvt_f32_f64_e32 v2, s[2:3]
	v_mov_b32_e32 v3, 0x80
	s_delay_alu instid0(VALU_DEP_2) | instskip(NEXT) | instid1(VALU_DEP_1)
	v_readfirstlane_b32 s1, v2
	s_and_b32 s10, s1, 0x7fffffff
	s_delay_alu instid0(SALU_CYCLE_1)
	s_cmp_gt_u32 s10, 0x477fffff
	s_cbranch_scc1 .LBB63_1002
; %bb.995:
	s_cmp_gt_u32 s10, 0x37ffffff
	s_cbranch_scc0 .LBB63_997
; %bb.996:
	s_bfe_u32 s10, s1, 0x10015
	s_mov_b32 s11, 0
	s_add_i32 s10, s1, s10
	s_delay_alu instid0(SALU_CYCLE_1) | instskip(NEXT) | instid1(SALU_CYCLE_1)
	s_add_i32 s10, s10, 0x88fffff
	s_lshr_b32 s12, s10, 21
	s_mov_b32 s10, -1
	s_branch .LBB63_998
.LBB63_997:
	s_mov_b32 s11, -1
	s_mov_b32 s10, 0
                                        ; implicit-def: $sgpr12
.LBB63_998:
	v_mov_b32_e32 v2, s12
	s_and_not1_b32 vcc_lo, exec_lo, s11
                                        ; implicit-def: $sgpr11
	s_cbranch_vccnz .LBB63_1000
; %bb.999:
	v_add_f32_e64 v2, 0x42800000, |s1|
	s_mov_b32 s11, 0
	s_delay_alu instid0(VALU_DEP_1) | instskip(NEXT) | instid1(VALU_DEP_1)
	v_and_b32_e32 v2, 0xff, v2
	v_cmp_ne_u32_e64 s10, 0, v2
.LBB63_1000:
	v_mov_b32_e32 v3, s11
	s_delay_alu instid0(VALU_DEP_2)
	s_and_not1_b32 vcc_lo, exec_lo, s10
	s_cbranch_vccnz .LBB63_1002
; %bb.1001:
	s_lshr_b32 s1, s1, 24
	s_delay_alu instid0(SALU_CYCLE_1) | instskip(NEXT) | instid1(SALU_CYCLE_1)
	s_and_b32 s1, s1, 0x80
	v_or_b32_e32 v3, s1, v2
.LBB63_1002:
	s_mov_b32 s1, 0
	global_store_b8 v[0:1], v3, off
.LBB63_1003:
	s_and_b32 vcc_lo, exec_lo, s1
	s_cbranch_vccz .LBB63_1015
; %bb.1004:
	v_cvt_f32_f64_e32 v2, s[2:3]
	s_delay_alu instid0(VALU_DEP_1) | instskip(NEXT) | instid1(VALU_DEP_1)
	v_readfirstlane_b32 s1, v2
	s_and_b32 s10, s1, 0x7fffffff
	s_delay_alu instid0(SALU_CYCLE_1)
	s_cmp_lt_u32 s10, 0x43f00000
	s_cbranch_scc0 .LBB63_1007
; %bb.1005:
	s_cmp_gt_u32 s10, 0x3c7fffff
	s_cbranch_scc0 .LBB63_1008
; %bb.1006:
	s_bfe_u32 s11, s1, 0x10014
	s_delay_alu instid0(SALU_CYCLE_1) | instskip(NEXT) | instid1(SALU_CYCLE_1)
	s_add_i32 s11, s1, s11
	s_add_i32 s11, s11, 0x407ffff
	s_delay_alu instid0(SALU_CYCLE_1)
	s_and_b32 s12, s11, 0xff00000
	s_lshr_b32 s11, s11, 20
	s_cmp_lg_u32 s12, 0x7f00000
	s_cselect_b32 s12, s11, 0x7e
	s_mov_b32 s11, 0
	s_branch .LBB63_1009
.LBB63_1007:
	s_mov_b32 s11, -1
                                        ; implicit-def: $vgpr3
	s_branch .LBB63_1012
.LBB63_1008:
	s_mov_b32 s11, -1
                                        ; implicit-def: $sgpr12
.LBB63_1009:
	v_mov_b32_e32 v3, s12
	s_and_not1_b32 vcc_lo, exec_lo, s11
	s_cbranch_vccnz .LBB63_1011
; %bb.1010:
	v_add_f32_e64 v3, 0x46800000, |v2|
.LBB63_1011:
	s_mov_b32 s11, 0
.LBB63_1012:
	s_delay_alu instid0(SALU_CYCLE_1)
	s_and_not1_b32 vcc_lo, exec_lo, s11
	s_cbranch_vccnz .LBB63_1014
; %bb.1013:
	s_cmp_gt_u32 s10, 0x7f800000
	s_movk_i32 s10, 0x7f
	s_delay_alu instid0(SALU_CYCLE_1) | instskip(NEXT) | instid1(SALU_CYCLE_1)
	s_cselect_b32 s10, s10, 0x7e
	v_mov_b32_e32 v3, s10
.LBB63_1014:
	s_lshr_b32 s1, s1, 24
	s_delay_alu instid0(SALU_CYCLE_1)
	s_and_b32 s1, s1, 0x80
	s_delay_alu instid0(VALU_DEP_1) | instid1(SALU_CYCLE_1)
	v_or_b32_e32 v2, s1, v3
	global_store_b8 v[0:1], v2, off
.LBB63_1015:
	s_mov_b32 s1, 0
.LBB63_1016:
	s_delay_alu instid0(SALU_CYCLE_1)
	s_and_not1_b32 vcc_lo, exec_lo, s1
	s_cbranch_vccnz .LBB63_1028
; %bb.1017:
	v_cvt_f32_f64_e32 v2, s[2:3]
	s_delay_alu instid0(VALU_DEP_1) | instskip(NEXT) | instid1(VALU_DEP_1)
	v_readfirstlane_b32 s1, v2
	s_and_b32 s10, s1, 0x7fffffff
	s_delay_alu instid0(SALU_CYCLE_1)
	s_cmp_lt_u32 s10, 0x47800000
	s_cbranch_scc0 .LBB63_1020
; %bb.1018:
	s_cmp_gt_u32 s10, 0x387fffff
	s_cbranch_scc0 .LBB63_1021
; %bb.1019:
	s_bfe_u32 s11, s1, 0x10015
	s_delay_alu instid0(SALU_CYCLE_1) | instskip(NEXT) | instid1(SALU_CYCLE_1)
	s_add_i32 s11, s1, s11
	s_add_i32 s11, s11, 0x80fffff
	s_delay_alu instid0(SALU_CYCLE_1)
	s_lshr_b32 s12, s11, 21
	s_mov_b32 s11, 0
	s_branch .LBB63_1022
.LBB63_1020:
	s_mov_b32 s11, -1
                                        ; implicit-def: $vgpr3
	s_branch .LBB63_1025
.LBB63_1021:
	s_mov_b32 s11, -1
                                        ; implicit-def: $sgpr12
.LBB63_1022:
	v_mov_b32_e32 v3, s12
	s_and_not1_b32 vcc_lo, exec_lo, s11
	s_cbranch_vccnz .LBB63_1024
; %bb.1023:
	v_add_f32_e64 v3, 0x43000000, |v2|
.LBB63_1024:
	s_mov_b32 s11, 0
.LBB63_1025:
	s_delay_alu instid0(SALU_CYCLE_1)
	s_and_not1_b32 vcc_lo, exec_lo, s11
	s_cbranch_vccnz .LBB63_1027
; %bb.1026:
	s_cmp_gt_u32 s10, 0x7f800000
	s_movk_i32 s10, 0x7f
	s_delay_alu instid0(SALU_CYCLE_1) | instskip(NEXT) | instid1(SALU_CYCLE_1)
	s_cselect_b32 s10, s10, 0x7c
	v_mov_b32_e32 v3, s10
.LBB63_1027:
	s_lshr_b32 s1, s1, 24
	s_delay_alu instid0(SALU_CYCLE_1)
	s_and_b32 s1, s1, 0x80
	s_delay_alu instid0(VALU_DEP_1) | instid1(SALU_CYCLE_1)
	v_or_b32_e32 v2, s1, v3
	global_store_b8 v[0:1], v2, off
.LBB63_1028:
	s_mov_b32 s1, 0
.LBB63_1029:
	s_delay_alu instid0(SALU_CYCLE_1)
	s_and_not1_b32 vcc_lo, exec_lo, s1
	s_mov_b32 s10, 0
	s_cbranch_vccnz .LBB63_1036
; %bb.1030:
	v_cmp_gt_i16_e64 s1, s8, 14
	s_delay_alu instid0(VALU_DEP_1)
	s_and_b32 vcc_lo, exec_lo, s1
	s_mov_b32 s1, -1
	s_cbranch_vccz .LBB63_1034
; %bb.1031:
	v_cmp_eq_u16_e64 s0, s8, 15
	s_delay_alu instid0(VALU_DEP_1)
	s_and_b32 vcc_lo, exec_lo, s0
	s_mov_b32 s0, -1
	s_cbranch_vccz .LBB63_1033
; %bb.1032:
	v_cvt_f32_f64_e32 v2, s[2:3]
	s_mov_b32 s0, 0
	s_delay_alu instid0(VALU_DEP_1) | instskip(SKIP_1) | instid1(VALU_DEP_2)
	v_bfe_u32 v3, v2, 16, 1
	v_cmp_o_f32_e32 vcc_lo, v2, v2
	v_add_nc_u32_e32 v3, v2, v3
	s_delay_alu instid0(VALU_DEP_1) | instskip(NEXT) | instid1(VALU_DEP_1)
	v_add_nc_u32_e32 v3, 0x7fff, v3
	v_lshrrev_b32_e32 v3, 16, v3
	s_delay_alu instid0(VALU_DEP_1)
	v_cndmask_b32_e32 v2, 0x7fc0, v3, vcc_lo
	global_store_b16 v[0:1], v2, off
.LBB63_1033:
	s_mov_b32 s1, 0
.LBB63_1034:
	s_delay_alu instid0(SALU_CYCLE_1)
	s_and_b32 vcc_lo, exec_lo, s1
	s_cbranch_vccz .LBB63_1036
; %bb.1035:
	v_cmp_ne_u16_e64 s0, s8, 11
	s_mov_b32 s10, -1
.LBB63_1036:
	s_delay_alu instid0(VALU_DEP_1)
	s_and_b32 vcc_lo, exec_lo, s0
	s_cbranch_vccnz .LBB63_1038
.LBB63_1037:
	s_mov_b32 s0, 0
	s_branch .LBB63_911
.LBB63_1038:
	s_cbranch_execnz .LBB63_1040
; %bb.1039:
	s_mov_b32 s10, 0
	s_or_b32 s9, s9, exec_lo
	s_branch .LBB63_1037
.LBB63_1040:
	s_trap 2
	s_sendmsg_rtn_b32 s0, sendmsg(MSG_RTN_GET_DOORBELL)
	s_mov_b32 ttmp2, m0
	s_waitcnt lgkmcnt(0)
	s_and_b32 s0, s0, 0x3ff
	s_delay_alu instid0(SALU_CYCLE_1) | instskip(NEXT) | instid1(SALU_CYCLE_1)
	s_bitset1_b32 s0, 10
	s_mov_b32 m0, s0
	s_sendmsg sendmsg(MSG_INTERRUPT)
	s_mov_b32 m0, ttmp2
.LBB63_1041:                            ; =>This Inner Loop Header: Depth=1
	s_sethalt 5
	s_branch .LBB63_1041
	.section	.rodata,"a",@progbits
	.p2align	6, 0x0
	.amdhsa_kernel _ZN2at6native32elementwise_kernel_manual_unrollILi128ELi4EZNS0_15gpu_kernel_implINS0_11FillFunctorIN3c107complexIdEEEEEEvRNS_18TensorIteratorBaseERKT_EUlibE0_EEviT1_
		.amdhsa_group_segment_fixed_size 0
		.amdhsa_private_segment_fixed_size 0
		.amdhsa_kernarg_size 320
		.amdhsa_user_sgpr_count 15
		.amdhsa_user_sgpr_dispatch_ptr 0
		.amdhsa_user_sgpr_queue_ptr 0
		.amdhsa_user_sgpr_kernarg_segment_ptr 1
		.amdhsa_user_sgpr_dispatch_id 0
		.amdhsa_user_sgpr_private_segment_size 0
		.amdhsa_wavefront_size32 1
		.amdhsa_uses_dynamic_stack 0
		.amdhsa_enable_private_segment 0
		.amdhsa_system_sgpr_workgroup_id_x 1
		.amdhsa_system_sgpr_workgroup_id_y 0
		.amdhsa_system_sgpr_workgroup_id_z 0
		.amdhsa_system_sgpr_workgroup_info 0
		.amdhsa_system_vgpr_workitem_id 0
		.amdhsa_next_free_vgpr 27
		.amdhsa_next_free_sgpr 76
		.amdhsa_reserve_vcc 1
		.amdhsa_float_round_mode_32 0
		.amdhsa_float_round_mode_16_64 0
		.amdhsa_float_denorm_mode_32 3
		.amdhsa_float_denorm_mode_16_64 3
		.amdhsa_dx10_clamp 1
		.amdhsa_ieee_mode 1
		.amdhsa_fp16_overflow 0
		.amdhsa_workgroup_processor_mode 1
		.amdhsa_memory_ordered 1
		.amdhsa_forward_progress 0
		.amdhsa_shared_vgpr_count 0
		.amdhsa_exception_fp_ieee_invalid_op 0
		.amdhsa_exception_fp_denorm_src 0
		.amdhsa_exception_fp_ieee_div_zero 0
		.amdhsa_exception_fp_ieee_overflow 0
		.amdhsa_exception_fp_ieee_underflow 0
		.amdhsa_exception_fp_ieee_inexact 0
		.amdhsa_exception_int_div_zero 0
	.end_amdhsa_kernel
	.section	.text._ZN2at6native32elementwise_kernel_manual_unrollILi128ELi4EZNS0_15gpu_kernel_implINS0_11FillFunctorIN3c107complexIdEEEEEEvRNS_18TensorIteratorBaseERKT_EUlibE0_EEviT1_,"axG",@progbits,_ZN2at6native32elementwise_kernel_manual_unrollILi128ELi4EZNS0_15gpu_kernel_implINS0_11FillFunctorIN3c107complexIdEEEEEEvRNS_18TensorIteratorBaseERKT_EUlibE0_EEviT1_,comdat
.Lfunc_end63:
	.size	_ZN2at6native32elementwise_kernel_manual_unrollILi128ELi4EZNS0_15gpu_kernel_implINS0_11FillFunctorIN3c107complexIdEEEEEEvRNS_18TensorIteratorBaseERKT_EUlibE0_EEviT1_, .Lfunc_end63-_ZN2at6native32elementwise_kernel_manual_unrollILi128ELi4EZNS0_15gpu_kernel_implINS0_11FillFunctorIN3c107complexIdEEEEEEvRNS_18TensorIteratorBaseERKT_EUlibE0_EEviT1_
                                        ; -- End function
	.section	.AMDGPU.csdata,"",@progbits
; Kernel info:
; codeLenInByte = 21536
; NumSgprs: 78
; NumVgprs: 27
; ScratchSize: 0
; MemoryBound: 0
; FloatMode: 240
; IeeeMode: 1
; LDSByteSize: 0 bytes/workgroup (compile time only)
; SGPRBlocks: 9
; VGPRBlocks: 3
; NumSGPRsForWavesPerEU: 78
; NumVGPRsForWavesPerEU: 27
; Occupancy: 16
; WaveLimiterHint : 1
; COMPUTE_PGM_RSRC2:SCRATCH_EN: 0
; COMPUTE_PGM_RSRC2:USER_SGPR: 15
; COMPUTE_PGM_RSRC2:TRAP_HANDLER: 0
; COMPUTE_PGM_RSRC2:TGID_X_EN: 1
; COMPUTE_PGM_RSRC2:TGID_Y_EN: 0
; COMPUTE_PGM_RSRC2:TGID_Z_EN: 0
; COMPUTE_PGM_RSRC2:TIDIG_COMP_CNT: 0
	.section	.text._ZN2at6native29vectorized_elementwise_kernelILi16ENS0_11FillFunctorIN3c107complexIfEEEESt5arrayIPcLm1EEEEviT0_T1_,"axG",@progbits,_ZN2at6native29vectorized_elementwise_kernelILi16ENS0_11FillFunctorIN3c107complexIfEEEESt5arrayIPcLm1EEEEviT0_T1_,comdat
	.protected	_ZN2at6native29vectorized_elementwise_kernelILi16ENS0_11FillFunctorIN3c107complexIfEEEESt5arrayIPcLm1EEEEviT0_T1_ ; -- Begin function _ZN2at6native29vectorized_elementwise_kernelILi16ENS0_11FillFunctorIN3c107complexIfEEEESt5arrayIPcLm1EEEEviT0_T1_
	.globl	_ZN2at6native29vectorized_elementwise_kernelILi16ENS0_11FillFunctorIN3c107complexIfEEEESt5arrayIPcLm1EEEEviT0_T1_
	.p2align	8
	.type	_ZN2at6native29vectorized_elementwise_kernelILi16ENS0_11FillFunctorIN3c107complexIfEEEESt5arrayIPcLm1EEEEviT0_T1_,@function
_ZN2at6native29vectorized_elementwise_kernelILi16ENS0_11FillFunctorIN3c107complexIfEEEESt5arrayIPcLm1EEEEviT0_T1_: ; @_ZN2at6native29vectorized_elementwise_kernelILi16ENS0_11FillFunctorIN3c107complexIfEEEESt5arrayIPcLm1EEEEviT0_T1_
; %bb.0:
	s_clause 0x1
	s_load_b32 s5, s[0:1], 0x0
	s_load_b128 s[0:3], s[0:1], 0x8
	s_lshl_b32 s4, s15, 10
	s_waitcnt lgkmcnt(0)
	s_sub_i32 s6, s5, s4
	s_mov_b32 s5, -1
	s_cmpk_gt_i32 s6, 0x3ff
	s_cbranch_scc0 .LBB64_2
; %bb.1:
	s_mov_b32 s8, s0
	s_ashr_i32 s5, s4, 31
	s_mov_b32 s9, s1
	s_mov_b32 s10, s0
	;; [unrolled: 1-line block ×3, first 2 shown]
	s_delay_alu instid0(SALU_CYCLE_1)
	v_dual_mov_b32 v1, s8 :: v_dual_mov_b32 v4, s11
	s_lshl_b64 s[12:13], s[4:5], 3
	v_dual_mov_b32 v2, s9 :: v_dual_lshlrev_b32 v5, 5, v0
	v_mov_b32_e32 v3, s10
	s_add_u32 s8, s2, s12
	s_addc_u32 s9, s3, s13
	s_mov_b32 s5, 0
	s_clause 0x1
	global_store_b128 v5, v[1:4], s[8:9]
	global_store_b128 v5, v[1:4], s[8:9] offset:16
.LBB64_2:
	s_and_not1_b32 vcc_lo, exec_lo, s5
	s_cbranch_vccnz .LBB64_8
; %bb.3:
	v_or_b32_e32 v2, 0x100, v0
	v_mov_b32_e32 v1, v0
	s_mov_b32 s5, exec_lo
	v_cmpx_gt_i32_e64 s6, v0
	s_cbranch_execnz .LBB64_9
; %bb.4:
	s_or_b32 exec_lo, exec_lo, s5
	s_delay_alu instid0(SALU_CYCLE_1)
	s_mov_b32 s5, exec_lo
	v_cmpx_gt_i32_e64 s6, v1
	s_cbranch_execnz .LBB64_10
.LBB64_5:
	s_or_b32 exec_lo, exec_lo, s5
	s_delay_alu instid0(SALU_CYCLE_1)
	s_mov_b32 s5, exec_lo
	v_cmpx_gt_i32_e64 s6, v1
	s_cbranch_execnz .LBB64_11
.LBB64_6:
	s_or_b32 exec_lo, exec_lo, s5
	s_delay_alu instid0(SALU_CYCLE_1)
	s_mov_b32 s5, exec_lo
	v_cmpx_gt_i32_e64 s6, v1
	s_cbranch_execz .LBB64_8
.LBB64_7:
	v_or_b32_e32 v2, 0x300, v0
	v_dual_mov_b32 v1, 0 :: v_dual_add_nc_u32 v0, s4, v1
	s_delay_alu instid0(VALU_DEP_2) | instskip(NEXT) | instid1(VALU_DEP_2)
	v_cmp_gt_i32_e32 vcc_lo, s6, v2
	v_lshlrev_b64 v[0:1], 3, v[0:1]
	v_cndmask_b32_e64 v3, 0, s1, vcc_lo
	v_cndmask_b32_e64 v2, 0, s0, vcc_lo
	s_delay_alu instid0(VALU_DEP_3) | instskip(NEXT) | instid1(VALU_DEP_4)
	v_add_co_u32 v0, vcc_lo, s2, v0
	v_add_co_ci_u32_e32 v1, vcc_lo, s3, v1, vcc_lo
	global_store_b64 v[0:1], v[2:3], off
.LBB64_8:
	s_nop 0
	s_sendmsg sendmsg(MSG_DEALLOC_VGPRS)
	s_endpgm
.LBB64_9:
	v_or_b32_e32 v3, s4, v0
	v_dual_mov_b32 v4, 0 :: v_dual_mov_b32 v5, s0
	v_dual_mov_b32 v6, s1 :: v_dual_mov_b32 v1, v2
	s_delay_alu instid0(VALU_DEP_2) | instskip(NEXT) | instid1(VALU_DEP_1)
	v_lshlrev_b64 v[3:4], 3, v[3:4]
	v_add_co_u32 v3, vcc_lo, s2, v3
	s_delay_alu instid0(VALU_DEP_2) | instskip(SKIP_2) | instid1(SALU_CYCLE_1)
	v_add_co_ci_u32_e32 v4, vcc_lo, s3, v4, vcc_lo
	global_store_b64 v[3:4], v[5:6], off
	s_or_b32 exec_lo, exec_lo, s5
	s_mov_b32 s5, exec_lo
	v_cmpx_gt_i32_e64 s6, v1
	s_cbranch_execz .LBB64_5
.LBB64_10:
	v_dual_mov_b32 v4, 0 :: v_dual_add_nc_u32 v3, s4, v1
	v_cmp_gt_i32_e32 vcc_lo, s6, v2
	v_add_nc_u32_e32 v1, 0x100, v1
	s_delay_alu instid0(VALU_DEP_3) | instskip(SKIP_2) | instid1(VALU_DEP_3)
	v_lshlrev_b64 v[2:3], 3, v[3:4]
	v_cndmask_b32_e64 v5, 0, s1, vcc_lo
	v_cndmask_b32_e64 v4, 0, s0, vcc_lo
	v_add_co_u32 v2, vcc_lo, s2, v2
	s_delay_alu instid0(VALU_DEP_4) | instskip(SKIP_2) | instid1(SALU_CYCLE_1)
	v_add_co_ci_u32_e32 v3, vcc_lo, s3, v3, vcc_lo
	global_store_b64 v[2:3], v[4:5], off
	s_or_b32 exec_lo, exec_lo, s5
	s_mov_b32 s5, exec_lo
	v_cmpx_gt_i32_e64 s6, v1
	s_cbranch_execz .LBB64_6
.LBB64_11:
	v_dual_mov_b32 v3, 0 :: v_dual_add_nc_u32 v2, s4, v1
	v_or_b32_e32 v4, 0x200, v0
	v_add_nc_u32_e32 v1, 0x100, v1
	s_delay_alu instid0(VALU_DEP_3) | instskip(NEXT) | instid1(VALU_DEP_3)
	v_lshlrev_b64 v[2:3], 3, v[2:3]
	v_cmp_gt_i32_e32 vcc_lo, s6, v4
	v_cndmask_b32_e64 v5, 0, s1, vcc_lo
	v_cndmask_b32_e64 v4, 0, s0, vcc_lo
	s_delay_alu instid0(VALU_DEP_4) | instskip(SKIP_3) | instid1(SALU_CYCLE_1)
	v_add_co_u32 v2, vcc_lo, s2, v2
	v_add_co_ci_u32_e32 v3, vcc_lo, s3, v3, vcc_lo
	global_store_b64 v[2:3], v[4:5], off
	s_or_b32 exec_lo, exec_lo, s5
	s_mov_b32 s5, exec_lo
	v_cmpx_gt_i32_e64 s6, v1
	s_cbranch_execnz .LBB64_7
	s_branch .LBB64_8
	.section	.rodata,"a",@progbits
	.p2align	6, 0x0
	.amdhsa_kernel _ZN2at6native29vectorized_elementwise_kernelILi16ENS0_11FillFunctorIN3c107complexIfEEEESt5arrayIPcLm1EEEEviT0_T1_
		.amdhsa_group_segment_fixed_size 0
		.amdhsa_private_segment_fixed_size 0
		.amdhsa_kernarg_size 24
		.amdhsa_user_sgpr_count 15
		.amdhsa_user_sgpr_dispatch_ptr 0
		.amdhsa_user_sgpr_queue_ptr 0
		.amdhsa_user_sgpr_kernarg_segment_ptr 1
		.amdhsa_user_sgpr_dispatch_id 0
		.amdhsa_user_sgpr_private_segment_size 0
		.amdhsa_wavefront_size32 1
		.amdhsa_uses_dynamic_stack 0
		.amdhsa_enable_private_segment 0
		.amdhsa_system_sgpr_workgroup_id_x 1
		.amdhsa_system_sgpr_workgroup_id_y 0
		.amdhsa_system_sgpr_workgroup_id_z 0
		.amdhsa_system_sgpr_workgroup_info 0
		.amdhsa_system_vgpr_workitem_id 0
		.amdhsa_next_free_vgpr 7
		.amdhsa_next_free_sgpr 16
		.amdhsa_reserve_vcc 1
		.amdhsa_float_round_mode_32 0
		.amdhsa_float_round_mode_16_64 0
		.amdhsa_float_denorm_mode_32 3
		.amdhsa_float_denorm_mode_16_64 3
		.amdhsa_dx10_clamp 1
		.amdhsa_ieee_mode 1
		.amdhsa_fp16_overflow 0
		.amdhsa_workgroup_processor_mode 1
		.amdhsa_memory_ordered 1
		.amdhsa_forward_progress 0
		.amdhsa_shared_vgpr_count 0
		.amdhsa_exception_fp_ieee_invalid_op 0
		.amdhsa_exception_fp_denorm_src 0
		.amdhsa_exception_fp_ieee_div_zero 0
		.amdhsa_exception_fp_ieee_overflow 0
		.amdhsa_exception_fp_ieee_underflow 0
		.amdhsa_exception_fp_ieee_inexact 0
		.amdhsa_exception_int_div_zero 0
	.end_amdhsa_kernel
	.section	.text._ZN2at6native29vectorized_elementwise_kernelILi16ENS0_11FillFunctorIN3c107complexIfEEEESt5arrayIPcLm1EEEEviT0_T1_,"axG",@progbits,_ZN2at6native29vectorized_elementwise_kernelILi16ENS0_11FillFunctorIN3c107complexIfEEEESt5arrayIPcLm1EEEEviT0_T1_,comdat
.Lfunc_end64:
	.size	_ZN2at6native29vectorized_elementwise_kernelILi16ENS0_11FillFunctorIN3c107complexIfEEEESt5arrayIPcLm1EEEEviT0_T1_, .Lfunc_end64-_ZN2at6native29vectorized_elementwise_kernelILi16ENS0_11FillFunctorIN3c107complexIfEEEESt5arrayIPcLm1EEEEviT0_T1_
                                        ; -- End function
	.section	.AMDGPU.csdata,"",@progbits
; Kernel info:
; codeLenInByte = 588
; NumSgprs: 18
; NumVgprs: 7
; ScratchSize: 0
; MemoryBound: 0
; FloatMode: 240
; IeeeMode: 1
; LDSByteSize: 0 bytes/workgroup (compile time only)
; SGPRBlocks: 2
; VGPRBlocks: 0
; NumSGPRsForWavesPerEU: 18
; NumVGPRsForWavesPerEU: 7
; Occupancy: 16
; WaveLimiterHint : 0
; COMPUTE_PGM_RSRC2:SCRATCH_EN: 0
; COMPUTE_PGM_RSRC2:USER_SGPR: 15
; COMPUTE_PGM_RSRC2:TRAP_HANDLER: 0
; COMPUTE_PGM_RSRC2:TGID_X_EN: 1
; COMPUTE_PGM_RSRC2:TGID_Y_EN: 0
; COMPUTE_PGM_RSRC2:TGID_Z_EN: 0
; COMPUTE_PGM_RSRC2:TIDIG_COMP_CNT: 0
	.section	.text._ZN2at6native29vectorized_elementwise_kernelILi8ENS0_11FillFunctorIN3c107complexIfEEEESt5arrayIPcLm1EEEEviT0_T1_,"axG",@progbits,_ZN2at6native29vectorized_elementwise_kernelILi8ENS0_11FillFunctorIN3c107complexIfEEEESt5arrayIPcLm1EEEEviT0_T1_,comdat
	.protected	_ZN2at6native29vectorized_elementwise_kernelILi8ENS0_11FillFunctorIN3c107complexIfEEEESt5arrayIPcLm1EEEEviT0_T1_ ; -- Begin function _ZN2at6native29vectorized_elementwise_kernelILi8ENS0_11FillFunctorIN3c107complexIfEEEESt5arrayIPcLm1EEEEviT0_T1_
	.globl	_ZN2at6native29vectorized_elementwise_kernelILi8ENS0_11FillFunctorIN3c107complexIfEEEESt5arrayIPcLm1EEEEviT0_T1_
	.p2align	8
	.type	_ZN2at6native29vectorized_elementwise_kernelILi8ENS0_11FillFunctorIN3c107complexIfEEEESt5arrayIPcLm1EEEEviT0_T1_,@function
_ZN2at6native29vectorized_elementwise_kernelILi8ENS0_11FillFunctorIN3c107complexIfEEEESt5arrayIPcLm1EEEEviT0_T1_: ; @_ZN2at6native29vectorized_elementwise_kernelILi8ENS0_11FillFunctorIN3c107complexIfEEEESt5arrayIPcLm1EEEEviT0_T1_
; %bb.0:
	s_clause 0x1
	s_load_b32 s5, s[0:1], 0x0
	s_load_b128 s[0:3], s[0:1], 0x8
	s_lshl_b32 s4, s15, 10
	s_waitcnt lgkmcnt(0)
	s_sub_i32 s6, s5, s4
	s_mov_b32 s5, -1
	s_cmpk_gt_i32 s6, 0x3ff
	s_cbranch_scc0 .LBB65_2
; %bb.1:
	s_mov_b32 s8, s0
	s_ashr_i32 s5, s4, 31
	s_mov_b32 s9, s1
	s_mov_b32 s10, s0
	;; [unrolled: 1-line block ×3, first 2 shown]
	s_delay_alu instid0(SALU_CYCLE_1)
	v_dual_mov_b32 v1, s8 :: v_dual_mov_b32 v4, s11
	s_lshl_b64 s[12:13], s[4:5], 3
	v_dual_mov_b32 v2, s9 :: v_dual_lshlrev_b32 v5, 5, v0
	v_mov_b32_e32 v3, s10
	s_add_u32 s8, s2, s12
	s_addc_u32 s9, s3, s13
	s_mov_b32 s5, 0
	s_clause 0x1
	global_store_b128 v5, v[1:4], s[8:9]
	global_store_b128 v5, v[1:4], s[8:9] offset:16
.LBB65_2:
	s_and_not1_b32 vcc_lo, exec_lo, s5
	s_cbranch_vccnz .LBB65_8
; %bb.3:
	v_or_b32_e32 v2, 0x100, v0
	v_mov_b32_e32 v1, v0
	s_mov_b32 s5, exec_lo
	v_cmpx_gt_i32_e64 s6, v0
	s_cbranch_execnz .LBB65_9
; %bb.4:
	s_or_b32 exec_lo, exec_lo, s5
	s_delay_alu instid0(SALU_CYCLE_1)
	s_mov_b32 s5, exec_lo
	v_cmpx_gt_i32_e64 s6, v1
	s_cbranch_execnz .LBB65_10
.LBB65_5:
	s_or_b32 exec_lo, exec_lo, s5
	s_delay_alu instid0(SALU_CYCLE_1)
	s_mov_b32 s5, exec_lo
	v_cmpx_gt_i32_e64 s6, v1
	s_cbranch_execnz .LBB65_11
.LBB65_6:
	s_or_b32 exec_lo, exec_lo, s5
	s_delay_alu instid0(SALU_CYCLE_1)
	s_mov_b32 s5, exec_lo
	v_cmpx_gt_i32_e64 s6, v1
	s_cbranch_execz .LBB65_8
.LBB65_7:
	v_or_b32_e32 v2, 0x300, v0
	v_dual_mov_b32 v1, 0 :: v_dual_add_nc_u32 v0, s4, v1
	s_delay_alu instid0(VALU_DEP_2) | instskip(NEXT) | instid1(VALU_DEP_2)
	v_cmp_gt_i32_e32 vcc_lo, s6, v2
	v_lshlrev_b64 v[0:1], 3, v[0:1]
	v_cndmask_b32_e64 v3, 0, s1, vcc_lo
	v_cndmask_b32_e64 v2, 0, s0, vcc_lo
	s_delay_alu instid0(VALU_DEP_3) | instskip(NEXT) | instid1(VALU_DEP_4)
	v_add_co_u32 v0, vcc_lo, s2, v0
	v_add_co_ci_u32_e32 v1, vcc_lo, s3, v1, vcc_lo
	global_store_b64 v[0:1], v[2:3], off
.LBB65_8:
	s_nop 0
	s_sendmsg sendmsg(MSG_DEALLOC_VGPRS)
	s_endpgm
.LBB65_9:
	v_or_b32_e32 v3, s4, v0
	v_dual_mov_b32 v4, 0 :: v_dual_mov_b32 v5, s0
	v_dual_mov_b32 v6, s1 :: v_dual_mov_b32 v1, v2
	s_delay_alu instid0(VALU_DEP_2) | instskip(NEXT) | instid1(VALU_DEP_1)
	v_lshlrev_b64 v[3:4], 3, v[3:4]
	v_add_co_u32 v3, vcc_lo, s2, v3
	s_delay_alu instid0(VALU_DEP_2) | instskip(SKIP_2) | instid1(SALU_CYCLE_1)
	v_add_co_ci_u32_e32 v4, vcc_lo, s3, v4, vcc_lo
	global_store_b64 v[3:4], v[5:6], off
	s_or_b32 exec_lo, exec_lo, s5
	s_mov_b32 s5, exec_lo
	v_cmpx_gt_i32_e64 s6, v1
	s_cbranch_execz .LBB65_5
.LBB65_10:
	v_dual_mov_b32 v4, 0 :: v_dual_add_nc_u32 v3, s4, v1
	v_cmp_gt_i32_e32 vcc_lo, s6, v2
	v_add_nc_u32_e32 v1, 0x100, v1
	s_delay_alu instid0(VALU_DEP_3) | instskip(SKIP_2) | instid1(VALU_DEP_3)
	v_lshlrev_b64 v[2:3], 3, v[3:4]
	v_cndmask_b32_e64 v5, 0, s1, vcc_lo
	v_cndmask_b32_e64 v4, 0, s0, vcc_lo
	v_add_co_u32 v2, vcc_lo, s2, v2
	s_delay_alu instid0(VALU_DEP_4) | instskip(SKIP_2) | instid1(SALU_CYCLE_1)
	v_add_co_ci_u32_e32 v3, vcc_lo, s3, v3, vcc_lo
	global_store_b64 v[2:3], v[4:5], off
	s_or_b32 exec_lo, exec_lo, s5
	s_mov_b32 s5, exec_lo
	v_cmpx_gt_i32_e64 s6, v1
	s_cbranch_execz .LBB65_6
.LBB65_11:
	v_dual_mov_b32 v3, 0 :: v_dual_add_nc_u32 v2, s4, v1
	v_or_b32_e32 v4, 0x200, v0
	v_add_nc_u32_e32 v1, 0x100, v1
	s_delay_alu instid0(VALU_DEP_3) | instskip(NEXT) | instid1(VALU_DEP_3)
	v_lshlrev_b64 v[2:3], 3, v[2:3]
	v_cmp_gt_i32_e32 vcc_lo, s6, v4
	v_cndmask_b32_e64 v5, 0, s1, vcc_lo
	v_cndmask_b32_e64 v4, 0, s0, vcc_lo
	s_delay_alu instid0(VALU_DEP_4) | instskip(SKIP_3) | instid1(SALU_CYCLE_1)
	v_add_co_u32 v2, vcc_lo, s2, v2
	v_add_co_ci_u32_e32 v3, vcc_lo, s3, v3, vcc_lo
	global_store_b64 v[2:3], v[4:5], off
	s_or_b32 exec_lo, exec_lo, s5
	s_mov_b32 s5, exec_lo
	v_cmpx_gt_i32_e64 s6, v1
	s_cbranch_execnz .LBB65_7
	s_branch .LBB65_8
	.section	.rodata,"a",@progbits
	.p2align	6, 0x0
	.amdhsa_kernel _ZN2at6native29vectorized_elementwise_kernelILi8ENS0_11FillFunctorIN3c107complexIfEEEESt5arrayIPcLm1EEEEviT0_T1_
		.amdhsa_group_segment_fixed_size 0
		.amdhsa_private_segment_fixed_size 0
		.amdhsa_kernarg_size 24
		.amdhsa_user_sgpr_count 15
		.amdhsa_user_sgpr_dispatch_ptr 0
		.amdhsa_user_sgpr_queue_ptr 0
		.amdhsa_user_sgpr_kernarg_segment_ptr 1
		.amdhsa_user_sgpr_dispatch_id 0
		.amdhsa_user_sgpr_private_segment_size 0
		.amdhsa_wavefront_size32 1
		.amdhsa_uses_dynamic_stack 0
		.amdhsa_enable_private_segment 0
		.amdhsa_system_sgpr_workgroup_id_x 1
		.amdhsa_system_sgpr_workgroup_id_y 0
		.amdhsa_system_sgpr_workgroup_id_z 0
		.amdhsa_system_sgpr_workgroup_info 0
		.amdhsa_system_vgpr_workitem_id 0
		.amdhsa_next_free_vgpr 7
		.amdhsa_next_free_sgpr 16
		.amdhsa_reserve_vcc 1
		.amdhsa_float_round_mode_32 0
		.amdhsa_float_round_mode_16_64 0
		.amdhsa_float_denorm_mode_32 3
		.amdhsa_float_denorm_mode_16_64 3
		.amdhsa_dx10_clamp 1
		.amdhsa_ieee_mode 1
		.amdhsa_fp16_overflow 0
		.amdhsa_workgroup_processor_mode 1
		.amdhsa_memory_ordered 1
		.amdhsa_forward_progress 0
		.amdhsa_shared_vgpr_count 0
		.amdhsa_exception_fp_ieee_invalid_op 0
		.amdhsa_exception_fp_denorm_src 0
		.amdhsa_exception_fp_ieee_div_zero 0
		.amdhsa_exception_fp_ieee_overflow 0
		.amdhsa_exception_fp_ieee_underflow 0
		.amdhsa_exception_fp_ieee_inexact 0
		.amdhsa_exception_int_div_zero 0
	.end_amdhsa_kernel
	.section	.text._ZN2at6native29vectorized_elementwise_kernelILi8ENS0_11FillFunctorIN3c107complexIfEEEESt5arrayIPcLm1EEEEviT0_T1_,"axG",@progbits,_ZN2at6native29vectorized_elementwise_kernelILi8ENS0_11FillFunctorIN3c107complexIfEEEESt5arrayIPcLm1EEEEviT0_T1_,comdat
.Lfunc_end65:
	.size	_ZN2at6native29vectorized_elementwise_kernelILi8ENS0_11FillFunctorIN3c107complexIfEEEESt5arrayIPcLm1EEEEviT0_T1_, .Lfunc_end65-_ZN2at6native29vectorized_elementwise_kernelILi8ENS0_11FillFunctorIN3c107complexIfEEEESt5arrayIPcLm1EEEEviT0_T1_
                                        ; -- End function
	.section	.AMDGPU.csdata,"",@progbits
; Kernel info:
; codeLenInByte = 588
; NumSgprs: 18
; NumVgprs: 7
; ScratchSize: 0
; MemoryBound: 0
; FloatMode: 240
; IeeeMode: 1
; LDSByteSize: 0 bytes/workgroup (compile time only)
; SGPRBlocks: 2
; VGPRBlocks: 0
; NumSGPRsForWavesPerEU: 18
; NumVGPRsForWavesPerEU: 7
; Occupancy: 16
; WaveLimiterHint : 0
; COMPUTE_PGM_RSRC2:SCRATCH_EN: 0
; COMPUTE_PGM_RSRC2:USER_SGPR: 15
; COMPUTE_PGM_RSRC2:TRAP_HANDLER: 0
; COMPUTE_PGM_RSRC2:TGID_X_EN: 1
; COMPUTE_PGM_RSRC2:TGID_Y_EN: 0
; COMPUTE_PGM_RSRC2:TGID_Z_EN: 0
; COMPUTE_PGM_RSRC2:TIDIG_COMP_CNT: 0
	.section	.text._ZN2at6native29vectorized_elementwise_kernelILi4ENS0_11FillFunctorIN3c107complexIfEEEESt5arrayIPcLm1EEEEviT0_T1_,"axG",@progbits,_ZN2at6native29vectorized_elementwise_kernelILi4ENS0_11FillFunctorIN3c107complexIfEEEESt5arrayIPcLm1EEEEviT0_T1_,comdat
	.protected	_ZN2at6native29vectorized_elementwise_kernelILi4ENS0_11FillFunctorIN3c107complexIfEEEESt5arrayIPcLm1EEEEviT0_T1_ ; -- Begin function _ZN2at6native29vectorized_elementwise_kernelILi4ENS0_11FillFunctorIN3c107complexIfEEEESt5arrayIPcLm1EEEEviT0_T1_
	.globl	_ZN2at6native29vectorized_elementwise_kernelILi4ENS0_11FillFunctorIN3c107complexIfEEEESt5arrayIPcLm1EEEEviT0_T1_
	.p2align	8
	.type	_ZN2at6native29vectorized_elementwise_kernelILi4ENS0_11FillFunctorIN3c107complexIfEEEESt5arrayIPcLm1EEEEviT0_T1_,@function
_ZN2at6native29vectorized_elementwise_kernelILi4ENS0_11FillFunctorIN3c107complexIfEEEESt5arrayIPcLm1EEEEviT0_T1_: ; @_ZN2at6native29vectorized_elementwise_kernelILi4ENS0_11FillFunctorIN3c107complexIfEEEESt5arrayIPcLm1EEEEviT0_T1_
; %bb.0:
	s_clause 0x1
	s_load_b32 s5, s[0:1], 0x0
	s_load_b128 s[0:3], s[0:1], 0x8
	s_lshl_b32 s4, s15, 10
	s_waitcnt lgkmcnt(0)
	s_sub_i32 s6, s5, s4
	s_mov_b32 s5, -1
	s_cmpk_gt_i32 s6, 0x3ff
	s_cbranch_scc0 .LBB66_2
; %bb.1:
	s_mov_b32 s8, s0
	s_ashr_i32 s5, s4, 31
	s_mov_b32 s9, s1
	s_mov_b32 s10, s0
	;; [unrolled: 1-line block ×3, first 2 shown]
	s_delay_alu instid0(SALU_CYCLE_1)
	v_dual_mov_b32 v1, s8 :: v_dual_mov_b32 v4, s11
	s_lshl_b64 s[12:13], s[4:5], 3
	v_dual_mov_b32 v2, s9 :: v_dual_lshlrev_b32 v5, 5, v0
	v_mov_b32_e32 v3, s10
	s_add_u32 s8, s2, s12
	s_addc_u32 s9, s3, s13
	s_mov_b32 s5, 0
	s_clause 0x1
	global_store_b128 v5, v[1:4], s[8:9]
	global_store_b128 v5, v[1:4], s[8:9] offset:16
.LBB66_2:
	s_and_not1_b32 vcc_lo, exec_lo, s5
	s_cbranch_vccnz .LBB66_8
; %bb.3:
	v_or_b32_e32 v2, 0x100, v0
	v_mov_b32_e32 v1, v0
	s_mov_b32 s5, exec_lo
	v_cmpx_gt_i32_e64 s6, v0
	s_cbranch_execnz .LBB66_9
; %bb.4:
	s_or_b32 exec_lo, exec_lo, s5
	s_delay_alu instid0(SALU_CYCLE_1)
	s_mov_b32 s5, exec_lo
	v_cmpx_gt_i32_e64 s6, v1
	s_cbranch_execnz .LBB66_10
.LBB66_5:
	s_or_b32 exec_lo, exec_lo, s5
	s_delay_alu instid0(SALU_CYCLE_1)
	s_mov_b32 s5, exec_lo
	v_cmpx_gt_i32_e64 s6, v1
	s_cbranch_execnz .LBB66_11
.LBB66_6:
	s_or_b32 exec_lo, exec_lo, s5
	s_delay_alu instid0(SALU_CYCLE_1)
	s_mov_b32 s5, exec_lo
	v_cmpx_gt_i32_e64 s6, v1
	s_cbranch_execz .LBB66_8
.LBB66_7:
	v_or_b32_e32 v2, 0x300, v0
	v_dual_mov_b32 v1, 0 :: v_dual_add_nc_u32 v0, s4, v1
	s_delay_alu instid0(VALU_DEP_2) | instskip(NEXT) | instid1(VALU_DEP_2)
	v_cmp_gt_i32_e32 vcc_lo, s6, v2
	v_lshlrev_b64 v[0:1], 3, v[0:1]
	v_cndmask_b32_e64 v3, 0, s1, vcc_lo
	v_cndmask_b32_e64 v2, 0, s0, vcc_lo
	s_delay_alu instid0(VALU_DEP_3) | instskip(NEXT) | instid1(VALU_DEP_4)
	v_add_co_u32 v0, vcc_lo, s2, v0
	v_add_co_ci_u32_e32 v1, vcc_lo, s3, v1, vcc_lo
	global_store_b64 v[0:1], v[2:3], off
.LBB66_8:
	s_nop 0
	s_sendmsg sendmsg(MSG_DEALLOC_VGPRS)
	s_endpgm
.LBB66_9:
	v_or_b32_e32 v3, s4, v0
	v_dual_mov_b32 v4, 0 :: v_dual_mov_b32 v5, s0
	v_dual_mov_b32 v6, s1 :: v_dual_mov_b32 v1, v2
	s_delay_alu instid0(VALU_DEP_2) | instskip(NEXT) | instid1(VALU_DEP_1)
	v_lshlrev_b64 v[3:4], 3, v[3:4]
	v_add_co_u32 v3, vcc_lo, s2, v3
	s_delay_alu instid0(VALU_DEP_2) | instskip(SKIP_2) | instid1(SALU_CYCLE_1)
	v_add_co_ci_u32_e32 v4, vcc_lo, s3, v4, vcc_lo
	global_store_b64 v[3:4], v[5:6], off
	s_or_b32 exec_lo, exec_lo, s5
	s_mov_b32 s5, exec_lo
	v_cmpx_gt_i32_e64 s6, v1
	s_cbranch_execz .LBB66_5
.LBB66_10:
	v_dual_mov_b32 v4, 0 :: v_dual_add_nc_u32 v3, s4, v1
	v_cmp_gt_i32_e32 vcc_lo, s6, v2
	v_add_nc_u32_e32 v1, 0x100, v1
	s_delay_alu instid0(VALU_DEP_3) | instskip(SKIP_2) | instid1(VALU_DEP_3)
	v_lshlrev_b64 v[2:3], 3, v[3:4]
	v_cndmask_b32_e64 v5, 0, s1, vcc_lo
	v_cndmask_b32_e64 v4, 0, s0, vcc_lo
	v_add_co_u32 v2, vcc_lo, s2, v2
	s_delay_alu instid0(VALU_DEP_4) | instskip(SKIP_2) | instid1(SALU_CYCLE_1)
	v_add_co_ci_u32_e32 v3, vcc_lo, s3, v3, vcc_lo
	global_store_b64 v[2:3], v[4:5], off
	s_or_b32 exec_lo, exec_lo, s5
	s_mov_b32 s5, exec_lo
	v_cmpx_gt_i32_e64 s6, v1
	s_cbranch_execz .LBB66_6
.LBB66_11:
	v_dual_mov_b32 v3, 0 :: v_dual_add_nc_u32 v2, s4, v1
	v_or_b32_e32 v4, 0x200, v0
	v_add_nc_u32_e32 v1, 0x100, v1
	s_delay_alu instid0(VALU_DEP_3) | instskip(NEXT) | instid1(VALU_DEP_3)
	v_lshlrev_b64 v[2:3], 3, v[2:3]
	v_cmp_gt_i32_e32 vcc_lo, s6, v4
	v_cndmask_b32_e64 v5, 0, s1, vcc_lo
	v_cndmask_b32_e64 v4, 0, s0, vcc_lo
	s_delay_alu instid0(VALU_DEP_4) | instskip(SKIP_3) | instid1(SALU_CYCLE_1)
	v_add_co_u32 v2, vcc_lo, s2, v2
	v_add_co_ci_u32_e32 v3, vcc_lo, s3, v3, vcc_lo
	global_store_b64 v[2:3], v[4:5], off
	s_or_b32 exec_lo, exec_lo, s5
	s_mov_b32 s5, exec_lo
	v_cmpx_gt_i32_e64 s6, v1
	s_cbranch_execnz .LBB66_7
	s_branch .LBB66_8
	.section	.rodata,"a",@progbits
	.p2align	6, 0x0
	.amdhsa_kernel _ZN2at6native29vectorized_elementwise_kernelILi4ENS0_11FillFunctorIN3c107complexIfEEEESt5arrayIPcLm1EEEEviT0_T1_
		.amdhsa_group_segment_fixed_size 0
		.amdhsa_private_segment_fixed_size 0
		.amdhsa_kernarg_size 24
		.amdhsa_user_sgpr_count 15
		.amdhsa_user_sgpr_dispatch_ptr 0
		.amdhsa_user_sgpr_queue_ptr 0
		.amdhsa_user_sgpr_kernarg_segment_ptr 1
		.amdhsa_user_sgpr_dispatch_id 0
		.amdhsa_user_sgpr_private_segment_size 0
		.amdhsa_wavefront_size32 1
		.amdhsa_uses_dynamic_stack 0
		.amdhsa_enable_private_segment 0
		.amdhsa_system_sgpr_workgroup_id_x 1
		.amdhsa_system_sgpr_workgroup_id_y 0
		.amdhsa_system_sgpr_workgroup_id_z 0
		.amdhsa_system_sgpr_workgroup_info 0
		.amdhsa_system_vgpr_workitem_id 0
		.amdhsa_next_free_vgpr 7
		.amdhsa_next_free_sgpr 16
		.amdhsa_reserve_vcc 1
		.amdhsa_float_round_mode_32 0
		.amdhsa_float_round_mode_16_64 0
		.amdhsa_float_denorm_mode_32 3
		.amdhsa_float_denorm_mode_16_64 3
		.amdhsa_dx10_clamp 1
		.amdhsa_ieee_mode 1
		.amdhsa_fp16_overflow 0
		.amdhsa_workgroup_processor_mode 1
		.amdhsa_memory_ordered 1
		.amdhsa_forward_progress 0
		.amdhsa_shared_vgpr_count 0
		.amdhsa_exception_fp_ieee_invalid_op 0
		.amdhsa_exception_fp_denorm_src 0
		.amdhsa_exception_fp_ieee_div_zero 0
		.amdhsa_exception_fp_ieee_overflow 0
		.amdhsa_exception_fp_ieee_underflow 0
		.amdhsa_exception_fp_ieee_inexact 0
		.amdhsa_exception_int_div_zero 0
	.end_amdhsa_kernel
	.section	.text._ZN2at6native29vectorized_elementwise_kernelILi4ENS0_11FillFunctorIN3c107complexIfEEEESt5arrayIPcLm1EEEEviT0_T1_,"axG",@progbits,_ZN2at6native29vectorized_elementwise_kernelILi4ENS0_11FillFunctorIN3c107complexIfEEEESt5arrayIPcLm1EEEEviT0_T1_,comdat
.Lfunc_end66:
	.size	_ZN2at6native29vectorized_elementwise_kernelILi4ENS0_11FillFunctorIN3c107complexIfEEEESt5arrayIPcLm1EEEEviT0_T1_, .Lfunc_end66-_ZN2at6native29vectorized_elementwise_kernelILi4ENS0_11FillFunctorIN3c107complexIfEEEESt5arrayIPcLm1EEEEviT0_T1_
                                        ; -- End function
	.section	.AMDGPU.csdata,"",@progbits
; Kernel info:
; codeLenInByte = 588
; NumSgprs: 18
; NumVgprs: 7
; ScratchSize: 0
; MemoryBound: 0
; FloatMode: 240
; IeeeMode: 1
; LDSByteSize: 0 bytes/workgroup (compile time only)
; SGPRBlocks: 2
; VGPRBlocks: 0
; NumSGPRsForWavesPerEU: 18
; NumVGPRsForWavesPerEU: 7
; Occupancy: 16
; WaveLimiterHint : 0
; COMPUTE_PGM_RSRC2:SCRATCH_EN: 0
; COMPUTE_PGM_RSRC2:USER_SGPR: 15
; COMPUTE_PGM_RSRC2:TRAP_HANDLER: 0
; COMPUTE_PGM_RSRC2:TGID_X_EN: 1
; COMPUTE_PGM_RSRC2:TGID_Y_EN: 0
; COMPUTE_PGM_RSRC2:TGID_Z_EN: 0
; COMPUTE_PGM_RSRC2:TIDIG_COMP_CNT: 0
	.section	.text._ZN2at6native29vectorized_elementwise_kernelILi2ENS0_11FillFunctorIN3c107complexIfEEEESt5arrayIPcLm1EEEEviT0_T1_,"axG",@progbits,_ZN2at6native29vectorized_elementwise_kernelILi2ENS0_11FillFunctorIN3c107complexIfEEEESt5arrayIPcLm1EEEEviT0_T1_,comdat
	.protected	_ZN2at6native29vectorized_elementwise_kernelILi2ENS0_11FillFunctorIN3c107complexIfEEEESt5arrayIPcLm1EEEEviT0_T1_ ; -- Begin function _ZN2at6native29vectorized_elementwise_kernelILi2ENS0_11FillFunctorIN3c107complexIfEEEESt5arrayIPcLm1EEEEviT0_T1_
	.globl	_ZN2at6native29vectorized_elementwise_kernelILi2ENS0_11FillFunctorIN3c107complexIfEEEESt5arrayIPcLm1EEEEviT0_T1_
	.p2align	8
	.type	_ZN2at6native29vectorized_elementwise_kernelILi2ENS0_11FillFunctorIN3c107complexIfEEEESt5arrayIPcLm1EEEEviT0_T1_,@function
_ZN2at6native29vectorized_elementwise_kernelILi2ENS0_11FillFunctorIN3c107complexIfEEEESt5arrayIPcLm1EEEEviT0_T1_: ; @_ZN2at6native29vectorized_elementwise_kernelILi2ENS0_11FillFunctorIN3c107complexIfEEEESt5arrayIPcLm1EEEEviT0_T1_
; %bb.0:
	s_clause 0x1
	s_load_b32 s5, s[0:1], 0x0
	s_load_b128 s[0:3], s[0:1], 0x8
	s_lshl_b32 s4, s15, 10
	s_waitcnt lgkmcnt(0)
	s_sub_i32 s6, s5, s4
	s_mov_b32 s5, -1
	s_cmpk_gt_i32 s6, 0x3ff
	s_cbranch_scc0 .LBB67_2
; %bb.1:
	s_ashr_i32 s5, s4, 31
	s_mov_b32 s8, s0
	s_lshl_b64 s[10:11], s[4:5], 3
	s_mov_b32 s9, s1
	s_add_u32 s12, s2, s10
	s_addc_u32 s13, s3, s11
	s_mov_b32 s10, s0
	s_mov_b32 s11, s1
	v_lshlrev_b32_e32 v7, 4, v0
	v_dual_mov_b32 v1, s8 :: v_dual_mov_b32 v4, s11
	v_dual_mov_b32 v2, s9 :: v_dual_mov_b32 v3, s10
	s_delay_alu instid0(VALU_DEP_3) | instskip(NEXT) | instid1(VALU_DEP_1)
	v_add_co_u32 v5, s5, s12, v7
	v_add_co_ci_u32_e64 v6, null, s13, 0, s5
	s_mov_b32 s5, 0
	s_delay_alu instid0(VALU_DEP_2) | instskip(NEXT) | instid1(VALU_DEP_2)
	v_add_co_u32 v5, vcc_lo, 0x1000, v5
	v_add_co_ci_u32_e32 v6, vcc_lo, 0, v6, vcc_lo
	s_clause 0x1
	global_store_b128 v7, v[1:4], s[12:13]
	global_store_b128 v[5:6], v[1:4], off
.LBB67_2:
	s_and_not1_b32 vcc_lo, exec_lo, s5
	s_cbranch_vccnz .LBB67_8
; %bb.3:
	v_or_b32_e32 v2, 0x100, v0
	v_mov_b32_e32 v1, v0
	s_mov_b32 s5, exec_lo
	v_cmpx_gt_i32_e64 s6, v0
	s_cbranch_execnz .LBB67_9
; %bb.4:
	s_or_b32 exec_lo, exec_lo, s5
	s_delay_alu instid0(SALU_CYCLE_1)
	s_mov_b32 s5, exec_lo
	v_cmpx_gt_i32_e64 s6, v1
	s_cbranch_execnz .LBB67_10
.LBB67_5:
	s_or_b32 exec_lo, exec_lo, s5
	s_delay_alu instid0(SALU_CYCLE_1)
	s_mov_b32 s5, exec_lo
	v_cmpx_gt_i32_e64 s6, v1
	s_cbranch_execnz .LBB67_11
.LBB67_6:
	s_or_b32 exec_lo, exec_lo, s5
	s_delay_alu instid0(SALU_CYCLE_1)
	s_mov_b32 s5, exec_lo
	v_cmpx_gt_i32_e64 s6, v1
	s_cbranch_execz .LBB67_8
.LBB67_7:
	v_or_b32_e32 v2, 0x300, v0
	v_dual_mov_b32 v1, 0 :: v_dual_add_nc_u32 v0, s4, v1
	s_delay_alu instid0(VALU_DEP_2) | instskip(NEXT) | instid1(VALU_DEP_2)
	v_cmp_gt_i32_e32 vcc_lo, s6, v2
	v_lshlrev_b64 v[0:1], 3, v[0:1]
	v_cndmask_b32_e64 v3, 0, s1, vcc_lo
	v_cndmask_b32_e64 v2, 0, s0, vcc_lo
	s_delay_alu instid0(VALU_DEP_3) | instskip(NEXT) | instid1(VALU_DEP_4)
	v_add_co_u32 v0, vcc_lo, s2, v0
	v_add_co_ci_u32_e32 v1, vcc_lo, s3, v1, vcc_lo
	global_store_b64 v[0:1], v[2:3], off
.LBB67_8:
	s_nop 0
	s_sendmsg sendmsg(MSG_DEALLOC_VGPRS)
	s_endpgm
.LBB67_9:
	v_or_b32_e32 v3, s4, v0
	v_dual_mov_b32 v4, 0 :: v_dual_mov_b32 v5, s0
	v_dual_mov_b32 v6, s1 :: v_dual_mov_b32 v1, v2
	s_delay_alu instid0(VALU_DEP_2) | instskip(NEXT) | instid1(VALU_DEP_1)
	v_lshlrev_b64 v[3:4], 3, v[3:4]
	v_add_co_u32 v3, vcc_lo, s2, v3
	s_delay_alu instid0(VALU_DEP_2) | instskip(SKIP_2) | instid1(SALU_CYCLE_1)
	v_add_co_ci_u32_e32 v4, vcc_lo, s3, v4, vcc_lo
	global_store_b64 v[3:4], v[5:6], off
	s_or_b32 exec_lo, exec_lo, s5
	s_mov_b32 s5, exec_lo
	v_cmpx_gt_i32_e64 s6, v1
	s_cbranch_execz .LBB67_5
.LBB67_10:
	v_dual_mov_b32 v4, 0 :: v_dual_add_nc_u32 v3, s4, v1
	v_cmp_gt_i32_e32 vcc_lo, s6, v2
	v_add_nc_u32_e32 v1, 0x100, v1
	s_delay_alu instid0(VALU_DEP_3) | instskip(SKIP_2) | instid1(VALU_DEP_3)
	v_lshlrev_b64 v[2:3], 3, v[3:4]
	v_cndmask_b32_e64 v5, 0, s1, vcc_lo
	v_cndmask_b32_e64 v4, 0, s0, vcc_lo
	v_add_co_u32 v2, vcc_lo, s2, v2
	s_delay_alu instid0(VALU_DEP_4) | instskip(SKIP_2) | instid1(SALU_CYCLE_1)
	v_add_co_ci_u32_e32 v3, vcc_lo, s3, v3, vcc_lo
	global_store_b64 v[2:3], v[4:5], off
	s_or_b32 exec_lo, exec_lo, s5
	s_mov_b32 s5, exec_lo
	v_cmpx_gt_i32_e64 s6, v1
	s_cbranch_execz .LBB67_6
.LBB67_11:
	v_dual_mov_b32 v3, 0 :: v_dual_add_nc_u32 v2, s4, v1
	v_or_b32_e32 v4, 0x200, v0
	v_add_nc_u32_e32 v1, 0x100, v1
	s_delay_alu instid0(VALU_DEP_3) | instskip(NEXT) | instid1(VALU_DEP_3)
	v_lshlrev_b64 v[2:3], 3, v[2:3]
	v_cmp_gt_i32_e32 vcc_lo, s6, v4
	v_cndmask_b32_e64 v5, 0, s1, vcc_lo
	v_cndmask_b32_e64 v4, 0, s0, vcc_lo
	s_delay_alu instid0(VALU_DEP_4) | instskip(SKIP_3) | instid1(SALU_CYCLE_1)
	v_add_co_u32 v2, vcc_lo, s2, v2
	v_add_co_ci_u32_e32 v3, vcc_lo, s3, v3, vcc_lo
	global_store_b64 v[2:3], v[4:5], off
	s_or_b32 exec_lo, exec_lo, s5
	s_mov_b32 s5, exec_lo
	v_cmpx_gt_i32_e64 s6, v1
	s_cbranch_execnz .LBB67_7
	s_branch .LBB67_8
	.section	.rodata,"a",@progbits
	.p2align	6, 0x0
	.amdhsa_kernel _ZN2at6native29vectorized_elementwise_kernelILi2ENS0_11FillFunctorIN3c107complexIfEEEESt5arrayIPcLm1EEEEviT0_T1_
		.amdhsa_group_segment_fixed_size 0
		.amdhsa_private_segment_fixed_size 0
		.amdhsa_kernarg_size 24
		.amdhsa_user_sgpr_count 15
		.amdhsa_user_sgpr_dispatch_ptr 0
		.amdhsa_user_sgpr_queue_ptr 0
		.amdhsa_user_sgpr_kernarg_segment_ptr 1
		.amdhsa_user_sgpr_dispatch_id 0
		.amdhsa_user_sgpr_private_segment_size 0
		.amdhsa_wavefront_size32 1
		.amdhsa_uses_dynamic_stack 0
		.amdhsa_enable_private_segment 0
		.amdhsa_system_sgpr_workgroup_id_x 1
		.amdhsa_system_sgpr_workgroup_id_y 0
		.amdhsa_system_sgpr_workgroup_id_z 0
		.amdhsa_system_sgpr_workgroup_info 0
		.amdhsa_system_vgpr_workitem_id 0
		.amdhsa_next_free_vgpr 8
		.amdhsa_next_free_sgpr 16
		.amdhsa_reserve_vcc 1
		.amdhsa_float_round_mode_32 0
		.amdhsa_float_round_mode_16_64 0
		.amdhsa_float_denorm_mode_32 3
		.amdhsa_float_denorm_mode_16_64 3
		.amdhsa_dx10_clamp 1
		.amdhsa_ieee_mode 1
		.amdhsa_fp16_overflow 0
		.amdhsa_workgroup_processor_mode 1
		.amdhsa_memory_ordered 1
		.amdhsa_forward_progress 0
		.amdhsa_shared_vgpr_count 0
		.amdhsa_exception_fp_ieee_invalid_op 0
		.amdhsa_exception_fp_denorm_src 0
		.amdhsa_exception_fp_ieee_div_zero 0
		.amdhsa_exception_fp_ieee_overflow 0
		.amdhsa_exception_fp_ieee_underflow 0
		.amdhsa_exception_fp_ieee_inexact 0
		.amdhsa_exception_int_div_zero 0
	.end_amdhsa_kernel
	.section	.text._ZN2at6native29vectorized_elementwise_kernelILi2ENS0_11FillFunctorIN3c107complexIfEEEESt5arrayIPcLm1EEEEviT0_T1_,"axG",@progbits,_ZN2at6native29vectorized_elementwise_kernelILi2ENS0_11FillFunctorIN3c107complexIfEEEESt5arrayIPcLm1EEEEviT0_T1_,comdat
.Lfunc_end67:
	.size	_ZN2at6native29vectorized_elementwise_kernelILi2ENS0_11FillFunctorIN3c107complexIfEEEESt5arrayIPcLm1EEEEviT0_T1_, .Lfunc_end67-_ZN2at6native29vectorized_elementwise_kernelILi2ENS0_11FillFunctorIN3c107complexIfEEEESt5arrayIPcLm1EEEEviT0_T1_
                                        ; -- End function
	.section	.AMDGPU.csdata,"",@progbits
; Kernel info:
; codeLenInByte = 624
; NumSgprs: 18
; NumVgprs: 8
; ScratchSize: 0
; MemoryBound: 0
; FloatMode: 240
; IeeeMode: 1
; LDSByteSize: 0 bytes/workgroup (compile time only)
; SGPRBlocks: 2
; VGPRBlocks: 0
; NumSGPRsForWavesPerEU: 18
; NumVGPRsForWavesPerEU: 8
; Occupancy: 16
; WaveLimiterHint : 1
; COMPUTE_PGM_RSRC2:SCRATCH_EN: 0
; COMPUTE_PGM_RSRC2:USER_SGPR: 15
; COMPUTE_PGM_RSRC2:TRAP_HANDLER: 0
; COMPUTE_PGM_RSRC2:TGID_X_EN: 1
; COMPUTE_PGM_RSRC2:TGID_Y_EN: 0
; COMPUTE_PGM_RSRC2:TGID_Z_EN: 0
; COMPUTE_PGM_RSRC2:TIDIG_COMP_CNT: 0
	.section	.text._ZN2at6native27unrolled_elementwise_kernelINS0_11FillFunctorIN3c107complexIfEEEESt5arrayIPcLm1EELi4E23TrivialOffsetCalculatorILi0EjESA_ILi1EjENS0_6memory15LoadWithoutCastENSD_16StoreWithoutCastEEEviT_T0_T2_T3_T4_T5_,"axG",@progbits,_ZN2at6native27unrolled_elementwise_kernelINS0_11FillFunctorIN3c107complexIfEEEESt5arrayIPcLm1EELi4E23TrivialOffsetCalculatorILi0EjESA_ILi1EjENS0_6memory15LoadWithoutCastENSD_16StoreWithoutCastEEEviT_T0_T2_T3_T4_T5_,comdat
	.protected	_ZN2at6native27unrolled_elementwise_kernelINS0_11FillFunctorIN3c107complexIfEEEESt5arrayIPcLm1EELi4E23TrivialOffsetCalculatorILi0EjESA_ILi1EjENS0_6memory15LoadWithoutCastENSD_16StoreWithoutCastEEEviT_T0_T2_T3_T4_T5_ ; -- Begin function _ZN2at6native27unrolled_elementwise_kernelINS0_11FillFunctorIN3c107complexIfEEEESt5arrayIPcLm1EELi4E23TrivialOffsetCalculatorILi0EjESA_ILi1EjENS0_6memory15LoadWithoutCastENSD_16StoreWithoutCastEEEviT_T0_T2_T3_T4_T5_
	.globl	_ZN2at6native27unrolled_elementwise_kernelINS0_11FillFunctorIN3c107complexIfEEEESt5arrayIPcLm1EELi4E23TrivialOffsetCalculatorILi0EjESA_ILi1EjENS0_6memory15LoadWithoutCastENSD_16StoreWithoutCastEEEviT_T0_T2_T3_T4_T5_
	.p2align	8
	.type	_ZN2at6native27unrolled_elementwise_kernelINS0_11FillFunctorIN3c107complexIfEEEESt5arrayIPcLm1EELi4E23TrivialOffsetCalculatorILi0EjESA_ILi1EjENS0_6memory15LoadWithoutCastENSD_16StoreWithoutCastEEEviT_T0_T2_T3_T4_T5_,@function
_ZN2at6native27unrolled_elementwise_kernelINS0_11FillFunctorIN3c107complexIfEEEESt5arrayIPcLm1EELi4E23TrivialOffsetCalculatorILi0EjESA_ILi1EjENS0_6memory15LoadWithoutCastENSD_16StoreWithoutCastEEEviT_T0_T2_T3_T4_T5_: ; @_ZN2at6native27unrolled_elementwise_kernelINS0_11FillFunctorIN3c107complexIfEEEESt5arrayIPcLm1EELi4E23TrivialOffsetCalculatorILi0EjESA_ILi1EjENS0_6memory15LoadWithoutCastENSD_16StoreWithoutCastEEEviT_T0_T2_T3_T4_T5_
; %bb.0:
	s_clause 0x1
	s_load_b32 s4, s[0:1], 0x0
	s_load_b128 s[0:3], s[0:1], 0x8
	v_or_b32_e32 v2, 0x100, v0
	v_mov_b32_e32 v1, v0
	s_lshl_b32 s5, s15, 10
	s_mov_b32 s6, exec_lo
	s_waitcnt lgkmcnt(0)
	s_sub_i32 s4, s4, s5
	s_delay_alu instid0(SALU_CYCLE_1)
	v_cmpx_gt_i32_e64 s4, v0
	s_cbranch_execnz .LBB68_5
; %bb.1:
	s_or_b32 exec_lo, exec_lo, s6
	s_delay_alu instid0(SALU_CYCLE_1)
	s_mov_b32 s6, exec_lo
	v_cmpx_gt_i32_e64 s4, v1
	s_cbranch_execnz .LBB68_6
.LBB68_2:
	s_or_b32 exec_lo, exec_lo, s6
	s_delay_alu instid0(SALU_CYCLE_1)
	s_mov_b32 s6, exec_lo
	v_cmpx_gt_i32_e64 s4, v1
	s_cbranch_execnz .LBB68_7
.LBB68_3:
	s_or_b32 exec_lo, exec_lo, s6
	s_delay_alu instid0(SALU_CYCLE_1)
	s_mov_b32 s6, exec_lo
	v_cmpx_gt_i32_e64 s4, v1
	s_cbranch_execnz .LBB68_8
.LBB68_4:
	s_nop 0
	s_sendmsg sendmsg(MSG_DEALLOC_VGPRS)
	s_endpgm
.LBB68_5:
	v_or_b32_e32 v3, s5, v0
	v_dual_mov_b32 v4, 0 :: v_dual_mov_b32 v5, s0
	v_dual_mov_b32 v6, s1 :: v_dual_mov_b32 v1, v2
	s_delay_alu instid0(VALU_DEP_2) | instskip(NEXT) | instid1(VALU_DEP_1)
	v_lshlrev_b64 v[3:4], 3, v[3:4]
	v_add_co_u32 v3, vcc_lo, s2, v3
	s_delay_alu instid0(VALU_DEP_2) | instskip(SKIP_2) | instid1(SALU_CYCLE_1)
	v_add_co_ci_u32_e32 v4, vcc_lo, s3, v4, vcc_lo
	global_store_b64 v[3:4], v[5:6], off
	s_or_b32 exec_lo, exec_lo, s6
	s_mov_b32 s6, exec_lo
	v_cmpx_gt_i32_e64 s4, v1
	s_cbranch_execz .LBB68_2
.LBB68_6:
	v_dual_mov_b32 v4, 0 :: v_dual_add_nc_u32 v3, s5, v1
	v_cmp_gt_i32_e32 vcc_lo, s4, v2
	v_add_nc_u32_e32 v1, 0x100, v1
	s_delay_alu instid0(VALU_DEP_3) | instskip(SKIP_2) | instid1(VALU_DEP_3)
	v_lshlrev_b64 v[2:3], 3, v[3:4]
	v_cndmask_b32_e64 v5, 0, s1, vcc_lo
	v_cndmask_b32_e64 v4, 0, s0, vcc_lo
	v_add_co_u32 v2, vcc_lo, s2, v2
	s_delay_alu instid0(VALU_DEP_4) | instskip(SKIP_2) | instid1(SALU_CYCLE_1)
	v_add_co_ci_u32_e32 v3, vcc_lo, s3, v3, vcc_lo
	global_store_b64 v[2:3], v[4:5], off
	s_or_b32 exec_lo, exec_lo, s6
	s_mov_b32 s6, exec_lo
	v_cmpx_gt_i32_e64 s4, v1
	s_cbranch_execz .LBB68_3
.LBB68_7:
	v_dual_mov_b32 v3, 0 :: v_dual_add_nc_u32 v2, s5, v1
	v_or_b32_e32 v4, 0x200, v0
	v_add_nc_u32_e32 v1, 0x100, v1
	s_delay_alu instid0(VALU_DEP_3) | instskip(NEXT) | instid1(VALU_DEP_3)
	v_lshlrev_b64 v[2:3], 3, v[2:3]
	v_cmp_gt_i32_e32 vcc_lo, s4, v4
	v_cndmask_b32_e64 v5, 0, s1, vcc_lo
	v_cndmask_b32_e64 v4, 0, s0, vcc_lo
	s_delay_alu instid0(VALU_DEP_4) | instskip(SKIP_3) | instid1(SALU_CYCLE_1)
	v_add_co_u32 v2, vcc_lo, s2, v2
	v_add_co_ci_u32_e32 v3, vcc_lo, s3, v3, vcc_lo
	global_store_b64 v[2:3], v[4:5], off
	s_or_b32 exec_lo, exec_lo, s6
	s_mov_b32 s6, exec_lo
	v_cmpx_gt_i32_e64 s4, v1
	s_cbranch_execz .LBB68_4
.LBB68_8:
	v_or_b32_e32 v2, 0x300, v0
	v_dual_mov_b32 v1, 0 :: v_dual_add_nc_u32 v0, s5, v1
	s_delay_alu instid0(VALU_DEP_2) | instskip(NEXT) | instid1(VALU_DEP_2)
	v_cmp_gt_i32_e32 vcc_lo, s4, v2
	v_lshlrev_b64 v[0:1], 3, v[0:1]
	v_cndmask_b32_e64 v3, 0, s1, vcc_lo
	v_cndmask_b32_e64 v2, 0, s0, vcc_lo
	s_delay_alu instid0(VALU_DEP_3) | instskip(NEXT) | instid1(VALU_DEP_4)
	v_add_co_u32 v0, vcc_lo, s2, v0
	v_add_co_ci_u32_e32 v1, vcc_lo, s3, v1, vcc_lo
	global_store_b64 v[0:1], v[2:3], off
	s_nop 0
	s_sendmsg sendmsg(MSG_DEALLOC_VGPRS)
	s_endpgm
	.section	.rodata,"a",@progbits
	.p2align	6, 0x0
	.amdhsa_kernel _ZN2at6native27unrolled_elementwise_kernelINS0_11FillFunctorIN3c107complexIfEEEESt5arrayIPcLm1EELi4E23TrivialOffsetCalculatorILi0EjESA_ILi1EjENS0_6memory15LoadWithoutCastENSD_16StoreWithoutCastEEEviT_T0_T2_T3_T4_T5_
		.amdhsa_group_segment_fixed_size 0
		.amdhsa_private_segment_fixed_size 0
		.amdhsa_kernarg_size 28
		.amdhsa_user_sgpr_count 15
		.amdhsa_user_sgpr_dispatch_ptr 0
		.amdhsa_user_sgpr_queue_ptr 0
		.amdhsa_user_sgpr_kernarg_segment_ptr 1
		.amdhsa_user_sgpr_dispatch_id 0
		.amdhsa_user_sgpr_private_segment_size 0
		.amdhsa_wavefront_size32 1
		.amdhsa_uses_dynamic_stack 0
		.amdhsa_enable_private_segment 0
		.amdhsa_system_sgpr_workgroup_id_x 1
		.amdhsa_system_sgpr_workgroup_id_y 0
		.amdhsa_system_sgpr_workgroup_id_z 0
		.amdhsa_system_sgpr_workgroup_info 0
		.amdhsa_system_vgpr_workitem_id 0
		.amdhsa_next_free_vgpr 7
		.amdhsa_next_free_sgpr 16
		.amdhsa_reserve_vcc 1
		.amdhsa_float_round_mode_32 0
		.amdhsa_float_round_mode_16_64 0
		.amdhsa_float_denorm_mode_32 3
		.amdhsa_float_denorm_mode_16_64 3
		.amdhsa_dx10_clamp 1
		.amdhsa_ieee_mode 1
		.amdhsa_fp16_overflow 0
		.amdhsa_workgroup_processor_mode 1
		.amdhsa_memory_ordered 1
		.amdhsa_forward_progress 0
		.amdhsa_shared_vgpr_count 0
		.amdhsa_exception_fp_ieee_invalid_op 0
		.amdhsa_exception_fp_denorm_src 0
		.amdhsa_exception_fp_ieee_div_zero 0
		.amdhsa_exception_fp_ieee_overflow 0
		.amdhsa_exception_fp_ieee_underflow 0
		.amdhsa_exception_fp_ieee_inexact 0
		.amdhsa_exception_int_div_zero 0
	.end_amdhsa_kernel
	.section	.text._ZN2at6native27unrolled_elementwise_kernelINS0_11FillFunctorIN3c107complexIfEEEESt5arrayIPcLm1EELi4E23TrivialOffsetCalculatorILi0EjESA_ILi1EjENS0_6memory15LoadWithoutCastENSD_16StoreWithoutCastEEEviT_T0_T2_T3_T4_T5_,"axG",@progbits,_ZN2at6native27unrolled_elementwise_kernelINS0_11FillFunctorIN3c107complexIfEEEESt5arrayIPcLm1EELi4E23TrivialOffsetCalculatorILi0EjESA_ILi1EjENS0_6memory15LoadWithoutCastENSD_16StoreWithoutCastEEEviT_T0_T2_T3_T4_T5_,comdat
.Lfunc_end68:
	.size	_ZN2at6native27unrolled_elementwise_kernelINS0_11FillFunctorIN3c107complexIfEEEESt5arrayIPcLm1EELi4E23TrivialOffsetCalculatorILi0EjESA_ILi1EjENS0_6memory15LoadWithoutCastENSD_16StoreWithoutCastEEEviT_T0_T2_T3_T4_T5_, .Lfunc_end68-_ZN2at6native27unrolled_elementwise_kernelINS0_11FillFunctorIN3c107complexIfEEEESt5arrayIPcLm1EELi4E23TrivialOffsetCalculatorILi0EjESA_ILi1EjENS0_6memory15LoadWithoutCastENSD_16StoreWithoutCastEEEviT_T0_T2_T3_T4_T5_
                                        ; -- End function
	.section	.AMDGPU.csdata,"",@progbits
; Kernel info:
; codeLenInByte = 500
; NumSgprs: 18
; NumVgprs: 7
; ScratchSize: 0
; MemoryBound: 0
; FloatMode: 240
; IeeeMode: 1
; LDSByteSize: 0 bytes/workgroup (compile time only)
; SGPRBlocks: 2
; VGPRBlocks: 0
; NumSGPRsForWavesPerEU: 18
; NumVGPRsForWavesPerEU: 7
; Occupancy: 16
; WaveLimiterHint : 0
; COMPUTE_PGM_RSRC2:SCRATCH_EN: 0
; COMPUTE_PGM_RSRC2:USER_SGPR: 15
; COMPUTE_PGM_RSRC2:TRAP_HANDLER: 0
; COMPUTE_PGM_RSRC2:TGID_X_EN: 1
; COMPUTE_PGM_RSRC2:TGID_Y_EN: 0
; COMPUTE_PGM_RSRC2:TGID_Z_EN: 0
; COMPUTE_PGM_RSRC2:TIDIG_COMP_CNT: 0
	.section	.text._ZN2at6native32elementwise_kernel_manual_unrollILi128ELi4EZNS0_22gpu_kernel_impl_nocastINS0_11FillFunctorIN3c107complexIfEEEEEEvRNS_18TensorIteratorBaseERKT_EUlibE_EEviT1_,"axG",@progbits,_ZN2at6native32elementwise_kernel_manual_unrollILi128ELi4EZNS0_22gpu_kernel_impl_nocastINS0_11FillFunctorIN3c107complexIfEEEEEEvRNS_18TensorIteratorBaseERKT_EUlibE_EEviT1_,comdat
	.protected	_ZN2at6native32elementwise_kernel_manual_unrollILi128ELi4EZNS0_22gpu_kernel_impl_nocastINS0_11FillFunctorIN3c107complexIfEEEEEEvRNS_18TensorIteratorBaseERKT_EUlibE_EEviT1_ ; -- Begin function _ZN2at6native32elementwise_kernel_manual_unrollILi128ELi4EZNS0_22gpu_kernel_impl_nocastINS0_11FillFunctorIN3c107complexIfEEEEEEvRNS_18TensorIteratorBaseERKT_EUlibE_EEviT1_
	.globl	_ZN2at6native32elementwise_kernel_manual_unrollILi128ELi4EZNS0_22gpu_kernel_impl_nocastINS0_11FillFunctorIN3c107complexIfEEEEEEvRNS_18TensorIteratorBaseERKT_EUlibE_EEviT1_
	.p2align	8
	.type	_ZN2at6native32elementwise_kernel_manual_unrollILi128ELi4EZNS0_22gpu_kernel_impl_nocastINS0_11FillFunctorIN3c107complexIfEEEEEEvRNS_18TensorIteratorBaseERKT_EUlibE_EEviT1_,@function
_ZN2at6native32elementwise_kernel_manual_unrollILi128ELi4EZNS0_22gpu_kernel_impl_nocastINS0_11FillFunctorIN3c107complexIfEEEEEEvRNS_18TensorIteratorBaseERKT_EUlibE_EEviT1_: ; @_ZN2at6native32elementwise_kernel_manual_unrollILi128ELi4EZNS0_22gpu_kernel_impl_nocastINS0_11FillFunctorIN3c107complexIfEEEEEEvRNS_18TensorIteratorBaseERKT_EUlibE_EEviT1_
; %bb.0:
	s_clause 0x1
	s_load_b32 s20, s[0:1], 0x8
	s_load_b32 s25, s[0:1], 0x0
	v_lshl_or_b32 v2, s15, 9, v0
	s_or_b32 s0, s0, 8
	s_mov_b32 s6, 0
                                        ; implicit-def: $sgpr7
                                        ; implicit-def: $vgpr4_vgpr5
	s_mov_b32 s2, exec_lo
	s_delay_alu instid0(VALU_DEP_1) | instskip(SKIP_2) | instid1(SALU_CYCLE_1)
	v_or_b32_e32 v6, 0x180, v2
	s_waitcnt lgkmcnt(0)
	s_add_i32 s21, s20, -1
	s_cmp_gt_u32 s21, 1
	s_cselect_b32 s22, -1, 0
	v_cmpx_le_i32_e64 s25, v6
	s_xor_b32 s23, exec_lo, s2
	s_cbranch_execnz .LBB69_4
; %bb.1:
	s_or_saveexec_b32 s8, s23
	v_mov_b32_e32 v7, s7
	s_xor_b32 exec_lo, exec_lo, s8
	s_cbranch_execnz .LBB69_65
.LBB69_2:
	s_or_b32 exec_lo, exec_lo, s8
	s_and_saveexec_b32 s0, s6
	s_cbranch_execnz .LBB69_118
.LBB69_3:
	s_nop 0
	s_sendmsg sendmsg(MSG_DEALLOC_VGPRS)
	s_endpgm
.LBB69_4:
	s_clause 0x3
	s_load_b128 s[8:11], s[0:1], 0x4
	s_load_b64 s[12:13], s[0:1], 0x14
	s_load_b64 s[2:3], s[0:1], 0xc4
	s_load_b128 s[4:7], s[0:1], 0x108
	s_cmp_lg_u32 s20, 0
	s_mov_b32 s28, exec_lo
	s_cselect_b32 s27, -1, 0
	s_add_u32 s14, s0, 0xc4
	s_addc_u32 s15, s1, 0
	s_min_u32 s26, s21, 15
	s_cmp_gt_u32 s20, 1
	s_cselect_b32 s24, -1, 0
	v_cmpx_gt_i32_e64 s25, v2
	s_cbranch_execnz .LBB69_7
; %bb.5:
	s_or_b32 exec_lo, exec_lo, s28
	s_delay_alu instid0(SALU_CYCLE_1)
	s_mov_b32 s28, exec_lo
	v_cmpx_gt_i32_e64 s25, v2
	s_cbranch_execnz .LBB69_21
.LBB69_6:
	s_or_b32 exec_lo, exec_lo, s28
	s_delay_alu instid0(SALU_CYCLE_1)
	s_mov_b32 s28, exec_lo
	v_cmpx_gt_i32_e64 s25, v2
	s_cbranch_execnz .LBB69_35
	s_branch .LBB69_49
.LBB69_7:
	s_and_not1_b32 vcc_lo, exec_lo, s22
	s_cbranch_vccnz .LBB69_12
; %bb.8:
	v_mov_b32_e32 v0, 0
	s_and_not1_b32 vcc_lo, exec_lo, s27
	s_cbranch_vccnz .LBB69_17
; %bb.9:
	s_add_i32 s30, s26, 1
	s_cmp_eq_u32 s21, 2
	s_mov_b32 s29, 0
	s_cbranch_scc1 .LBB69_13
; %bb.10:
	v_dual_mov_b32 v0, 0 :: v_dual_mov_b32 v1, v2
	s_and_b32 s29, s30, 28
	s_mov_b32 s31, 0
	s_mov_b64 s[16:17], s[0:1]
	s_mov_b64 s[18:19], s[14:15]
.LBB69_11:                              ; =>This Inner Loop Header: Depth=1
	s_clause 0x1
	s_load_b256 s[36:43], s[16:17], 0x4
	s_load_b128 s[44:47], s[16:17], 0x24
	s_load_b128 s[48:51], s[18:19], 0x0
	s_add_u32 s16, s16, 48
	s_addc_u32 s17, s17, 0
	s_add_i32 s31, s31, 4
	s_add_u32 s18, s18, 16
	s_addc_u32 s19, s19, 0
	s_cmp_lg_u32 s29, s31
	s_waitcnt lgkmcnt(0)
	v_mul_hi_u32 v3, s37, v1
	s_delay_alu instid0(VALU_DEP_1) | instskip(NEXT) | instid1(VALU_DEP_1)
	v_add_nc_u32_e32 v3, v1, v3
	v_lshrrev_b32_e32 v3, s38, v3
	s_delay_alu instid0(VALU_DEP_1) | instskip(SKIP_1) | instid1(VALU_DEP_2)
	v_mul_hi_u32 v4, s40, v3
	v_mul_lo_u32 v7, v3, s36
	v_add_nc_u32_e32 v4, v3, v4
	s_delay_alu instid0(VALU_DEP_2) | instskip(NEXT) | instid1(VALU_DEP_2)
	v_sub_nc_u32_e32 v7, v1, v7
	v_lshrrev_b32_e32 v4, s41, v4
	s_delay_alu instid0(VALU_DEP_2) | instskip(NEXT) | instid1(VALU_DEP_2)
	v_mul_lo_u32 v7, v7, s48
	v_mul_hi_u32 v5, s43, v4
	v_mul_lo_u32 v8, v4, s39
	s_delay_alu instid0(VALU_DEP_2) | instskip(NEXT) | instid1(VALU_DEP_2)
	v_add_nc_u32_e32 v5, v4, v5
	v_sub_nc_u32_e32 v3, v3, v8
	s_delay_alu instid0(VALU_DEP_2) | instskip(NEXT) | instid1(VALU_DEP_2)
	v_lshrrev_b32_e32 v5, s44, v5
	v_mul_lo_u32 v3, v3, s49
	s_delay_alu instid0(VALU_DEP_2) | instskip(NEXT) | instid1(VALU_DEP_2)
	v_mul_hi_u32 v6, s46, v5
	v_add3_u32 v0, v7, v0, v3
	s_delay_alu instid0(VALU_DEP_2) | instskip(NEXT) | instid1(VALU_DEP_1)
	v_add_nc_u32_e32 v6, v5, v6
	v_lshrrev_b32_e32 v1, s47, v6
	v_mul_lo_u32 v6, v5, s42
	s_delay_alu instid0(VALU_DEP_2) | instskip(NEXT) | instid1(VALU_DEP_2)
	v_mul_lo_u32 v9, v1, s45
	v_sub_nc_u32_e32 v4, v4, v6
	s_delay_alu instid0(VALU_DEP_2) | instskip(NEXT) | instid1(VALU_DEP_2)
	v_sub_nc_u32_e32 v5, v5, v9
	v_mul_lo_u32 v4, v4, s50
	s_delay_alu instid0(VALU_DEP_2) | instskip(NEXT) | instid1(VALU_DEP_1)
	v_mul_lo_u32 v5, v5, s51
	v_add3_u32 v0, v4, v0, v5
	s_cbranch_scc1 .LBB69_11
	s_branch .LBB69_14
.LBB69_12:
                                        ; implicit-def: $vgpr0
	s_branch .LBB69_18
.LBB69_13:
	v_mov_b32_e32 v1, v2
.LBB69_14:
	s_and_b32 s30, s30, 3
	s_delay_alu instid0(SALU_CYCLE_1)
	s_cmp_eq_u32 s30, 0
	s_cbranch_scc1 .LBB69_17
; %bb.15:
	s_lshl_b32 s16, s29, 2
	s_mul_i32 s18, s29, 12
	s_add_u32 s16, s16, s0
	s_addc_u32 s17, s1, 0
	s_add_u32 s16, s16, 0xc4
	s_addc_u32 s17, s17, 0
	;; [unrolled: 2-line block ×3, first 2 shown]
	.p2align	6
.LBB69_16:                              ; =>This Inner Loop Header: Depth=1
	s_clause 0x1
	s_load_b64 s[34:35], s[18:19], 0x4
	s_load_b32 s29, s[18:19], 0xc
	s_load_b32 s31, s[16:17], 0x0
	s_add_u32 s18, s18, 12
	s_addc_u32 s19, s19, 0
	s_add_u32 s16, s16, 4
	s_addc_u32 s17, s17, 0
	s_add_i32 s30, s30, -1
	s_delay_alu instid0(SALU_CYCLE_1) | instskip(SKIP_2) | instid1(VALU_DEP_1)
	s_cmp_lg_u32 s30, 0
	s_waitcnt lgkmcnt(0)
	v_mul_hi_u32 v3, s35, v1
	v_add_nc_u32_e32 v3, v1, v3
	s_delay_alu instid0(VALU_DEP_1) | instskip(NEXT) | instid1(VALU_DEP_1)
	v_lshrrev_b32_e32 v5, s29, v3
	v_mul_lo_u32 v3, v5, s34
	s_delay_alu instid0(VALU_DEP_1) | instskip(NEXT) | instid1(VALU_DEP_1)
	v_sub_nc_u32_e32 v1, v1, v3
	v_mad_u64_u32 v[3:4], null, v1, s31, v[0:1]
	s_delay_alu instid0(VALU_DEP_1)
	v_dual_mov_b32 v1, v5 :: v_dual_mov_b32 v0, v3
	s_cbranch_scc1 .LBB69_16
.LBB69_17:
	s_cbranch_execnz .LBB69_20
.LBB69_18:
	s_waitcnt lgkmcnt(0)
	v_mul_hi_u32 v0, s9, v2
	s_and_not1_b32 vcc_lo, exec_lo, s24
	s_delay_alu instid0(VALU_DEP_1) | instskip(NEXT) | instid1(VALU_DEP_1)
	v_add_nc_u32_e32 v0, v2, v0
	v_lshrrev_b32_e32 v1, s10, v0
	s_delay_alu instid0(VALU_DEP_1) | instskip(NEXT) | instid1(VALU_DEP_1)
	v_mul_lo_u32 v0, v1, s8
	v_sub_nc_u32_e32 v0, v2, v0
	s_delay_alu instid0(VALU_DEP_1)
	v_mul_lo_u32 v0, v0, s2
	s_cbranch_vccnz .LBB69_20
; %bb.19:
	v_mul_hi_u32 v3, s12, v1
	s_delay_alu instid0(VALU_DEP_1) | instskip(NEXT) | instid1(VALU_DEP_1)
	v_add_nc_u32_e32 v3, v1, v3
	v_lshrrev_b32_e32 v3, s13, v3
	s_delay_alu instid0(VALU_DEP_1) | instskip(NEXT) | instid1(VALU_DEP_1)
	v_mul_lo_u32 v3, v3, s11
	v_sub_nc_u32_e32 v1, v1, v3
	s_delay_alu instid0(VALU_DEP_1) | instskip(NEXT) | instid1(VALU_DEP_1)
	v_mad_u64_u32 v[3:4], null, v1, s3, v[0:1]
	v_mov_b32_e32 v0, v3
.LBB69_20:
	s_waitcnt lgkmcnt(0)
	v_dual_mov_b32 v3, s6 :: v_dual_mov_b32 v4, s7
	v_add_nc_u32_e32 v2, 0x80, v2
	global_store_b64 v0, v[3:4], s[4:5]
	s_or_b32 exec_lo, exec_lo, s28
	s_delay_alu instid0(SALU_CYCLE_1)
	s_mov_b32 s28, exec_lo
	v_cmpx_gt_i32_e64 s25, v2
	s_cbranch_execz .LBB69_6
.LBB69_21:
	s_and_not1_b32 vcc_lo, exec_lo, s22
	s_cbranch_vccnz .LBB69_26
; %bb.22:
	v_mov_b32_e32 v0, 0
	s_and_not1_b32 vcc_lo, exec_lo, s27
	s_cbranch_vccnz .LBB69_31
; %bb.23:
	s_add_i32 s30, s26, 1
	s_cmp_eq_u32 s21, 2
	s_mov_b32 s29, 0
	s_cbranch_scc1 .LBB69_27
; %bb.24:
	v_dual_mov_b32 v0, 0 :: v_dual_mov_b32 v1, v2
	s_and_b32 s29, s30, 28
	s_mov_b32 s31, 0
	s_mov_b64 s[16:17], s[0:1]
	s_mov_b64 s[18:19], s[14:15]
.LBB69_25:                              ; =>This Inner Loop Header: Depth=1
	s_clause 0x1
	s_load_b256 s[36:43], s[16:17], 0x4
	s_load_b128 s[44:47], s[16:17], 0x24
	s_load_b128 s[48:51], s[18:19], 0x0
	s_add_u32 s16, s16, 48
	s_addc_u32 s17, s17, 0
	s_add_i32 s31, s31, 4
	s_add_u32 s18, s18, 16
	s_addc_u32 s19, s19, 0
	s_cmp_eq_u32 s29, s31
	s_waitcnt lgkmcnt(0)
	v_mul_hi_u32 v3, s37, v1
	s_delay_alu instid0(VALU_DEP_1) | instskip(NEXT) | instid1(VALU_DEP_1)
	v_add_nc_u32_e32 v3, v1, v3
	v_lshrrev_b32_e32 v3, s38, v3
	s_delay_alu instid0(VALU_DEP_1) | instskip(SKIP_1) | instid1(VALU_DEP_2)
	v_mul_hi_u32 v4, s40, v3
	v_mul_lo_u32 v7, v3, s36
	v_add_nc_u32_e32 v4, v3, v4
	s_delay_alu instid0(VALU_DEP_2) | instskip(NEXT) | instid1(VALU_DEP_2)
	v_sub_nc_u32_e32 v7, v1, v7
	v_lshrrev_b32_e32 v4, s41, v4
	s_delay_alu instid0(VALU_DEP_2) | instskip(NEXT) | instid1(VALU_DEP_2)
	v_mul_lo_u32 v7, v7, s48
	v_mul_hi_u32 v5, s43, v4
	v_mul_lo_u32 v8, v4, s39
	s_delay_alu instid0(VALU_DEP_2) | instskip(NEXT) | instid1(VALU_DEP_2)
	v_add_nc_u32_e32 v5, v4, v5
	v_sub_nc_u32_e32 v3, v3, v8
	s_delay_alu instid0(VALU_DEP_2) | instskip(NEXT) | instid1(VALU_DEP_2)
	v_lshrrev_b32_e32 v5, s44, v5
	v_mul_lo_u32 v3, v3, s49
	s_delay_alu instid0(VALU_DEP_2) | instskip(NEXT) | instid1(VALU_DEP_2)
	v_mul_hi_u32 v6, s46, v5
	v_add3_u32 v0, v7, v0, v3
	s_delay_alu instid0(VALU_DEP_2) | instskip(NEXT) | instid1(VALU_DEP_1)
	v_add_nc_u32_e32 v6, v5, v6
	v_lshrrev_b32_e32 v1, s47, v6
	v_mul_lo_u32 v6, v5, s42
	s_delay_alu instid0(VALU_DEP_2) | instskip(NEXT) | instid1(VALU_DEP_2)
	v_mul_lo_u32 v9, v1, s45
	v_sub_nc_u32_e32 v4, v4, v6
	s_delay_alu instid0(VALU_DEP_2) | instskip(NEXT) | instid1(VALU_DEP_2)
	v_sub_nc_u32_e32 v5, v5, v9
	v_mul_lo_u32 v4, v4, s50
	s_delay_alu instid0(VALU_DEP_2) | instskip(NEXT) | instid1(VALU_DEP_1)
	v_mul_lo_u32 v5, v5, s51
	v_add3_u32 v0, v4, v0, v5
	s_cbranch_scc0 .LBB69_25
	s_branch .LBB69_28
.LBB69_26:
                                        ; implicit-def: $vgpr0
	s_branch .LBB69_32
.LBB69_27:
	v_mov_b32_e32 v1, v2
.LBB69_28:
	s_and_b32 s30, s30, 3
	s_delay_alu instid0(SALU_CYCLE_1)
	s_cmp_eq_u32 s30, 0
	s_cbranch_scc1 .LBB69_31
; %bb.29:
	s_lshl_b32 s16, s29, 2
	s_mul_i32 s18, s29, 12
	s_add_u32 s16, s16, s0
	s_addc_u32 s17, s1, 0
	s_add_u32 s16, s16, 0xc4
	s_addc_u32 s17, s17, 0
	s_add_u32 s18, s0, s18
	s_addc_u32 s19, s1, 0
	.p2align	6
.LBB69_30:                              ; =>This Inner Loop Header: Depth=1
	s_clause 0x1
	s_load_b64 s[34:35], s[18:19], 0x4
	s_load_b32 s29, s[18:19], 0xc
	s_load_b32 s31, s[16:17], 0x0
	s_add_u32 s18, s18, 12
	s_addc_u32 s19, s19, 0
	s_add_u32 s16, s16, 4
	s_addc_u32 s17, s17, 0
	s_add_i32 s30, s30, -1
	s_delay_alu instid0(SALU_CYCLE_1) | instskip(SKIP_2) | instid1(VALU_DEP_1)
	s_cmp_lg_u32 s30, 0
	s_waitcnt lgkmcnt(0)
	v_mul_hi_u32 v3, s35, v1
	v_add_nc_u32_e32 v3, v1, v3
	s_delay_alu instid0(VALU_DEP_1) | instskip(NEXT) | instid1(VALU_DEP_1)
	v_lshrrev_b32_e32 v5, s29, v3
	v_mul_lo_u32 v3, v5, s34
	s_delay_alu instid0(VALU_DEP_1) | instskip(NEXT) | instid1(VALU_DEP_1)
	v_sub_nc_u32_e32 v1, v1, v3
	v_mad_u64_u32 v[3:4], null, v1, s31, v[0:1]
	s_delay_alu instid0(VALU_DEP_1)
	v_dual_mov_b32 v1, v5 :: v_dual_mov_b32 v0, v3
	s_cbranch_scc1 .LBB69_30
.LBB69_31:
	s_cbranch_execnz .LBB69_34
.LBB69_32:
	s_waitcnt lgkmcnt(0)
	v_mul_hi_u32 v0, s9, v2
	s_and_not1_b32 vcc_lo, exec_lo, s24
	s_delay_alu instid0(VALU_DEP_1) | instskip(NEXT) | instid1(VALU_DEP_1)
	v_add_nc_u32_e32 v0, v2, v0
	v_lshrrev_b32_e32 v1, s10, v0
	s_delay_alu instid0(VALU_DEP_1) | instskip(NEXT) | instid1(VALU_DEP_1)
	v_mul_lo_u32 v0, v1, s8
	v_sub_nc_u32_e32 v0, v2, v0
	s_delay_alu instid0(VALU_DEP_1)
	v_mul_lo_u32 v0, v0, s2
	s_cbranch_vccnz .LBB69_34
; %bb.33:
	v_mul_hi_u32 v3, s12, v1
	s_delay_alu instid0(VALU_DEP_1) | instskip(NEXT) | instid1(VALU_DEP_1)
	v_add_nc_u32_e32 v3, v1, v3
	v_lshrrev_b32_e32 v3, s13, v3
	s_delay_alu instid0(VALU_DEP_1) | instskip(NEXT) | instid1(VALU_DEP_1)
	v_mul_lo_u32 v3, v3, s11
	v_sub_nc_u32_e32 v1, v1, v3
	s_delay_alu instid0(VALU_DEP_1) | instskip(NEXT) | instid1(VALU_DEP_1)
	v_mad_u64_u32 v[3:4], null, v1, s3, v[0:1]
	v_mov_b32_e32 v0, v3
.LBB69_34:
	s_waitcnt lgkmcnt(0)
	v_dual_mov_b32 v3, s6 :: v_dual_mov_b32 v4, s7
	v_add_nc_u32_e32 v2, 0x80, v2
	global_store_b64 v0, v[3:4], s[4:5]
	s_or_b32 exec_lo, exec_lo, s28
	s_delay_alu instid0(SALU_CYCLE_1)
	s_mov_b32 s28, exec_lo
	v_cmpx_gt_i32_e64 s25, v2
	s_cbranch_execz .LBB69_49
.LBB69_35:
	s_and_not1_b32 vcc_lo, exec_lo, s22
	s_cbranch_vccnz .LBB69_40
; %bb.36:
	v_mov_b32_e32 v0, 0
	s_and_not1_b32 vcc_lo, exec_lo, s27
	s_cbranch_vccnz .LBB69_45
; %bb.37:
	s_add_i32 s30, s26, 1
	s_cmp_eq_u32 s21, 2
	s_mov_b32 s29, 0
	s_cbranch_scc1 .LBB69_41
; %bb.38:
	v_dual_mov_b32 v0, 0 :: v_dual_mov_b32 v1, v2
	s_and_b32 s29, s30, 28
	s_mov_b32 s31, 0
	s_mov_b64 s[16:17], s[0:1]
	s_mov_b64 s[18:19], s[14:15]
.LBB69_39:                              ; =>This Inner Loop Header: Depth=1
	s_clause 0x1
	s_load_b256 s[36:43], s[16:17], 0x4
	s_load_b128 s[44:47], s[16:17], 0x24
	s_load_b128 s[48:51], s[18:19], 0x0
	s_add_u32 s16, s16, 48
	s_addc_u32 s17, s17, 0
	s_add_i32 s31, s31, 4
	s_add_u32 s18, s18, 16
	s_addc_u32 s19, s19, 0
	s_cmp_eq_u32 s29, s31
	s_waitcnt lgkmcnt(0)
	v_mul_hi_u32 v3, s37, v1
	s_delay_alu instid0(VALU_DEP_1) | instskip(NEXT) | instid1(VALU_DEP_1)
	v_add_nc_u32_e32 v3, v1, v3
	v_lshrrev_b32_e32 v3, s38, v3
	s_delay_alu instid0(VALU_DEP_1) | instskip(SKIP_1) | instid1(VALU_DEP_2)
	v_mul_hi_u32 v4, s40, v3
	v_mul_lo_u32 v7, v3, s36
	v_add_nc_u32_e32 v4, v3, v4
	s_delay_alu instid0(VALU_DEP_2) | instskip(NEXT) | instid1(VALU_DEP_2)
	v_sub_nc_u32_e32 v7, v1, v7
	v_lshrrev_b32_e32 v4, s41, v4
	s_delay_alu instid0(VALU_DEP_2) | instskip(NEXT) | instid1(VALU_DEP_2)
	v_mul_lo_u32 v7, v7, s48
	v_mul_hi_u32 v5, s43, v4
	v_mul_lo_u32 v8, v4, s39
	s_delay_alu instid0(VALU_DEP_2) | instskip(NEXT) | instid1(VALU_DEP_2)
	v_add_nc_u32_e32 v5, v4, v5
	v_sub_nc_u32_e32 v3, v3, v8
	s_delay_alu instid0(VALU_DEP_2) | instskip(NEXT) | instid1(VALU_DEP_2)
	v_lshrrev_b32_e32 v5, s44, v5
	v_mul_lo_u32 v3, v3, s49
	s_delay_alu instid0(VALU_DEP_2) | instskip(NEXT) | instid1(VALU_DEP_2)
	v_mul_hi_u32 v6, s46, v5
	v_add3_u32 v0, v7, v0, v3
	s_delay_alu instid0(VALU_DEP_2) | instskip(NEXT) | instid1(VALU_DEP_1)
	v_add_nc_u32_e32 v6, v5, v6
	v_lshrrev_b32_e32 v1, s47, v6
	v_mul_lo_u32 v6, v5, s42
	s_delay_alu instid0(VALU_DEP_2) | instskip(NEXT) | instid1(VALU_DEP_2)
	v_mul_lo_u32 v9, v1, s45
	v_sub_nc_u32_e32 v4, v4, v6
	s_delay_alu instid0(VALU_DEP_2) | instskip(NEXT) | instid1(VALU_DEP_2)
	v_sub_nc_u32_e32 v5, v5, v9
	v_mul_lo_u32 v4, v4, s50
	s_delay_alu instid0(VALU_DEP_2) | instskip(NEXT) | instid1(VALU_DEP_1)
	v_mul_lo_u32 v5, v5, s51
	v_add3_u32 v0, v4, v0, v5
	s_cbranch_scc0 .LBB69_39
	s_branch .LBB69_42
.LBB69_40:
                                        ; implicit-def: $vgpr0
	s_branch .LBB69_46
.LBB69_41:
	v_mov_b32_e32 v1, v2
.LBB69_42:
	s_and_b32 s30, s30, 3
	s_delay_alu instid0(SALU_CYCLE_1)
	s_cmp_eq_u32 s30, 0
	s_cbranch_scc1 .LBB69_45
; %bb.43:
	s_lshl_b32 s16, s29, 2
	s_mul_i32 s18, s29, 12
	s_add_u32 s16, s16, s0
	s_addc_u32 s17, s1, 0
	s_add_u32 s16, s16, 0xc4
	s_addc_u32 s17, s17, 0
	;; [unrolled: 2-line block ×3, first 2 shown]
	.p2align	6
.LBB69_44:                              ; =>This Inner Loop Header: Depth=1
	s_clause 0x1
	s_load_b64 s[34:35], s[18:19], 0x4
	s_load_b32 s29, s[18:19], 0xc
	s_load_b32 s31, s[16:17], 0x0
	s_add_u32 s18, s18, 12
	s_addc_u32 s19, s19, 0
	s_add_u32 s16, s16, 4
	s_addc_u32 s17, s17, 0
	s_add_i32 s30, s30, -1
	s_delay_alu instid0(SALU_CYCLE_1) | instskip(SKIP_2) | instid1(VALU_DEP_1)
	s_cmp_lg_u32 s30, 0
	s_waitcnt lgkmcnt(0)
	v_mul_hi_u32 v3, s35, v1
	v_add_nc_u32_e32 v3, v1, v3
	s_delay_alu instid0(VALU_DEP_1) | instskip(NEXT) | instid1(VALU_DEP_1)
	v_lshrrev_b32_e32 v5, s29, v3
	v_mul_lo_u32 v3, v5, s34
	s_delay_alu instid0(VALU_DEP_1) | instskip(NEXT) | instid1(VALU_DEP_1)
	v_sub_nc_u32_e32 v1, v1, v3
	v_mad_u64_u32 v[3:4], null, v1, s31, v[0:1]
	s_delay_alu instid0(VALU_DEP_1)
	v_dual_mov_b32 v1, v5 :: v_dual_mov_b32 v0, v3
	s_cbranch_scc1 .LBB69_44
.LBB69_45:
	s_cbranch_execnz .LBB69_48
.LBB69_46:
	s_waitcnt lgkmcnt(0)
	v_mul_hi_u32 v0, s9, v2
	s_and_not1_b32 vcc_lo, exec_lo, s24
	s_delay_alu instid0(VALU_DEP_1) | instskip(NEXT) | instid1(VALU_DEP_1)
	v_add_nc_u32_e32 v0, v2, v0
	v_lshrrev_b32_e32 v1, s10, v0
	s_delay_alu instid0(VALU_DEP_1) | instskip(NEXT) | instid1(VALU_DEP_1)
	v_mul_lo_u32 v0, v1, s8
	v_sub_nc_u32_e32 v0, v2, v0
	s_delay_alu instid0(VALU_DEP_1)
	v_mul_lo_u32 v0, v0, s2
	s_cbranch_vccnz .LBB69_48
; %bb.47:
	v_mul_hi_u32 v3, s12, v1
	s_delay_alu instid0(VALU_DEP_1) | instskip(NEXT) | instid1(VALU_DEP_1)
	v_add_nc_u32_e32 v3, v1, v3
	v_lshrrev_b32_e32 v3, s13, v3
	s_delay_alu instid0(VALU_DEP_1) | instskip(NEXT) | instid1(VALU_DEP_1)
	v_mul_lo_u32 v3, v3, s11
	v_sub_nc_u32_e32 v1, v1, v3
	s_delay_alu instid0(VALU_DEP_1) | instskip(NEXT) | instid1(VALU_DEP_1)
	v_mad_u64_u32 v[3:4], null, v1, s3, v[0:1]
	v_mov_b32_e32 v0, v3
.LBB69_48:
	s_waitcnt lgkmcnt(0)
	v_dual_mov_b32 v3, s6 :: v_dual_mov_b32 v4, s7
	v_add_nc_u32_e32 v2, 0x80, v2
	global_store_b64 v0, v[3:4], s[4:5]
.LBB69_49:
	s_or_b32 exec_lo, exec_lo, s28
	s_mov_b32 s16, 0
	s_mov_b32 s18, exec_lo
                                        ; implicit-def: $vgpr4_vgpr5
	v_cmpx_gt_i32_e64 s25, v2
	s_cbranch_execz .LBB69_64
; %bb.50:
	s_and_not1_b32 vcc_lo, exec_lo, s22
	s_cbranch_vccnz .LBB69_55
; %bb.51:
	v_mov_b32_e32 v0, 0
	s_and_not1_b32 vcc_lo, exec_lo, s27
	s_cbranch_vccnz .LBB69_60
; %bb.52:
	s_add_i32 s26, s26, 1
	s_cmp_eq_u32 s21, 2
	s_mov_b32 s19, 0
	s_cbranch_scc1 .LBB69_56
; %bb.53:
	v_dual_mov_b32 v0, 0 :: v_dual_mov_b32 v1, v2
	s_and_b32 s19, s26, 28
	s_mov_b32 s25, 0
	s_mov_b64 s[16:17], s[0:1]
.LBB69_54:                              ; =>This Inner Loop Header: Depth=1
	s_clause 0x1
	s_load_b256 s[36:43], s[16:17], 0x4
	s_load_b128 s[28:31], s[16:17], 0x24
	s_load_b128 s[44:47], s[14:15], 0x0
	s_add_u32 s16, s16, 48
	s_addc_u32 s17, s17, 0
	s_add_i32 s25, s25, 4
	s_add_u32 s14, s14, 16
	s_addc_u32 s15, s15, 0
	s_cmp_eq_u32 s19, s25
	s_waitcnt lgkmcnt(0)
	v_mul_hi_u32 v3, s37, v1
	s_delay_alu instid0(VALU_DEP_1) | instskip(NEXT) | instid1(VALU_DEP_1)
	v_add_nc_u32_e32 v3, v1, v3
	v_lshrrev_b32_e32 v3, s38, v3
	s_delay_alu instid0(VALU_DEP_1) | instskip(SKIP_1) | instid1(VALU_DEP_2)
	v_mul_hi_u32 v4, s40, v3
	v_mul_lo_u32 v7, v3, s36
	v_add_nc_u32_e32 v4, v3, v4
	s_delay_alu instid0(VALU_DEP_2) | instskip(NEXT) | instid1(VALU_DEP_2)
	v_sub_nc_u32_e32 v7, v1, v7
	v_lshrrev_b32_e32 v4, s41, v4
	s_delay_alu instid0(VALU_DEP_2) | instskip(NEXT) | instid1(VALU_DEP_2)
	v_mul_lo_u32 v7, v7, s44
	v_mul_hi_u32 v5, s43, v4
	v_mul_lo_u32 v8, v4, s39
	s_delay_alu instid0(VALU_DEP_2) | instskip(NEXT) | instid1(VALU_DEP_2)
	v_add_nc_u32_e32 v5, v4, v5
	v_sub_nc_u32_e32 v3, v3, v8
	s_delay_alu instid0(VALU_DEP_2) | instskip(NEXT) | instid1(VALU_DEP_2)
	v_lshrrev_b32_e32 v5, s28, v5
	v_mul_lo_u32 v3, v3, s45
	s_delay_alu instid0(VALU_DEP_2) | instskip(NEXT) | instid1(VALU_DEP_2)
	v_mul_hi_u32 v6, s30, v5
	v_add3_u32 v0, v7, v0, v3
	s_delay_alu instid0(VALU_DEP_2) | instskip(NEXT) | instid1(VALU_DEP_1)
	v_add_nc_u32_e32 v6, v5, v6
	v_lshrrev_b32_e32 v1, s31, v6
	v_mul_lo_u32 v6, v5, s42
	s_delay_alu instid0(VALU_DEP_2) | instskip(NEXT) | instid1(VALU_DEP_2)
	v_mul_lo_u32 v9, v1, s29
	v_sub_nc_u32_e32 v4, v4, v6
	s_delay_alu instid0(VALU_DEP_2) | instskip(NEXT) | instid1(VALU_DEP_2)
	v_sub_nc_u32_e32 v5, v5, v9
	v_mul_lo_u32 v4, v4, s46
	s_delay_alu instid0(VALU_DEP_2) | instskip(NEXT) | instid1(VALU_DEP_1)
	v_mul_lo_u32 v5, v5, s47
	v_add3_u32 v0, v4, v0, v5
	s_cbranch_scc0 .LBB69_54
	s_branch .LBB69_57
.LBB69_55:
                                        ; implicit-def: $vgpr0
	s_branch .LBB69_61
.LBB69_56:
	v_mov_b32_e32 v1, v2
.LBB69_57:
	s_and_b32 s25, s26, 3
	s_delay_alu instid0(SALU_CYCLE_1)
	s_cmp_eq_u32 s25, 0
	s_cbranch_scc1 .LBB69_60
; %bb.58:
	s_lshl_b32 s14, s19, 2
	s_mul_i32 s16, s19, 12
	s_add_u32 s14, s14, s0
	s_addc_u32 s15, s1, 0
	s_add_u32 s14, s14, 0xc4
	s_addc_u32 s15, s15, 0
	;; [unrolled: 2-line block ×3, first 2 shown]
	.p2align	6
.LBB69_59:                              ; =>This Inner Loop Header: Depth=1
	s_clause 0x1
	s_load_b64 s[26:27], s[16:17], 0x4
	s_load_b32 s19, s[16:17], 0xc
	s_add_u32 s16, s16, 12
	s_addc_u32 s17, s17, 0
	s_waitcnt lgkmcnt(0)
	v_mul_hi_u32 v3, s27, v1
	s_load_b32 s27, s[14:15], 0x0
	s_add_u32 s14, s14, 4
	s_addc_u32 s15, s15, 0
	s_add_i32 s25, s25, -1
	s_delay_alu instid0(SALU_CYCLE_1) | instskip(NEXT) | instid1(VALU_DEP_1)
	s_cmp_lg_u32 s25, 0
	v_add_nc_u32_e32 v3, v1, v3
	s_delay_alu instid0(VALU_DEP_1) | instskip(NEXT) | instid1(VALU_DEP_1)
	v_lshrrev_b32_e32 v5, s19, v3
	v_mul_lo_u32 v3, v5, s26
	s_delay_alu instid0(VALU_DEP_1) | instskip(SKIP_1) | instid1(VALU_DEP_1)
	v_sub_nc_u32_e32 v1, v1, v3
	s_waitcnt lgkmcnt(0)
	v_mad_u64_u32 v[3:4], null, v1, s27, v[0:1]
	s_delay_alu instid0(VALU_DEP_1)
	v_dual_mov_b32 v1, v5 :: v_dual_mov_b32 v0, v3
	s_cbranch_scc1 .LBB69_59
.LBB69_60:
	s_cbranch_execnz .LBB69_63
.LBB69_61:
	s_waitcnt lgkmcnt(0)
	v_mul_hi_u32 v0, s9, v2
	s_and_not1_b32 vcc_lo, exec_lo, s24
	s_delay_alu instid0(VALU_DEP_1) | instskip(NEXT) | instid1(VALU_DEP_1)
	v_add_nc_u32_e32 v0, v2, v0
	v_lshrrev_b32_e32 v1, s10, v0
	s_delay_alu instid0(VALU_DEP_1) | instskip(NEXT) | instid1(VALU_DEP_1)
	v_mul_lo_u32 v0, v1, s8
	v_sub_nc_u32_e32 v0, v2, v0
	s_delay_alu instid0(VALU_DEP_1)
	v_mul_lo_u32 v0, v0, s2
	s_cbranch_vccnz .LBB69_63
; %bb.62:
	v_mul_hi_u32 v2, s12, v1
	s_delay_alu instid0(VALU_DEP_1) | instskip(NEXT) | instid1(VALU_DEP_1)
	v_add_nc_u32_e32 v2, v1, v2
	v_lshrrev_b32_e32 v2, s13, v2
	s_delay_alu instid0(VALU_DEP_1) | instskip(NEXT) | instid1(VALU_DEP_1)
	v_mul_lo_u32 v2, v2, s11
	v_sub_nc_u32_e32 v3, v1, v2
	s_delay_alu instid0(VALU_DEP_1) | instskip(NEXT) | instid1(VALU_DEP_1)
	v_mad_u64_u32 v[1:2], null, v3, s3, v[0:1]
	v_mov_b32_e32 v0, v1
.LBB69_63:
	s_waitcnt lgkmcnt(0)
	s_delay_alu instid0(VALU_DEP_1)
	v_add_co_u32 v4, s2, s4, v0
	v_mov_b32_e32 v1, s6
	v_add_co_ci_u32_e64 v5, null, s5, 0, s2
	s_mov_b32 s16, exec_lo
	global_store_b32 v0, v1, s[4:5]
.LBB69_64:
	s_or_b32 exec_lo, exec_lo, s18
	s_waitcnt lgkmcnt(0)
	s_and_b32 s6, s16, exec_lo
                                        ; implicit-def: $vgpr6
                                        ; implicit-def: $vgpr2
	s_or_saveexec_b32 s8, s23
	v_mov_b32_e32 v7, s7
	s_xor_b32 exec_lo, exec_lo, s8
	s_cbranch_execz .LBB69_2
.LBB69_65:
	v_cndmask_b32_e64 v3, 0, 1, s22
	s_and_not1_b32 vcc_lo, exec_lo, s22
	s_cbranch_vccnz .LBB69_71
; %bb.66:
	v_mov_b32_e32 v0, 0
	s_cmp_eq_u32 s20, 0
	s_mov_b32 s7, 0
	s_cbranch_scc1 .LBB69_75
; %bb.67:
	s_min_u32 s9, s21, 15
	v_mov_b32_e32 v0, 0
	s_add_i32 s9, s9, 1
	s_cmp_eq_u32 s21, 2
	s_mov_b32 s10, 0
	s_cbranch_scc1 .LBB69_72
; %bb.68:
	v_dual_mov_b32 v0, 0 :: v_dual_mov_b32 v1, v2
	s_add_u32 s2, s0, 0xc4
	s_addc_u32 s3, s1, 0
	s_and_b32 s10, s9, 28
	s_mov_b32 s11, 0
	s_mov_b64 s[4:5], s[0:1]
.LBB69_69:                              ; =>This Inner Loop Header: Depth=1
	s_clause 0x1
	s_load_b256 s[12:19], s[4:5], 0x4
	s_load_b128 s[24:27], s[4:5], 0x24
	s_load_b128 s[28:31], s[2:3], 0x0
	s_add_u32 s4, s4, 48
	s_addc_u32 s5, s5, 0
	s_add_i32 s11, s11, 4
	s_add_u32 s2, s2, 16
	s_addc_u32 s3, s3, 0
	s_cmp_lg_u32 s10, s11
	s_waitcnt lgkmcnt(0)
	v_mul_hi_u32 v4, s13, v1
	s_delay_alu instid0(VALU_DEP_1) | instskip(NEXT) | instid1(VALU_DEP_1)
	v_add_nc_u32_e32 v4, v1, v4
	v_lshrrev_b32_e32 v4, s14, v4
	s_delay_alu instid0(VALU_DEP_1) | instskip(SKIP_1) | instid1(VALU_DEP_2)
	v_mul_hi_u32 v5, s16, v4
	v_mul_lo_u32 v9, v4, s12
	v_add_nc_u32_e32 v5, v4, v5
	s_delay_alu instid0(VALU_DEP_2) | instskip(NEXT) | instid1(VALU_DEP_2)
	v_sub_nc_u32_e32 v9, v1, v9
	v_lshrrev_b32_e32 v5, s17, v5
	s_delay_alu instid0(VALU_DEP_2) | instskip(NEXT) | instid1(VALU_DEP_2)
	v_mul_lo_u32 v9, v9, s28
	v_mul_hi_u32 v7, s19, v5
	v_mul_lo_u32 v10, v5, s15
	s_delay_alu instid0(VALU_DEP_2) | instskip(NEXT) | instid1(VALU_DEP_2)
	v_add_nc_u32_e32 v7, v5, v7
	v_sub_nc_u32_e32 v4, v4, v10
	s_delay_alu instid0(VALU_DEP_2) | instskip(NEXT) | instid1(VALU_DEP_2)
	v_lshrrev_b32_e32 v7, s24, v7
	v_mul_lo_u32 v4, v4, s29
	s_delay_alu instid0(VALU_DEP_2) | instskip(NEXT) | instid1(VALU_DEP_2)
	v_mul_hi_u32 v8, s26, v7
	v_add3_u32 v0, v9, v0, v4
	s_delay_alu instid0(VALU_DEP_2) | instskip(NEXT) | instid1(VALU_DEP_1)
	v_add_nc_u32_e32 v8, v7, v8
	v_lshrrev_b32_e32 v1, s27, v8
	v_mul_lo_u32 v8, v7, s18
	s_delay_alu instid0(VALU_DEP_2) | instskip(NEXT) | instid1(VALU_DEP_2)
	v_mul_lo_u32 v11, v1, s25
	v_sub_nc_u32_e32 v5, v5, v8
	s_delay_alu instid0(VALU_DEP_2) | instskip(NEXT) | instid1(VALU_DEP_2)
	v_sub_nc_u32_e32 v7, v7, v11
	v_mul_lo_u32 v5, v5, s30
	s_delay_alu instid0(VALU_DEP_2) | instskip(NEXT) | instid1(VALU_DEP_1)
	v_mul_lo_u32 v7, v7, s31
	v_add3_u32 v0, v5, v0, v7
	s_cbranch_scc1 .LBB69_69
; %bb.70:
	s_and_b32 s9, s9, 3
	s_delay_alu instid0(SALU_CYCLE_1)
	s_cmp_eq_u32 s9, 0
	s_cbranch_scc0 .LBB69_73
	s_branch .LBB69_75
.LBB69_71:
	s_mov_b32 s7, -1
                                        ; implicit-def: $vgpr0
	s_branch .LBB69_75
.LBB69_72:
	v_mov_b32_e32 v1, v2
	s_and_b32 s9, s9, 3
	s_delay_alu instid0(SALU_CYCLE_1)
	s_cmp_eq_u32 s9, 0
	s_cbranch_scc1 .LBB69_75
.LBB69_73:
	s_lshl_b32 s2, s10, 2
	s_mul_i32 s4, s10, 12
	s_add_u32 s2, s2, s0
	s_addc_u32 s3, 0, s1
	s_add_u32 s2, s2, 0xc4
	s_addc_u32 s3, s3, 0
	;; [unrolled: 2-line block ×3, first 2 shown]
	.p2align	6
.LBB69_74:                              ; =>This Inner Loop Header: Depth=1
	s_clause 0x1
	s_load_b64 s[10:11], s[4:5], 0x4
	s_load_b32 s12, s[4:5], 0xc
	s_add_u32 s4, s4, 12
	s_addc_u32 s5, s5, 0
	s_waitcnt lgkmcnt(0)
	v_mul_hi_u32 v4, s11, v1
	s_load_b32 s11, s[2:3], 0x0
	s_add_u32 s2, s2, 4
	s_addc_u32 s3, s3, 0
	s_add_i32 s9, s9, -1
	s_delay_alu instid0(SALU_CYCLE_1) | instskip(NEXT) | instid1(VALU_DEP_1)
	s_cmp_lg_u32 s9, 0
	v_add_nc_u32_e32 v4, v1, v4
	s_delay_alu instid0(VALU_DEP_1) | instskip(NEXT) | instid1(VALU_DEP_1)
	v_lshrrev_b32_e32 v7, s12, v4
	v_mul_lo_u32 v4, v7, s10
	s_delay_alu instid0(VALU_DEP_1) | instskip(SKIP_1) | instid1(VALU_DEP_1)
	v_sub_nc_u32_e32 v1, v1, v4
	s_waitcnt lgkmcnt(0)
	v_mad_u64_u32 v[4:5], null, v1, s11, v[0:1]
	s_delay_alu instid0(VALU_DEP_1)
	v_dual_mov_b32 v1, v7 :: v_dual_mov_b32 v0, v4
	s_cbranch_scc1 .LBB69_74
.LBB69_75:
	s_and_not1_b32 vcc_lo, exec_lo, s7
	s_cbranch_vccnz .LBB69_78
; %bb.76:
	s_clause 0x1
	s_load_b128 s[12:15], s[0:1], 0x4
	s_load_b32 s2, s[0:1], 0xc4
	s_cmp_lt_u32 s20, 2
	s_waitcnt lgkmcnt(0)
	v_mul_hi_u32 v0, s13, v2
	s_delay_alu instid0(VALU_DEP_1) | instskip(NEXT) | instid1(VALU_DEP_1)
	v_add_nc_u32_e32 v0, v2, v0
	v_lshrrev_b32_e32 v1, s14, v0
	s_delay_alu instid0(VALU_DEP_1) | instskip(NEXT) | instid1(VALU_DEP_1)
	v_mul_lo_u32 v0, v1, s12
	v_sub_nc_u32_e32 v0, v2, v0
	s_delay_alu instid0(VALU_DEP_1)
	v_mul_lo_u32 v0, v0, s2
	s_cbranch_scc1 .LBB69_78
; %bb.77:
	s_clause 0x1
	s_load_b128 s[12:15], s[0:1], 0x10
	s_load_b32 s2, s[0:1], 0xc8
	s_waitcnt lgkmcnt(0)
	v_mul_hi_u32 v4, s13, v1
	s_delay_alu instid0(VALU_DEP_1) | instskip(NEXT) | instid1(VALU_DEP_1)
	v_add_nc_u32_e32 v4, v1, v4
	v_lshrrev_b32_e32 v4, s14, v4
	s_delay_alu instid0(VALU_DEP_1) | instskip(NEXT) | instid1(VALU_DEP_1)
	v_mul_lo_u32 v4, v4, s12
	v_sub_nc_u32_e32 v1, v1, v4
	s_delay_alu instid0(VALU_DEP_1) | instskip(NEXT) | instid1(VALU_DEP_1)
	v_mad_u64_u32 v[4:5], null, v1, s2, v[0:1]
	v_mov_b32_e32 v0, v4
.LBB69_78:
	v_cmp_ne_u32_e32 vcc_lo, 1, v3
	v_add_nc_u32_e32 v4, 0x80, v2
	s_cbranch_vccnz .LBB69_84
; %bb.79:
	v_mov_b32_e32 v1, 0
	s_cmp_eq_u32 s20, 0
	s_mov_b32 s7, 0
	s_cbranch_scc1 .LBB69_88
; %bb.80:
	s_min_u32 s9, s21, 15
	v_mov_b32_e32 v1, 0
	s_add_i32 s9, s9, 1
	s_cmp_eq_u32 s21, 2
	s_mov_b32 s10, 0
	s_cbranch_scc1 .LBB69_85
; %bb.81:
	v_mov_b32_e32 v1, 0
	v_mov_b32_e32 v5, v4
	s_add_u32 s2, s0, 0xc4
	s_addc_u32 s3, s1, 0
	s_and_b32 s10, s9, 28
	s_mov_b32 s11, 0
	s_mov_b64 s[4:5], s[0:1]
.LBB69_82:                              ; =>This Inner Loop Header: Depth=1
	s_clause 0x1
	s_load_b256 s[12:19], s[4:5], 0x4
	s_load_b128 s[24:27], s[4:5], 0x24
	s_load_b128 s[28:31], s[2:3], 0x0
	s_add_u32 s4, s4, 48
	s_addc_u32 s5, s5, 0
	s_add_i32 s11, s11, 4
	s_add_u32 s2, s2, 16
	s_addc_u32 s3, s3, 0
	s_cmp_lg_u32 s10, s11
	s_waitcnt lgkmcnt(0)
	v_mul_hi_u32 v7, s13, v5
	s_delay_alu instid0(VALU_DEP_1) | instskip(NEXT) | instid1(VALU_DEP_1)
	v_add_nc_u32_e32 v7, v5, v7
	v_lshrrev_b32_e32 v7, s14, v7
	s_delay_alu instid0(VALU_DEP_1) | instskip(SKIP_1) | instid1(VALU_DEP_2)
	v_mul_hi_u32 v8, s16, v7
	v_mul_lo_u32 v11, v7, s12
	v_add_nc_u32_e32 v8, v7, v8
	s_delay_alu instid0(VALU_DEP_2) | instskip(NEXT) | instid1(VALU_DEP_2)
	v_sub_nc_u32_e32 v11, v5, v11
	v_lshrrev_b32_e32 v8, s17, v8
	s_delay_alu instid0(VALU_DEP_2) | instskip(NEXT) | instid1(VALU_DEP_2)
	v_mul_lo_u32 v11, v11, s28
	v_mul_hi_u32 v9, s19, v8
	v_mul_lo_u32 v12, v8, s15
	s_delay_alu instid0(VALU_DEP_2) | instskip(NEXT) | instid1(VALU_DEP_2)
	v_add_nc_u32_e32 v9, v8, v9
	v_sub_nc_u32_e32 v7, v7, v12
	s_delay_alu instid0(VALU_DEP_2) | instskip(NEXT) | instid1(VALU_DEP_2)
	v_lshrrev_b32_e32 v9, s24, v9
	v_mul_lo_u32 v7, v7, s29
	s_delay_alu instid0(VALU_DEP_2) | instskip(NEXT) | instid1(VALU_DEP_2)
	v_mul_hi_u32 v10, s26, v9
	v_add3_u32 v1, v11, v1, v7
	s_delay_alu instid0(VALU_DEP_2) | instskip(NEXT) | instid1(VALU_DEP_1)
	v_add_nc_u32_e32 v10, v9, v10
	v_lshrrev_b32_e32 v5, s27, v10
	v_mul_lo_u32 v10, v9, s18
	s_delay_alu instid0(VALU_DEP_2) | instskip(NEXT) | instid1(VALU_DEP_2)
	v_mul_lo_u32 v13, v5, s25
	v_sub_nc_u32_e32 v8, v8, v10
	s_delay_alu instid0(VALU_DEP_2) | instskip(NEXT) | instid1(VALU_DEP_2)
	v_sub_nc_u32_e32 v9, v9, v13
	v_mul_lo_u32 v8, v8, s30
	s_delay_alu instid0(VALU_DEP_2) | instskip(NEXT) | instid1(VALU_DEP_1)
	v_mul_lo_u32 v9, v9, s31
	v_add3_u32 v1, v8, v1, v9
	s_cbranch_scc1 .LBB69_82
; %bb.83:
	s_and_b32 s9, s9, 3
	s_delay_alu instid0(SALU_CYCLE_1)
	s_cmp_eq_u32 s9, 0
	s_cbranch_scc0 .LBB69_86
	s_branch .LBB69_88
.LBB69_84:
	s_mov_b32 s7, -1
                                        ; implicit-def: $vgpr1
	s_branch .LBB69_88
.LBB69_85:
	v_mov_b32_e32 v5, v4
	s_and_b32 s9, s9, 3
	s_delay_alu instid0(SALU_CYCLE_1)
	s_cmp_eq_u32 s9, 0
	s_cbranch_scc1 .LBB69_88
.LBB69_86:
	s_lshl_b32 s2, s10, 2
	s_mul_i32 s4, s10, 12
	s_add_u32 s2, s2, s0
	s_addc_u32 s3, 0, s1
	s_add_u32 s2, s2, 0xc4
	s_addc_u32 s3, s3, 0
	s_add_u32 s4, s0, s4
	s_addc_u32 s5, 0, s1
	.p2align	6
.LBB69_87:                              ; =>This Inner Loop Header: Depth=1
	s_clause 0x1
	s_load_b64 s[10:11], s[4:5], 0x4
	s_load_b32 s12, s[4:5], 0xc
	s_add_u32 s4, s4, 12
	s_addc_u32 s5, s5, 0
	s_waitcnt lgkmcnt(0)
	v_mul_hi_u32 v7, s11, v5
	s_load_b32 s11, s[2:3], 0x0
	s_add_u32 s2, s2, 4
	s_addc_u32 s3, s3, 0
	s_add_i32 s9, s9, -1
	s_delay_alu instid0(SALU_CYCLE_1) | instskip(NEXT) | instid1(VALU_DEP_1)
	s_cmp_lg_u32 s9, 0
	v_add_nc_u32_e32 v7, v5, v7
	s_delay_alu instid0(VALU_DEP_1) | instskip(NEXT) | instid1(VALU_DEP_1)
	v_lshrrev_b32_e32 v9, s12, v7
	v_mul_lo_u32 v7, v9, s10
	s_delay_alu instid0(VALU_DEP_1) | instskip(SKIP_1) | instid1(VALU_DEP_1)
	v_sub_nc_u32_e32 v5, v5, v7
	s_waitcnt lgkmcnt(0)
	v_mad_u64_u32 v[7:8], null, v5, s11, v[1:2]
	v_mov_b32_e32 v5, v9
	s_delay_alu instid0(VALU_DEP_2)
	v_mov_b32_e32 v1, v7
	s_cbranch_scc1 .LBB69_87
.LBB69_88:
	s_and_not1_b32 vcc_lo, exec_lo, s7
	s_cbranch_vccnz .LBB69_91
; %bb.89:
	s_clause 0x1
	s_load_b128 s[12:15], s[0:1], 0x4
	s_load_b32 s2, s[0:1], 0xc4
	s_cmp_lt_u32 s20, 2
	s_waitcnt lgkmcnt(0)
	v_mul_hi_u32 v1, s13, v4
	s_delay_alu instid0(VALU_DEP_1) | instskip(NEXT) | instid1(VALU_DEP_1)
	v_add_nc_u32_e32 v1, v4, v1
	v_lshrrev_b32_e32 v5, s14, v1
	s_delay_alu instid0(VALU_DEP_1) | instskip(NEXT) | instid1(VALU_DEP_1)
	v_mul_lo_u32 v1, v5, s12
	v_sub_nc_u32_e32 v1, v4, v1
	s_delay_alu instid0(VALU_DEP_1)
	v_mul_lo_u32 v1, v1, s2
	s_cbranch_scc1 .LBB69_91
; %bb.90:
	s_clause 0x1
	s_load_b128 s[12:15], s[0:1], 0x10
	s_load_b32 s2, s[0:1], 0xc8
	s_waitcnt lgkmcnt(0)
	v_mul_hi_u32 v4, s13, v5
	s_delay_alu instid0(VALU_DEP_1) | instskip(NEXT) | instid1(VALU_DEP_1)
	v_add_nc_u32_e32 v4, v5, v4
	v_lshrrev_b32_e32 v4, s14, v4
	s_delay_alu instid0(VALU_DEP_1) | instskip(NEXT) | instid1(VALU_DEP_1)
	v_mul_lo_u32 v4, v4, s12
	v_sub_nc_u32_e32 v7, v5, v4
	s_delay_alu instid0(VALU_DEP_1) | instskip(NEXT) | instid1(VALU_DEP_1)
	v_mad_u64_u32 v[4:5], null, v7, s2, v[1:2]
	v_mov_b32_e32 v1, v4
.LBB69_91:
	v_cmp_ne_u32_e32 vcc_lo, 1, v3
	v_add_nc_u32_e32 v4, 0x100, v2
	s_cbranch_vccnz .LBB69_97
; %bb.92:
	v_mov_b32_e32 v2, 0
	s_cmp_eq_u32 s20, 0
	s_mov_b32 s7, 0
	s_cbranch_scc1 .LBB69_101
; %bb.93:
	s_min_u32 s9, s21, 15
	v_mov_b32_e32 v2, 0
	s_add_i32 s9, s9, 1
	s_cmp_eq_u32 s21, 2
	s_mov_b32 s10, 0
	s_cbranch_scc1 .LBB69_98
; %bb.94:
	v_dual_mov_b32 v2, 0 :: v_dual_mov_b32 v5, v4
	s_add_u32 s2, s0, 0xc4
	s_addc_u32 s3, s1, 0
	s_and_b32 s10, s9, 28
	s_mov_b32 s11, 0
	s_mov_b64 s[4:5], s[0:1]
.LBB69_95:                              ; =>This Inner Loop Header: Depth=1
	s_clause 0x1
	s_load_b256 s[12:19], s[4:5], 0x4
	s_load_b128 s[24:27], s[4:5], 0x24
	s_load_b128 s[28:31], s[2:3], 0x0
	s_add_u32 s4, s4, 48
	s_addc_u32 s5, s5, 0
	s_add_i32 s11, s11, 4
	s_add_u32 s2, s2, 16
	s_addc_u32 s3, s3, 0
	s_cmp_lg_u32 s10, s11
	s_waitcnt lgkmcnt(0)
	v_mul_hi_u32 v7, s13, v5
	s_delay_alu instid0(VALU_DEP_1) | instskip(NEXT) | instid1(VALU_DEP_1)
	v_add_nc_u32_e32 v7, v5, v7
	v_lshrrev_b32_e32 v7, s14, v7
	s_delay_alu instid0(VALU_DEP_1) | instskip(SKIP_1) | instid1(VALU_DEP_2)
	v_mul_hi_u32 v8, s16, v7
	v_mul_lo_u32 v11, v7, s12
	v_add_nc_u32_e32 v8, v7, v8
	s_delay_alu instid0(VALU_DEP_2) | instskip(NEXT) | instid1(VALU_DEP_2)
	v_sub_nc_u32_e32 v11, v5, v11
	v_lshrrev_b32_e32 v8, s17, v8
	s_delay_alu instid0(VALU_DEP_2) | instskip(NEXT) | instid1(VALU_DEP_2)
	v_mul_lo_u32 v11, v11, s28
	v_mul_hi_u32 v9, s19, v8
	v_mul_lo_u32 v12, v8, s15
	s_delay_alu instid0(VALU_DEP_2) | instskip(NEXT) | instid1(VALU_DEP_2)
	v_add_nc_u32_e32 v9, v8, v9
	v_sub_nc_u32_e32 v7, v7, v12
	s_delay_alu instid0(VALU_DEP_2) | instskip(NEXT) | instid1(VALU_DEP_2)
	v_lshrrev_b32_e32 v9, s24, v9
	v_mul_lo_u32 v7, v7, s29
	s_delay_alu instid0(VALU_DEP_2) | instskip(NEXT) | instid1(VALU_DEP_2)
	v_mul_hi_u32 v10, s26, v9
	v_add3_u32 v2, v11, v2, v7
	s_delay_alu instid0(VALU_DEP_2) | instskip(NEXT) | instid1(VALU_DEP_1)
	v_add_nc_u32_e32 v10, v9, v10
	v_lshrrev_b32_e32 v5, s27, v10
	v_mul_lo_u32 v10, v9, s18
	s_delay_alu instid0(VALU_DEP_2) | instskip(NEXT) | instid1(VALU_DEP_2)
	v_mul_lo_u32 v13, v5, s25
	v_sub_nc_u32_e32 v8, v8, v10
	s_delay_alu instid0(VALU_DEP_2) | instskip(NEXT) | instid1(VALU_DEP_2)
	v_sub_nc_u32_e32 v9, v9, v13
	v_mul_lo_u32 v8, v8, s30
	s_delay_alu instid0(VALU_DEP_2) | instskip(NEXT) | instid1(VALU_DEP_1)
	v_mul_lo_u32 v9, v9, s31
	v_add3_u32 v2, v8, v2, v9
	s_cbranch_scc1 .LBB69_95
; %bb.96:
	s_and_b32 s9, s9, 3
	s_delay_alu instid0(SALU_CYCLE_1)
	s_cmp_eq_u32 s9, 0
	s_cbranch_scc0 .LBB69_99
	s_branch .LBB69_101
.LBB69_97:
	s_mov_b32 s7, -1
                                        ; implicit-def: $vgpr2
	s_branch .LBB69_101
.LBB69_98:
	v_mov_b32_e32 v5, v4
	s_and_b32 s9, s9, 3
	s_delay_alu instid0(SALU_CYCLE_1)
	s_cmp_eq_u32 s9, 0
	s_cbranch_scc1 .LBB69_101
.LBB69_99:
	s_lshl_b32 s2, s10, 2
	s_mul_i32 s4, s10, 12
	s_add_u32 s2, s2, s0
	s_addc_u32 s3, 0, s1
	s_add_u32 s2, s2, 0xc4
	s_addc_u32 s3, s3, 0
	;; [unrolled: 2-line block ×3, first 2 shown]
	.p2align	6
.LBB69_100:                             ; =>This Inner Loop Header: Depth=1
	s_clause 0x1
	s_load_b64 s[10:11], s[4:5], 0x4
	s_load_b32 s12, s[4:5], 0xc
	s_add_u32 s4, s4, 12
	s_addc_u32 s5, s5, 0
	s_waitcnt lgkmcnt(0)
	v_mul_hi_u32 v7, s11, v5
	s_load_b32 s11, s[2:3], 0x0
	s_add_u32 s2, s2, 4
	s_addc_u32 s3, s3, 0
	s_add_i32 s9, s9, -1
	s_delay_alu instid0(SALU_CYCLE_1) | instskip(NEXT) | instid1(VALU_DEP_1)
	s_cmp_lg_u32 s9, 0
	v_add_nc_u32_e32 v7, v5, v7
	s_delay_alu instid0(VALU_DEP_1) | instskip(NEXT) | instid1(VALU_DEP_1)
	v_lshrrev_b32_e32 v9, s12, v7
	v_mul_lo_u32 v7, v9, s10
	s_delay_alu instid0(VALU_DEP_1) | instskip(SKIP_1) | instid1(VALU_DEP_1)
	v_sub_nc_u32_e32 v5, v5, v7
	s_waitcnt lgkmcnt(0)
	v_mad_u64_u32 v[7:8], null, v5, s11, v[2:3]
	s_delay_alu instid0(VALU_DEP_1)
	v_dual_mov_b32 v5, v9 :: v_dual_mov_b32 v2, v7
	s_cbranch_scc1 .LBB69_100
.LBB69_101:
	s_and_not1_b32 vcc_lo, exec_lo, s7
	s_cbranch_vccnz .LBB69_104
; %bb.102:
	s_clause 0x1
	s_load_b128 s[12:15], s[0:1], 0x4
	s_load_b32 s2, s[0:1], 0xc4
	s_cmp_lt_u32 s20, 2
	s_waitcnt lgkmcnt(0)
	v_mul_hi_u32 v2, s13, v4
	s_delay_alu instid0(VALU_DEP_1) | instskip(NEXT) | instid1(VALU_DEP_1)
	v_add_nc_u32_e32 v2, v4, v2
	v_lshrrev_b32_e32 v5, s14, v2
	s_delay_alu instid0(VALU_DEP_1) | instskip(NEXT) | instid1(VALU_DEP_1)
	v_mul_lo_u32 v2, v5, s12
	v_sub_nc_u32_e32 v2, v4, v2
	s_delay_alu instid0(VALU_DEP_1)
	v_mul_lo_u32 v2, v2, s2
	s_cbranch_scc1 .LBB69_104
; %bb.103:
	s_clause 0x1
	s_load_b128 s[12:15], s[0:1], 0x10
	s_load_b32 s2, s[0:1], 0xc8
	s_waitcnt lgkmcnt(0)
	v_mul_hi_u32 v4, s13, v5
	s_delay_alu instid0(VALU_DEP_1) | instskip(NEXT) | instid1(VALU_DEP_1)
	v_add_nc_u32_e32 v4, v5, v4
	v_lshrrev_b32_e32 v4, s14, v4
	s_delay_alu instid0(VALU_DEP_1) | instskip(NEXT) | instid1(VALU_DEP_1)
	v_mul_lo_u32 v4, v4, s12
	v_sub_nc_u32_e32 v7, v5, v4
	s_delay_alu instid0(VALU_DEP_1) | instskip(NEXT) | instid1(VALU_DEP_1)
	v_mad_u64_u32 v[4:5], null, v7, s2, v[2:3]
	v_mov_b32_e32 v2, v4
.LBB69_104:
	v_cmp_ne_u32_e32 vcc_lo, 1, v3
	s_cbranch_vccnz .LBB69_110
; %bb.105:
	v_mov_b32_e32 v3, 0
	s_cmp_eq_u32 s20, 0
	s_mov_b32 s7, 0
	s_cbranch_scc1 .LBB69_114
; %bb.106:
	s_min_u32 s9, s21, 15
	v_mov_b32_e32 v3, 0
	s_add_i32 s9, s9, 1
	s_cmp_eq_u32 s21, 2
	s_mov_b32 s10, 0
	s_cbranch_scc1 .LBB69_111
; %bb.107:
	v_dual_mov_b32 v3, 0 :: v_dual_mov_b32 v4, v6
	s_add_u32 s2, s0, 0xc4
	s_addc_u32 s3, s1, 0
	s_and_b32 s10, s9, 28
	s_mov_b32 s11, 0
	s_mov_b64 s[4:5], s[0:1]
.LBB69_108:                             ; =>This Inner Loop Header: Depth=1
	s_clause 0x1
	s_load_b256 s[12:19], s[4:5], 0x4
	s_load_b128 s[24:27], s[4:5], 0x24
	s_load_b128 s[28:31], s[2:3], 0x0
	s_add_u32 s4, s4, 48
	s_addc_u32 s5, s5, 0
	s_add_i32 s11, s11, 4
	s_add_u32 s2, s2, 16
	s_addc_u32 s3, s3, 0
	s_cmp_lg_u32 s10, s11
	s_waitcnt lgkmcnt(0)
	v_mul_hi_u32 v5, s13, v4
	s_delay_alu instid0(VALU_DEP_1) | instskip(NEXT) | instid1(VALU_DEP_1)
	v_add_nc_u32_e32 v5, v4, v5
	v_lshrrev_b32_e32 v5, s14, v5
	s_delay_alu instid0(VALU_DEP_1) | instskip(SKIP_1) | instid1(VALU_DEP_2)
	v_mul_hi_u32 v7, s16, v5
	v_mul_lo_u32 v10, v5, s12
	v_add_nc_u32_e32 v7, v5, v7
	s_delay_alu instid0(VALU_DEP_2) | instskip(NEXT) | instid1(VALU_DEP_2)
	v_sub_nc_u32_e32 v10, v4, v10
	v_lshrrev_b32_e32 v7, s17, v7
	s_delay_alu instid0(VALU_DEP_2) | instskip(NEXT) | instid1(VALU_DEP_2)
	v_mul_lo_u32 v10, v10, s28
	v_mul_hi_u32 v8, s19, v7
	v_mul_lo_u32 v11, v7, s15
	s_delay_alu instid0(VALU_DEP_2) | instskip(NEXT) | instid1(VALU_DEP_2)
	v_add_nc_u32_e32 v8, v7, v8
	v_sub_nc_u32_e32 v5, v5, v11
	s_delay_alu instid0(VALU_DEP_2) | instskip(NEXT) | instid1(VALU_DEP_2)
	v_lshrrev_b32_e32 v8, s24, v8
	v_mul_lo_u32 v5, v5, s29
	s_delay_alu instid0(VALU_DEP_2) | instskip(NEXT) | instid1(VALU_DEP_2)
	v_mul_hi_u32 v9, s26, v8
	v_add3_u32 v3, v10, v3, v5
	s_delay_alu instid0(VALU_DEP_2) | instskip(NEXT) | instid1(VALU_DEP_1)
	v_add_nc_u32_e32 v9, v8, v9
	v_lshrrev_b32_e32 v4, s27, v9
	v_mul_lo_u32 v9, v8, s18
	s_delay_alu instid0(VALU_DEP_2) | instskip(NEXT) | instid1(VALU_DEP_2)
	v_mul_lo_u32 v12, v4, s25
	v_sub_nc_u32_e32 v7, v7, v9
	s_delay_alu instid0(VALU_DEP_2) | instskip(NEXT) | instid1(VALU_DEP_2)
	v_sub_nc_u32_e32 v8, v8, v12
	v_mul_lo_u32 v7, v7, s30
	s_delay_alu instid0(VALU_DEP_2) | instskip(NEXT) | instid1(VALU_DEP_1)
	v_mul_lo_u32 v8, v8, s31
	v_add3_u32 v3, v7, v3, v8
	s_cbranch_scc1 .LBB69_108
; %bb.109:
	s_and_b32 s9, s9, 3
	s_delay_alu instid0(SALU_CYCLE_1)
	s_cmp_eq_u32 s9, 0
	s_cbranch_scc0 .LBB69_112
	s_branch .LBB69_114
.LBB69_110:
	s_mov_b32 s7, -1
                                        ; implicit-def: $vgpr3
	s_branch .LBB69_114
.LBB69_111:
	v_mov_b32_e32 v4, v6
	s_and_b32 s9, s9, 3
	s_delay_alu instid0(SALU_CYCLE_1)
	s_cmp_eq_u32 s9, 0
	s_cbranch_scc1 .LBB69_114
.LBB69_112:
	s_lshl_b32 s2, s10, 2
	s_mul_i32 s4, s10, 12
	s_add_u32 s2, s2, s0
	s_addc_u32 s3, 0, s1
	s_add_u32 s2, s2, 0xc4
	s_addc_u32 s3, s3, 0
	;; [unrolled: 2-line block ×3, first 2 shown]
	.p2align	6
.LBB69_113:                             ; =>This Inner Loop Header: Depth=1
	s_clause 0x1
	s_load_b64 s[10:11], s[4:5], 0x4
	s_load_b32 s12, s[4:5], 0xc
	s_add_u32 s4, s4, 12
	s_addc_u32 s5, s5, 0
	s_waitcnt lgkmcnt(0)
	v_mul_hi_u32 v5, s11, v4
	s_load_b32 s11, s[2:3], 0x0
	s_add_u32 s2, s2, 4
	s_addc_u32 s3, s3, 0
	s_add_i32 s9, s9, -1
	s_delay_alu instid0(SALU_CYCLE_1) | instskip(NEXT) | instid1(VALU_DEP_1)
	s_cmp_lg_u32 s9, 0
	v_add_nc_u32_e32 v5, v4, v5
	s_delay_alu instid0(VALU_DEP_1) | instskip(NEXT) | instid1(VALU_DEP_1)
	v_lshrrev_b32_e32 v5, s12, v5
	v_mul_lo_u32 v7, v5, s10
	s_delay_alu instid0(VALU_DEP_1) | instskip(SKIP_1) | instid1(VALU_DEP_1)
	v_sub_nc_u32_e32 v4, v4, v7
	s_waitcnt lgkmcnt(0)
	v_mad_u64_u32 v[7:8], null, v4, s11, v[3:4]
	s_delay_alu instid0(VALU_DEP_1)
	v_dual_mov_b32 v4, v5 :: v_dual_mov_b32 v3, v7
	s_cbranch_scc1 .LBB69_113
.LBB69_114:
	s_and_not1_b32 vcc_lo, exec_lo, s7
	s_cbranch_vccnz .LBB69_117
; %bb.115:
	s_clause 0x1
	s_load_b128 s[12:15], s[0:1], 0x4
	s_load_b32 s2, s[0:1], 0xc4
	s_cmp_lt_u32 s20, 2
	s_waitcnt lgkmcnt(0)
	v_mul_hi_u32 v3, s13, v6
	s_delay_alu instid0(VALU_DEP_1) | instskip(NEXT) | instid1(VALU_DEP_1)
	v_add_nc_u32_e32 v3, v6, v3
	v_lshrrev_b32_e32 v4, s14, v3
	s_delay_alu instid0(VALU_DEP_1) | instskip(NEXT) | instid1(VALU_DEP_1)
	v_mul_lo_u32 v3, v4, s12
	v_sub_nc_u32_e32 v3, v6, v3
	s_delay_alu instid0(VALU_DEP_1)
	v_mul_lo_u32 v3, v3, s2
	s_cbranch_scc1 .LBB69_117
; %bb.116:
	s_clause 0x1
	s_load_b128 s[12:15], s[0:1], 0x10
	s_load_b32 s2, s[0:1], 0xc8
	s_waitcnt lgkmcnt(0)
	v_mul_hi_u32 v5, s13, v4
	s_delay_alu instid0(VALU_DEP_1) | instskip(NEXT) | instid1(VALU_DEP_1)
	v_add_nc_u32_e32 v5, v4, v5
	v_lshrrev_b32_e32 v5, s14, v5
	s_delay_alu instid0(VALU_DEP_1) | instskip(NEXT) | instid1(VALU_DEP_1)
	v_mul_lo_u32 v5, v5, s12
	v_sub_nc_u32_e32 v6, v4, v5
	s_delay_alu instid0(VALU_DEP_1) | instskip(NEXT) | instid1(VALU_DEP_1)
	v_mad_u64_u32 v[4:5], null, v6, s2, v[3:4]
	v_mov_b32_e32 v3, v4
.LBB69_117:
	s_load_b128 s[0:3], s[0:1], 0x108
	s_or_b32 s6, s6, exec_lo
	s_waitcnt lgkmcnt(0)
	s_delay_alu instid0(VALU_DEP_1)
	v_add_co_u32 v4, s4, s0, v3
	v_dual_mov_b32 v9, s3 :: v_dual_mov_b32 v8, s2
	v_add_co_ci_u32_e64 v5, null, s1, 0, s4
	v_dual_mov_b32 v6, s2 :: v_dual_mov_b32 v7, s3
	s_clause 0x3
	global_store_b64 v0, v[8:9], s[0:1]
	global_store_b64 v1, v[8:9], s[0:1]
	global_store_b64 v2, v[8:9], s[0:1]
	global_store_b32 v3, v6, s[0:1]
	s_or_b32 exec_lo, exec_lo, s8
	s_and_saveexec_b32 s0, s6
	s_cbranch_execz .LBB69_3
.LBB69_118:
	global_store_b32 v[4:5], v7, off offset:4
	s_nop 0
	s_sendmsg sendmsg(MSG_DEALLOC_VGPRS)
	s_endpgm
	.section	.rodata,"a",@progbits
	.p2align	6, 0x0
	.amdhsa_kernel _ZN2at6native32elementwise_kernel_manual_unrollILi128ELi4EZNS0_22gpu_kernel_impl_nocastINS0_11FillFunctorIN3c107complexIfEEEEEEvRNS_18TensorIteratorBaseERKT_EUlibE_EEviT1_
		.amdhsa_group_segment_fixed_size 0
		.amdhsa_private_segment_fixed_size 0
		.amdhsa_kernarg_size 288
		.amdhsa_user_sgpr_count 15
		.amdhsa_user_sgpr_dispatch_ptr 0
		.amdhsa_user_sgpr_queue_ptr 0
		.amdhsa_user_sgpr_kernarg_segment_ptr 1
		.amdhsa_user_sgpr_dispatch_id 0
		.amdhsa_user_sgpr_private_segment_size 0
		.amdhsa_wavefront_size32 1
		.amdhsa_uses_dynamic_stack 0
		.amdhsa_enable_private_segment 0
		.amdhsa_system_sgpr_workgroup_id_x 1
		.amdhsa_system_sgpr_workgroup_id_y 0
		.amdhsa_system_sgpr_workgroup_id_z 0
		.amdhsa_system_sgpr_workgroup_info 0
		.amdhsa_system_vgpr_workitem_id 0
		.amdhsa_next_free_vgpr 14
		.amdhsa_next_free_sgpr 52
		.amdhsa_reserve_vcc 1
		.amdhsa_float_round_mode_32 0
		.amdhsa_float_round_mode_16_64 0
		.amdhsa_float_denorm_mode_32 3
		.amdhsa_float_denorm_mode_16_64 3
		.amdhsa_dx10_clamp 1
		.amdhsa_ieee_mode 1
		.amdhsa_fp16_overflow 0
		.amdhsa_workgroup_processor_mode 1
		.amdhsa_memory_ordered 1
		.amdhsa_forward_progress 0
		.amdhsa_shared_vgpr_count 0
		.amdhsa_exception_fp_ieee_invalid_op 0
		.amdhsa_exception_fp_denorm_src 0
		.amdhsa_exception_fp_ieee_div_zero 0
		.amdhsa_exception_fp_ieee_overflow 0
		.amdhsa_exception_fp_ieee_underflow 0
		.amdhsa_exception_fp_ieee_inexact 0
		.amdhsa_exception_int_div_zero 0
	.end_amdhsa_kernel
	.section	.text._ZN2at6native32elementwise_kernel_manual_unrollILi128ELi4EZNS0_22gpu_kernel_impl_nocastINS0_11FillFunctorIN3c107complexIfEEEEEEvRNS_18TensorIteratorBaseERKT_EUlibE_EEviT1_,"axG",@progbits,_ZN2at6native32elementwise_kernel_manual_unrollILi128ELi4EZNS0_22gpu_kernel_impl_nocastINS0_11FillFunctorIN3c107complexIfEEEEEEvRNS_18TensorIteratorBaseERKT_EUlibE_EEviT1_,comdat
.Lfunc_end69:
	.size	_ZN2at6native32elementwise_kernel_manual_unrollILi128ELi4EZNS0_22gpu_kernel_impl_nocastINS0_11FillFunctorIN3c107complexIfEEEEEEvRNS_18TensorIteratorBaseERKT_EUlibE_EEviT1_, .Lfunc_end69-_ZN2at6native32elementwise_kernel_manual_unrollILi128ELi4EZNS0_22gpu_kernel_impl_nocastINS0_11FillFunctorIN3c107complexIfEEEEEEvRNS_18TensorIteratorBaseERKT_EUlibE_EEviT1_
                                        ; -- End function
	.section	.AMDGPU.csdata,"",@progbits
; Kernel info:
; codeLenInByte = 5988
; NumSgprs: 54
; NumVgprs: 14
; ScratchSize: 0
; MemoryBound: 0
; FloatMode: 240
; IeeeMode: 1
; LDSByteSize: 0 bytes/workgroup (compile time only)
; SGPRBlocks: 6
; VGPRBlocks: 1
; NumSGPRsForWavesPerEU: 54
; NumVGPRsForWavesPerEU: 14
; Occupancy: 16
; WaveLimiterHint : 1
; COMPUTE_PGM_RSRC2:SCRATCH_EN: 0
; COMPUTE_PGM_RSRC2:USER_SGPR: 15
; COMPUTE_PGM_RSRC2:TRAP_HANDLER: 0
; COMPUTE_PGM_RSRC2:TGID_X_EN: 1
; COMPUTE_PGM_RSRC2:TGID_Y_EN: 0
; COMPUTE_PGM_RSRC2:TGID_Z_EN: 0
; COMPUTE_PGM_RSRC2:TIDIG_COMP_CNT: 0
	.section	.text._ZN2at6native32elementwise_kernel_manual_unrollILi128ELi4EZNS0_15gpu_kernel_implINS0_11FillFunctorIN3c107complexIfEEEEEEvRNS_18TensorIteratorBaseERKT_EUlibE_EEviT1_,"axG",@progbits,_ZN2at6native32elementwise_kernel_manual_unrollILi128ELi4EZNS0_15gpu_kernel_implINS0_11FillFunctorIN3c107complexIfEEEEEEvRNS_18TensorIteratorBaseERKT_EUlibE_EEviT1_,comdat
	.protected	_ZN2at6native32elementwise_kernel_manual_unrollILi128ELi4EZNS0_15gpu_kernel_implINS0_11FillFunctorIN3c107complexIfEEEEEEvRNS_18TensorIteratorBaseERKT_EUlibE_EEviT1_ ; -- Begin function _ZN2at6native32elementwise_kernel_manual_unrollILi128ELi4EZNS0_15gpu_kernel_implINS0_11FillFunctorIN3c107complexIfEEEEEEvRNS_18TensorIteratorBaseERKT_EUlibE_EEviT1_
	.globl	_ZN2at6native32elementwise_kernel_manual_unrollILi128ELi4EZNS0_15gpu_kernel_implINS0_11FillFunctorIN3c107complexIfEEEEEEvRNS_18TensorIteratorBaseERKT_EUlibE_EEviT1_
	.p2align	8
	.type	_ZN2at6native32elementwise_kernel_manual_unrollILi128ELi4EZNS0_15gpu_kernel_implINS0_11FillFunctorIN3c107complexIfEEEEEEvRNS_18TensorIteratorBaseERKT_EUlibE_EEviT1_,@function
_ZN2at6native32elementwise_kernel_manual_unrollILi128ELi4EZNS0_15gpu_kernel_implINS0_11FillFunctorIN3c107complexIfEEEEEEvRNS_18TensorIteratorBaseERKT_EUlibE_EEviT1_: ; @_ZN2at6native32elementwise_kernel_manual_unrollILi128ELi4EZNS0_15gpu_kernel_implINS0_11FillFunctorIN3c107complexIfEEEEEEvRNS_18TensorIteratorBaseERKT_EUlibE_EEviT1_
; %bb.0:
	s_clause 0x4
	s_load_b32 s33, s[0:1], 0x0
	s_load_b64 s[4:5], s[0:1], 0x8
	s_load_b32 s6, s[0:1], 0x10
	s_load_b64 s[2:3], s[0:1], 0x18
	s_load_b32 s9, s[0:1], 0x20
	v_lshl_or_b32 v15, s15, 9, v0
	s_mov_b32 s8, 0
	s_mov_b32 s1, 0
	s_mov_b32 s0, exec_lo
	s_delay_alu instid0(VALU_DEP_1) | instskip(SKIP_1) | instid1(VALU_DEP_1)
	v_or_b32_e32 v0, 0x180, v15
	s_waitcnt lgkmcnt(0)
	v_cmpx_le_i32_e64 s33, v0
	s_xor_b32 s7, exec_lo, s0
	s_cbranch_execz .LBB70_151
; %bb.1:
	s_bfe_u32 s0, s2, 0x80017
	s_lshr_b32 s11, s2, 23
	s_cmpk_eq_i32 s0, 0xff
	v_add_f32_e64 v0, 0x46000000, |s2|
	s_cselect_b32 s31, -1, 0
	s_bitcmp1_b32 s2, 22
	v_trunc_f32_e32 v4, s2
	s_cselect_b32 s1, -1, 0
	s_and_b32 s10, s2, 0x3fffff
	v_readfirstlane_b32 s25, v0
	s_or_b32 s0, s0, s10
	v_add_f32_e64 v0, 0x42800000, |s2|
	s_cmp_lg_u32 s0, 0
	v_cvt_f64_f32_e32 v[2:3], s3
	s_cselect_b32 s0, -1, 0
	s_and_b32 s16, s2, 0x7fffffff
	s_and_b32 s0, s1, s0
	s_cmp_lt_u32 s16, 0x43800000
	v_readfirstlane_b32 s18, v0
	s_cselect_b32 s29, -1, 0
	s_cmp_gt_u32 s16, 0x3bffffff
	v_mul_f32_e32 v0, 0x2f800000, v4
	s_cselect_b32 s26, -1, 0
	s_bfe_u32 s1, s2, 0x10014
	s_and_b32 s10, s25, 0xff
	s_add_i32 s12, s2, s1
	v_floor_f32_e32 v0, v0
	s_add_i32 s1, s12, 0x487ffff
	v_add_f32_e64 v5, 0x46800000, |s2|
	s_lshr_b32 s28, s1, 20
	s_cmp_lg_u32 s10, 0
	v_fmamk_f32 v1, v0, 0xcf800000, v4
	s_cselect_b32 s30, -1, 0
	s_lshr_b32 s1, s2, 24
	v_cvt_u32_f32_e32 v7, v0
	s_and_b32 s1, s1, 0x80
	s_cmp_gt_u32 s16, 0x477fffff
	v_cndmask_b32_e64 v0, 0, 1, s0
	s_cselect_b32 s10, -1, 0
	s_cmp_lt_u32 s16, 0x47800000
	s_movk_i32 s0, 0x7f
	s_cselect_b32 s22, -1, 0
	v_add_nc_u32_e32 v16, s11, v0
	s_cmp_gt_u32 s16, 0x37ffffff
	v_cvt_u32_f32_e32 v6, v1
	s_cselect_b32 s19, -1, 0
	s_bfe_u32 s13, s2, 0x10015
	s_and_b32 s15, s18, 0xff
	s_add_i32 s13, s2, s13
	v_cvt_f64_f32_e32 v[0:1], s2
	s_add_i32 s14, s13, 0x88fffff
	v_mul_f32_e64 v9, 0x2f800000, |v4|
	s_lshr_b32 s20, s14, 21
	s_cmp_lg_u32 s15, 0
	v_cmp_o_f32_e64 s24, s2, s2
	s_cselect_b32 s23, -1, 0
	s_cmp_gt_u32 s16, 0x43efffff
	v_add_f32_e64 v8, 0x43000000, |s2|
	s_cselect_b32 s14, -1, 0
	s_cmp_lt_u32 s16, 0x3c800000
	v_readfirstlane_b32 s27, v5
	s_cselect_b32 s15, -1, 0
	s_add_i32 s12, s12, 0x407ffff
	v_floor_f32_e32 v5, v9
	s_and_b32 s17, s12, 0xff00000
	s_lshr_b32 s12, s12, 20
	s_cmp_lg_u32 s17, 0x7f00000
	v_cvt_f16_f32_e32 v9, s3
	s_cselect_b32 s17, s12, 0x7e
	s_cmp_lt_u32 s16, 0x38800000
	v_cvt_f16_f32_e32 v11, s2
	s_cselect_b32 s12, -1, 0
	s_add_i32 s13, s13, 0x80fffff
	v_ashrrev_i32_e32 v10, 31, v4
	s_lshr_b32 s13, s13, 21
	s_cmp_gt_u32 s16, 0x7f800000
	s_movk_i32 s16, 0x7c
	s_cselect_b32 s21, s0, 0x7e
	s_cselect_b32 s16, 0x7f, s16
	s_bfe_u32 s0, s2, 0x10010
	v_cvt_u32_f32_e32 v14, s2
	s_add_i32 s0, s2, s0
	s_mov_b32 s37, 0
	s_addk_i32 s0, 0x7fff
	s_mov_b32 s35, 0
	s_lshr_b32 s0, s0, 16
	s_and_b32 s11, s24, exec_lo
	s_cselect_b32 s11, s0, 0x7fc0
	s_or_b32 s0, s2, s3
	v_readfirstlane_b32 s24, v8
	v_fma_f32 v8, 0xcf800000, v5, |v4|
	s_bitset0_b32 s0, 31
	v_cvt_u32_f32_e32 v5, v5
	s_cmp_lg_u32 s0, 0
	v_lshlrev_b32_e32 v4, 16, v9
	v_cvt_u32_f32_e32 v8, v8
	s_cselect_b32 s0, -1, 0
	s_bfe_u32 s34, s3, 0x10010
	v_and_b32_e32 v9, 0xffff, v11
	s_add_i32 s34, s3, s34
	v_xor_b32_e32 v8, v8, v10
	s_addk_i32 s34, 0x7fff
	v_cndmask_b32_e64 v13, 0, 1, s0
	s_and_b32 s0, s34, 0xffff0000
	v_cmp_o_f32_e64 s34, s3, s3
	v_xor_b32_e32 v5, v5, v10
	v_or_b32_e32 v12, v4, v9
	v_sub_co_u32 v4, vcc_lo, v8, v10
	s_delay_alu instid0(VALU_DEP_4) | instskip(NEXT) | instid1(VALU_DEP_3)
	s_and_b32 s34, s34, exec_lo
	v_sub_co_ci_u32_e32 v5, vcc_lo, v5, v10, vcc_lo
	v_cvt_i32_f32_e32 v10, s2
	s_cselect_b32 s0, s0, 0x7fc00000
	s_mov_b32 s36, exec_lo
	s_or_b32 s34, s0, s11
	s_mov_b32 s0, -1
	v_cmpx_gt_i32_e64 s33, v15
	s_cbranch_execz .LBB70_100
; %bb.2:
	v_mul_lo_u32 v8, v15, s6
	v_and_b32_e64 v17, 0xff, s9
	s_delay_alu instid0(VALU_DEP_1) | instskip(NEXT) | instid1(VALU_DEP_3)
	v_cmp_gt_i16_e32 vcc_lo, 11, v17
	v_ashrrev_i32_e32 v9, 31, v8
	v_add_co_u32 v8, s0, s4, v8
	s_delay_alu instid0(VALU_DEP_1)
	v_add_co_ci_u32_e64 v9, s0, s5, v9, s0
	s_cbranch_vccnz .LBB70_9
; %bb.3:
	v_cmp_lt_i16_e32 vcc_lo, 25, v17
	s_cbranch_vccz .LBB70_12
; %bb.4:
	v_cmp_lt_i16_e32 vcc_lo, 28, v17
	s_cbranch_vccz .LBB70_13
	;; [unrolled: 3-line block ×4, first 2 shown]
; %bb.7:
	v_cmp_eq_u16_e32 vcc_lo, 46, v17
	s_mov_b32 s38, 0
	s_mov_b32 s0, -1
	s_cbranch_vccz .LBB70_16
; %bb.8:
	v_mov_b32_e32 v18, s34
	s_mov_b32 s35, -1
	s_mov_b32 s0, 0
	global_store_b32 v[8:9], v18, off
	s_branch .LBB70_16
.LBB70_9:
	s_mov_b32 s0, 0
	s_cbranch_execnz .LBB70_60
.LBB70_10:
	s_and_not1_b32 vcc_lo, exec_lo, s35
	s_cbranch_vccnz .LBB70_98
.LBB70_11:
	v_add_nc_u32_e32 v15, 0x80, v15
	s_mov_b32 s38, -1
	s_branch .LBB70_99
.LBB70_12:
	s_mov_b32 s0, 0
	s_cbranch_execnz .LBB70_38
	s_branch .LBB70_59
.LBB70_13:
	s_mov_b32 s38, -1
	s_mov_b32 s0, 0
	s_branch .LBB70_24
.LBB70_14:
	s_mov_b32 s38, -1
	s_mov_b32 s0, 0
	s_branch .LBB70_20
.LBB70_15:
	s_mov_b32 s38, -1
	s_mov_b32 s0, 0
.LBB70_16:
	s_and_b32 vcc_lo, exec_lo, s38
	s_cbranch_vccz .LBB70_19
; %bb.17:
	v_cmp_eq_u16_e32 vcc_lo, 44, v17
	s_mov_b32 s0, -1
	s_cbranch_vccz .LBB70_19
; %bb.18:
	v_cndmask_b32_e64 v18, v16, 0xff, s31
	s_mov_b32 s35, -1
	s_mov_b32 s0, 0
	s_mov_b32 s38, 0
	global_store_b8 v[8:9], v18, off
	s_branch .LBB70_20
.LBB70_19:
	s_mov_b32 s38, 0
.LBB70_20:
	s_delay_alu instid0(SALU_CYCLE_1)
	s_and_b32 vcc_lo, exec_lo, s38
	s_cbranch_vccz .LBB70_23
; %bb.21:
	v_cmp_eq_u16_e32 vcc_lo, 29, v17
	s_mov_b32 s0, -1
	s_cbranch_vccz .LBB70_23
; %bb.22:
	s_mov_b32 s35, -1
	s_mov_b32 s0, 0
	global_store_b64 v[8:9], v[6:7], off
.LBB70_23:
	s_mov_b32 s38, 0
.LBB70_24:
	s_delay_alu instid0(SALU_CYCLE_1)
	s_and_b32 vcc_lo, exec_lo, s38
	s_cbranch_vccz .LBB70_37
; %bb.25:
	v_cmp_gt_i16_e32 vcc_lo, 27, v17
	s_mov_b32 s35, -1
	s_cbranch_vccnz .LBB70_31
; %bb.26:
	v_cmp_lt_i16_e32 vcc_lo, 27, v17
	s_cbranch_vccz .LBB70_28
; %bb.27:
	s_mov_b32 s35, 0
	global_store_b32 v[8:9], v14, off
.LBB70_28:
	s_and_not1_b32 vcc_lo, exec_lo, s35
	s_cbranch_vccnz .LBB70_30
; %bb.29:
	global_store_b16 v[8:9], v14, off
.LBB70_30:
	s_mov_b32 s35, 0
.LBB70_31:
	s_delay_alu instid0(SALU_CYCLE_1)
	s_and_not1_b32 vcc_lo, exec_lo, s35
	s_cbranch_vccnz .LBB70_36
; %bb.32:
	s_and_not1_b32 vcc_lo, exec_lo, s29
	s_movk_i32 s35, 0x80
	s_cbranch_vccnz .LBB70_35
; %bb.33:
	s_or_b32 s35, s26, s30
	s_delay_alu instid0(SALU_CYCLE_1)
	s_and_not1_b32 vcc_lo, exec_lo, s35
	s_mov_b32 s35, 0
	s_cbranch_vccnz .LBB70_35
; %bb.34:
	s_and_b32 s35, s26, exec_lo
	s_cselect_b32 s35, s28, s25
	s_delay_alu instid0(SALU_CYCLE_1)
	s_or_b32 s35, s35, s1
.LBB70_35:
	s_delay_alu instid0(SALU_CYCLE_1)
	v_mov_b32_e32 v18, s35
	global_store_b8 v[8:9], v18, off
.LBB70_36:
	s_mov_b32 s35, -1
.LBB70_37:
	s_branch .LBB70_59
.LBB70_38:
	v_cmp_lt_i16_e32 vcc_lo, 22, v17
	s_mov_b32 s38, -1
	s_cbranch_vccz .LBB70_51
; %bb.39:
	v_cmp_gt_i16_e32 vcc_lo, 24, v17
	s_mov_b32 s35, -1
	s_cbranch_vccnz .LBB70_48
; %bb.40:
	v_cmp_lt_i16_e32 vcc_lo, 24, v17
	s_cbranch_vccz .LBB70_45
; %bb.41:
	s_and_not1_b32 vcc_lo, exec_lo, s22
	s_movk_i32 s35, 0x80
	s_cbranch_vccnz .LBB70_44
; %bb.42:
	s_or_b32 s35, s19, s23
	s_delay_alu instid0(SALU_CYCLE_1)
	s_and_not1_b32 vcc_lo, exec_lo, s35
	s_mov_b32 s35, 0
	s_cbranch_vccnz .LBB70_44
; %bb.43:
	s_and_b32 s35, s19, exec_lo
	s_cselect_b32 s35, s20, s18
	s_delay_alu instid0(SALU_CYCLE_1)
	s_or_b32 s35, s35, s1
.LBB70_44:
	s_delay_alu instid0(SALU_CYCLE_1)
	v_mov_b32_e32 v18, s35
	s_mov_b32 s35, 0
	global_store_b8 v[8:9], v18, off
.LBB70_45:
	s_and_b32 vcc_lo, exec_lo, s35
	s_cbranch_vccz .LBB70_47
; %bb.46:
	s_and_b32 s35, s15, exec_lo
	s_cselect_b32 s35, s27, s17
	s_and_b32 s38, s14, exec_lo
	s_cselect_b32 s35, s21, s35
	s_delay_alu instid0(SALU_CYCLE_1) | instskip(NEXT) | instid1(SALU_CYCLE_1)
	s_or_b32 s35, s35, s1
	v_mov_b32_e32 v18, s35
	global_store_b8 v[8:9], v18, off
.LBB70_47:
	s_mov_b32 s35, 0
.LBB70_48:
	s_delay_alu instid0(SALU_CYCLE_1)
	s_and_not1_b32 vcc_lo, exec_lo, s35
	s_cbranch_vccnz .LBB70_50
; %bb.49:
	s_and_b32 s35, s12, exec_lo
	s_cselect_b32 s35, s24, s13
	s_and_b32 s38, s10, exec_lo
	s_cselect_b32 s35, s16, s35
	s_delay_alu instid0(SALU_CYCLE_1) | instskip(NEXT) | instid1(SALU_CYCLE_1)
	s_or_b32 s35, s35, s1
	v_mov_b32_e32 v18, s35
	global_store_b8 v[8:9], v18, off
.LBB70_50:
	s_mov_b32 s38, 0
	s_mov_b32 s35, -1
.LBB70_51:
	s_and_not1_b32 vcc_lo, exec_lo, s38
	s_cbranch_vccnz .LBB70_59
; %bb.52:
	v_cmp_lt_i16_e32 vcc_lo, 14, v17
	s_mov_b32 s38, -1
	s_cbranch_vccz .LBB70_56
; %bb.53:
	v_cmp_eq_u16_e32 vcc_lo, 15, v17
	s_mov_b32 s0, -1
	s_cbranch_vccz .LBB70_55
; %bb.54:
	v_mov_b32_e32 v18, s11
	s_mov_b32 s35, -1
	s_mov_b32 s0, 0
	global_store_b16 v[8:9], v18, off
.LBB70_55:
	s_mov_b32 s38, 0
.LBB70_56:
	s_delay_alu instid0(SALU_CYCLE_1)
	s_and_b32 vcc_lo, exec_lo, s38
	s_cbranch_vccz .LBB70_59
; %bb.57:
	v_cmp_eq_u16_e32 vcc_lo, 11, v17
	s_mov_b32 s0, -1
	s_cbranch_vccz .LBB70_59
; %bb.58:
	s_mov_b32 s35, -1
	s_mov_b32 s0, 0
	global_store_b8 v[8:9], v13, off
.LBB70_59:
	s_branch .LBB70_10
.LBB70_60:
	v_cmp_gt_i16_e32 vcc_lo, 5, v17
	s_mov_b32 s35, -1
	s_cbranch_vccnz .LBB70_81
; %bb.61:
	v_cmp_gt_i16_e32 vcc_lo, 8, v17
	s_cbranch_vccnz .LBB70_71
; %bb.62:
	v_cmp_gt_i16_e32 vcc_lo, 9, v17
	s_cbranch_vccnz .LBB70_68
; %bb.63:
	v_cmp_lt_i16_e32 vcc_lo, 9, v17
	s_cbranch_vccz .LBB70_65
; %bb.64:
	s_mov_b32 s35, 0
	global_store_b128 v[8:9], v[0:3], off
.LBB70_65:
	s_and_not1_b32 vcc_lo, exec_lo, s35
	s_cbranch_vccnz .LBB70_67
; %bb.66:
	v_dual_mov_b32 v18, s2 :: v_dual_mov_b32 v19, s3
	global_store_b64 v[8:9], v[18:19], off
.LBB70_67:
	s_mov_b32 s35, 0
.LBB70_68:
	s_delay_alu instid0(SALU_CYCLE_1)
	s_and_not1_b32 vcc_lo, exec_lo, s35
	s_cbranch_vccnz .LBB70_70
; %bb.69:
	global_store_b32 v[8:9], v12, off
.LBB70_70:
	s_mov_b32 s35, 0
.LBB70_71:
	s_delay_alu instid0(SALU_CYCLE_1)
	s_and_not1_b32 vcc_lo, exec_lo, s35
	s_cbranch_vccnz .LBB70_80
; %bb.72:
	v_cmp_gt_i16_e32 vcc_lo, 6, v17
	s_mov_b32 s35, -1
	s_cbranch_vccnz .LBB70_78
; %bb.73:
	v_cmp_lt_i16_e32 vcc_lo, 6, v17
	s_cbranch_vccz .LBB70_75
; %bb.74:
	s_mov_b32 s35, 0
	global_store_b64 v[8:9], v[0:1], off
.LBB70_75:
	s_and_not1_b32 vcc_lo, exec_lo, s35
	s_cbranch_vccnz .LBB70_77
; %bb.76:
	v_mov_b32_e32 v18, s2
	global_store_b32 v[8:9], v18, off
.LBB70_77:
	s_mov_b32 s35, 0
.LBB70_78:
	s_delay_alu instid0(SALU_CYCLE_1)
	s_and_not1_b32 vcc_lo, exec_lo, s35
	s_cbranch_vccnz .LBB70_80
; %bb.79:
	global_store_b16 v[8:9], v11, off
.LBB70_80:
	s_mov_b32 s35, 0
.LBB70_81:
	s_delay_alu instid0(SALU_CYCLE_1)
	s_and_not1_b32 vcc_lo, exec_lo, s35
	s_cbranch_vccnz .LBB70_97
; %bb.82:
	v_cmp_gt_i16_e32 vcc_lo, 2, v17
	s_mov_b32 s35, -1
	s_cbranch_vccnz .LBB70_92
; %bb.83:
	v_cmp_gt_i16_e32 vcc_lo, 3, v17
	s_cbranch_vccnz .LBB70_89
; %bb.84:
	v_cmp_lt_i16_e32 vcc_lo, 3, v17
	s_cbranch_vccz .LBB70_86
; %bb.85:
	s_mov_b32 s35, 0
	global_store_b64 v[8:9], v[4:5], off
.LBB70_86:
	s_and_not1_b32 vcc_lo, exec_lo, s35
	s_cbranch_vccnz .LBB70_88
; %bb.87:
	global_store_b32 v[8:9], v10, off
.LBB70_88:
	s_mov_b32 s35, 0
.LBB70_89:
	s_delay_alu instid0(SALU_CYCLE_1)
	s_and_not1_b32 vcc_lo, exec_lo, s35
	s_cbranch_vccnz .LBB70_91
; %bb.90:
	global_store_b16 v[8:9], v10, off
.LBB70_91:
	s_mov_b32 s35, 0
.LBB70_92:
	s_delay_alu instid0(SALU_CYCLE_1)
	s_and_not1_b32 vcc_lo, exec_lo, s35
	s_cbranch_vccnz .LBB70_97
; %bb.93:
	v_cmp_lt_i16_e32 vcc_lo, 0, v17
	s_mov_b32 s35, -1
	s_cbranch_vccz .LBB70_95
; %bb.94:
	s_mov_b32 s35, 0
	global_store_b8 v[8:9], v10, off
.LBB70_95:
	s_and_not1_b32 vcc_lo, exec_lo, s35
	s_cbranch_vccnz .LBB70_97
; %bb.96:
	global_store_b8 v[8:9], v4, off
.LBB70_97:
	s_branch .LBB70_11
.LBB70_98:
	s_mov_b32 s38, 0
                                        ; implicit-def: $vgpr15
.LBB70_99:
	s_and_b32 s35, s0, exec_lo
	s_or_not1_b32 s0, s38, exec_lo
.LBB70_100:
	s_or_b32 exec_lo, exec_lo, s36
	s_mov_b32 s38, 0
                                        ; implicit-def: $vgpr17
                                        ; implicit-def: $vgpr8_vgpr9
	s_and_saveexec_b32 s36, s0
	s_cbranch_execz .LBB70_109
; %bb.101:
	s_mov_b32 s40, -1
	s_mov_b32 s37, s35
	s_mov_b32 s38, exec_lo
	v_cmpx_gt_i32_e64 s33, v15
	s_cbranch_execz .LBB70_326
; %bb.102:
	v_mul_lo_u32 v8, v15, s6
	v_and_b32_e64 v17, 0xff, s9
	s_delay_alu instid0(VALU_DEP_1) | instskip(NEXT) | instid1(VALU_DEP_3)
	v_cmp_gt_i16_e32 vcc_lo, 11, v17
	v_ashrrev_i32_e32 v9, 31, v8
	v_add_co_u32 v8, s0, s4, v8
	s_delay_alu instid0(VALU_DEP_1)
	v_add_co_ci_u32_e64 v9, s0, s5, v9, s0
	s_cbranch_vccnz .LBB70_219
; %bb.103:
	v_cmp_lt_i16_e32 vcc_lo, 25, v17
	s_cbranch_vccz .LBB70_222
; %bb.104:
	v_cmp_lt_i16_e32 vcc_lo, 28, v17
	s_cbranch_vccz .LBB70_223
	;; [unrolled: 3-line block ×4, first 2 shown]
; %bb.107:
	v_cmp_eq_u16_e32 vcc_lo, 46, v17
	s_mov_b32 s39, 0
	s_mov_b32 s0, -1
	s_mov_b32 s37, 0
	s_cbranch_vccz .LBB70_241
; %bb.108:
	v_mov_b32_e32 v18, s34
	s_mov_b32 s37, -1
	s_mov_b32 s0, 0
	global_store_b32 v[8:9], v18, off
	s_branch .LBB70_241
.LBB70_109:
	s_or_b32 exec_lo, exec_lo, s36
	s_mov_b32 s0, 0
	s_and_saveexec_b32 s1, s35
	s_cbranch_execnz .LBB70_883
.LBB70_110:
	s_or_b32 exec_lo, exec_lo, s1
	s_and_saveexec_b32 s1, s37
	s_delay_alu instid0(SALU_CYCLE_1)
	s_xor_b32 s1, exec_lo, s1
	s_cbranch_execz .LBB70_112
.LBB70_111:
	global_store_b8 v[8:9], v13, off
.LBB70_112:
	s_or_b32 exec_lo, exec_lo, s1
	s_and_saveexec_b32 s1, s38
	s_delay_alu instid0(SALU_CYCLE_1)
	s_xor_b32 s1, exec_lo, s1
	s_cbranch_execz .LBB70_150
; %bb.113:
	v_cmp_gt_i16_e32 vcc_lo, 5, v17
	s_mov_b32 s10, -1
	s_cbranch_vccnz .LBB70_134
; %bb.114:
	v_cmp_gt_i16_e32 vcc_lo, 8, v17
	s_cbranch_vccnz .LBB70_124
; %bb.115:
	v_cmp_gt_i16_e32 vcc_lo, 9, v17
	s_cbranch_vccnz .LBB70_121
; %bb.116:
	v_cmp_lt_i16_e32 vcc_lo, 9, v17
	s_cbranch_vccz .LBB70_118
; %bb.117:
	s_mov_b32 s10, 0
	global_store_b128 v[8:9], v[0:3], off
.LBB70_118:
	s_and_not1_b32 vcc_lo, exec_lo, s10
	s_cbranch_vccnz .LBB70_120
; %bb.119:
	v_dual_mov_b32 v2, s2 :: v_dual_mov_b32 v3, s3
	global_store_b64 v[8:9], v[2:3], off
.LBB70_120:
	s_mov_b32 s10, 0
.LBB70_121:
	s_delay_alu instid0(SALU_CYCLE_1)
	s_and_not1_b32 vcc_lo, exec_lo, s10
	s_cbranch_vccnz .LBB70_123
; %bb.122:
	global_store_b32 v[8:9], v12, off
.LBB70_123:
	s_mov_b32 s10, 0
.LBB70_124:
	s_delay_alu instid0(SALU_CYCLE_1)
	s_and_not1_b32 vcc_lo, exec_lo, s10
	s_cbranch_vccnz .LBB70_133
; %bb.125:
	v_cmp_gt_i16_e32 vcc_lo, 6, v17
	s_mov_b32 s10, -1
	s_cbranch_vccnz .LBB70_131
; %bb.126:
	v_cmp_lt_i16_e32 vcc_lo, 6, v17
	s_cbranch_vccz .LBB70_128
; %bb.127:
	s_mov_b32 s10, 0
	global_store_b64 v[8:9], v[0:1], off
.LBB70_128:
	s_and_not1_b32 vcc_lo, exec_lo, s10
	s_cbranch_vccnz .LBB70_130
; %bb.129:
	v_mov_b32_e32 v0, s2
	global_store_b32 v[8:9], v0, off
.LBB70_130:
	s_mov_b32 s10, 0
.LBB70_131:
	s_delay_alu instid0(SALU_CYCLE_1)
	s_and_not1_b32 vcc_lo, exec_lo, s10
	s_cbranch_vccnz .LBB70_133
; %bb.132:
	global_store_b16 v[8:9], v11, off
.LBB70_133:
	s_mov_b32 s10, 0
.LBB70_134:
	s_delay_alu instid0(SALU_CYCLE_1)
	s_and_not1_b32 vcc_lo, exec_lo, s10
	s_cbranch_vccnz .LBB70_150
; %bb.135:
	v_cmp_gt_i16_e32 vcc_lo, 2, v17
	s_mov_b32 s10, -1
	s_cbranch_vccnz .LBB70_145
; %bb.136:
	v_cmp_gt_i16_e32 vcc_lo, 3, v17
	s_cbranch_vccnz .LBB70_142
; %bb.137:
	v_cmp_lt_i16_e32 vcc_lo, 3, v17
	s_cbranch_vccz .LBB70_139
; %bb.138:
	s_mov_b32 s10, 0
	global_store_b64 v[8:9], v[4:5], off
.LBB70_139:
	s_and_not1_b32 vcc_lo, exec_lo, s10
	s_cbranch_vccnz .LBB70_141
; %bb.140:
	global_store_b32 v[8:9], v10, off
.LBB70_141:
	s_mov_b32 s10, 0
.LBB70_142:
	s_delay_alu instid0(SALU_CYCLE_1)
	s_and_not1_b32 vcc_lo, exec_lo, s10
	s_cbranch_vccnz .LBB70_144
; %bb.143:
	global_store_b16 v[8:9], v10, off
.LBB70_144:
	s_mov_b32 s10, 0
.LBB70_145:
	s_delay_alu instid0(SALU_CYCLE_1)
	s_and_not1_b32 vcc_lo, exec_lo, s10
	s_cbranch_vccnz .LBB70_150
; %bb.146:
	v_cmp_lt_i16_e32 vcc_lo, 0, v17
	s_mov_b32 s10, -1
	s_cbranch_vccz .LBB70_148
; %bb.147:
	s_mov_b32 s10, 0
	global_store_b8 v[8:9], v10, off
.LBB70_148:
	s_and_not1_b32 vcc_lo, exec_lo, s10
	s_cbranch_vccnz .LBB70_150
; %bb.149:
	global_store_b8 v[8:9], v4, off
.LBB70_150:
	s_or_b32 exec_lo, exec_lo, s1
	s_delay_alu instid0(SALU_CYCLE_1)
	s_and_b32 s1, s0, exec_lo
                                        ; implicit-def: $vgpr15
.LBB70_151:
	s_or_saveexec_b32 s7, s7
	s_mov_b32 s0, 0
                                        ; implicit-def: $vgpr2
                                        ; implicit-def: $vgpr0_vgpr1
	s_xor_b32 exec_lo, exec_lo, s7
	s_cbranch_execz .LBB70_681
; %bb.152:
	v_mul_lo_u32 v3, s6, v15
	v_and_b32_e64 v2, 0xff, s9
	s_delay_alu instid0(VALU_DEP_1) | instskip(NEXT) | instid1(VALU_DEP_3)
	v_cmp_gt_i16_e32 vcc_lo, 11, v2
	v_ashrrev_i32_e32 v1, 31, v3
	v_add_co_u32 v0, s0, s4, v3
	s_delay_alu instid0(VALU_DEP_1)
	v_add_co_ci_u32_e64 v1, s0, s5, v1, s0
	s_cbranch_vccnz .LBB70_180
; %bb.153:
	v_cmp_lt_i16_e32 vcc_lo, 25, v2
	s_mov_b32 s8, -1
	s_mov_b32 s9, 0
	s_mov_b32 s10, 0
	;; [unrolled: 1-line block ×3, first 2 shown]
	s_cbranch_vccz .LBB70_233
; %bb.154:
	v_cmp_lt_i16_e32 vcc_lo, 28, v2
	s_cbranch_vccz .LBB70_169
; %bb.155:
	v_cmp_lt_i16_e32 vcc_lo, 43, v2
	;; [unrolled: 3-line block ×3, first 2 shown]
	s_cbranch_vccz .LBB70_159
; %bb.157:
	v_cmp_eq_u16_e32 vcc_lo, 46, v2
	s_mov_b32 s0, -1
	s_mov_b32 s8, 0
	s_cbranch_vccz .LBB70_159
; %bb.158:
	s_bfe_u32 s0, s2, 0x10010
	s_bfe_u32 s10, s3, 0x10010
	s_add_i32 s0, s2, s0
	s_add_i32 s10, s3, s10
	v_cmp_o_f32_e64 s11, s3, s3
	v_cmp_o_f32_e64 s12, s2, s2
	s_addk_i32 s0, 0x7fff
	s_addk_i32 s10, 0x7fff
	s_lshr_b32 s0, s0, 16
	s_and_b32 s10, s10, 0xffff0000
	s_and_b32 s11, s11, exec_lo
	s_cselect_b32 s10, s10, 0x7fc00000
	s_and_b32 s11, s12, exec_lo
	s_cselect_b32 s0, s0, 0x7fc0
	s_delay_alu instid0(SALU_CYCLE_1)
	s_or_b32 s0, s10, s0
	s_mov_b32 s10, -1
	v_mov_b32_e32 v4, s0
	s_mov_b32 s0, 0
	global_store_b32 v[0:1], v4, off
.LBB70_159:
	s_and_b32 vcc_lo, exec_lo, s8
	s_cbranch_vccz .LBB70_164
; %bb.160:
	v_cmp_eq_u16_e32 vcc_lo, 44, v2
	s_mov_b32 s0, -1
	s_cbranch_vccz .LBB70_164
; %bb.161:
	v_mov_b32_e32 v4, 0xff
	s_bfe_u32 s0, s2, 0x80017
	s_delay_alu instid0(SALU_CYCLE_1)
	s_cmpk_eq_i32 s0, 0xff
	s_cbranch_scc1 .LBB70_163
; %bb.162:
	s_lshr_b32 s8, s2, 23
	s_bitcmp1_b32 s2, 22
	s_cselect_b32 s10, -1, 0
	s_and_b32 s11, s2, 0x3fffff
	s_delay_alu instid0(SALU_CYCLE_1) | instskip(NEXT) | instid1(SALU_CYCLE_1)
	s_or_b32 s0, s0, s11
	s_cmp_lg_u32 s0, 0
	s_cselect_b32 s0, -1, 0
	s_delay_alu instid0(SALU_CYCLE_1) | instskip(NEXT) | instid1(SALU_CYCLE_1)
	s_and_b32 s0, s10, s0
	v_cndmask_b32_e64 v4, 0, 1, s0
	s_delay_alu instid0(VALU_DEP_1)
	v_add_nc_u32_e32 v4, s8, v4
.LBB70_163:
	s_mov_b32 s0, 0
	s_mov_b32 s10, -1
	global_store_b8 v[0:1], v4, off
.LBB70_164:
	s_mov_b32 s8, 0
.LBB70_165:
	s_delay_alu instid0(SALU_CYCLE_1)
	s_and_b32 vcc_lo, exec_lo, s8
	s_cbranch_vccz .LBB70_168
; %bb.166:
	v_cmp_eq_u16_e32 vcc_lo, 29, v2
	s_mov_b32 s0, -1
	s_cbranch_vccz .LBB70_168
; %bb.167:
	v_trunc_f32_e32 v4, s2
	s_mov_b32 s0, 0
	s_mov_b32 s10, -1
	s_delay_alu instid0(VALU_DEP_1) | instskip(NEXT) | instid1(VALU_DEP_1)
	v_mul_f32_e32 v5, 0x2f800000, v4
	v_floor_f32_e32 v5, v5
	s_delay_alu instid0(VALU_DEP_1) | instskip(SKIP_1) | instid1(VALU_DEP_2)
	v_fmamk_f32 v4, v5, 0xcf800000, v4
	v_cvt_u32_f32_e32 v5, v5
	v_cvt_u32_f32_e32 v4, v4
	global_store_b64 v[0:1], v[4:5], off
.LBB70_168:
	s_mov_b32 s8, 0
.LBB70_169:
	s_delay_alu instid0(SALU_CYCLE_1)
	s_and_b32 vcc_lo, exec_lo, s8
	s_cbranch_vccz .LBB70_232
; %bb.170:
	v_cmp_gt_i16_e32 vcc_lo, 27, v2
	s_mov_b32 s8, -1
	s_cbranch_vccnz .LBB70_176
; %bb.171:
	v_cmp_lt_i16_e32 vcc_lo, 27, v2
	s_cbranch_vccz .LBB70_173
; %bb.172:
	v_cvt_u32_f32_e32 v4, s2
	s_mov_b32 s8, 0
	global_store_b32 v[0:1], v4, off
.LBB70_173:
	s_and_not1_b32 vcc_lo, exec_lo, s8
	s_cbranch_vccnz .LBB70_175
; %bb.174:
	v_cvt_u32_f32_e32 v4, s2
	global_store_b16 v[0:1], v4, off
.LBB70_175:
	s_mov_b32 s8, 0
.LBB70_176:
	s_delay_alu instid0(SALU_CYCLE_1)
	s_and_not1_b32 vcc_lo, exec_lo, s8
	s_cbranch_vccnz .LBB70_231
; %bb.177:
	v_mov_b32_e32 v5, 0x80
	s_and_b32 s8, s2, 0x7fffffff
	s_delay_alu instid0(SALU_CYCLE_1)
	s_cmp_gt_u32 s8, 0x437fffff
	s_cbranch_scc1 .LBB70_230
; %bb.178:
	s_cmp_gt_u32 s8, 0x3bffffff
	s_cbranch_scc0 .LBB70_225
; %bb.179:
	s_bfe_u32 s8, s2, 0x10014
	s_mov_b32 s10, 0
	s_add_i32 s8, s2, s8
	s_delay_alu instid0(SALU_CYCLE_1) | instskip(NEXT) | instid1(SALU_CYCLE_1)
	s_add_i32 s8, s8, 0x487ffff
	s_lshr_b32 s11, s8, 20
	s_mov_b32 s8, -1
	s_branch .LBB70_226
.LBB70_180:
	s_mov_b32 s10, 0
	s_mov_b32 s8, s1
	s_cbranch_execz .LBB70_382
; %bb.181:
	v_cmp_gt_i16_e32 vcc_lo, 5, v2
	s_mov_b32 s0, -1
	s_cbranch_vccnz .LBB70_202
; %bb.182:
	v_cmp_gt_i16_e32 vcc_lo, 8, v2
	s_cbranch_vccnz .LBB70_192
; %bb.183:
	v_cmp_gt_i16_e32 vcc_lo, 9, v2
	s_cbranch_vccnz .LBB70_189
; %bb.184:
	v_cmp_lt_i16_e32 vcc_lo, 9, v2
	s_cbranch_vccz .LBB70_186
; %bb.185:
	v_cvt_f64_f32_e32 v[4:5], s2
	v_cvt_f64_f32_e32 v[6:7], s3
	s_mov_b32 s0, 0
	global_store_b128 v[0:1], v[4:7], off
.LBB70_186:
	s_and_not1_b32 vcc_lo, exec_lo, s0
	s_cbranch_vccnz .LBB70_188
; %bb.187:
	v_dual_mov_b32 v4, s2 :: v_dual_mov_b32 v5, s3
	global_store_b64 v[0:1], v[4:5], off
.LBB70_188:
	s_mov_b32 s0, 0
.LBB70_189:
	s_delay_alu instid0(SALU_CYCLE_1)
	s_and_not1_b32 vcc_lo, exec_lo, s0
	s_cbranch_vccnz .LBB70_191
; %bb.190:
	v_cvt_f16_f32_e32 v4, s3
	v_cvt_f16_f32_e32 v5, s2
	s_delay_alu instid0(VALU_DEP_2) | instskip(NEXT) | instid1(VALU_DEP_2)
	v_lshlrev_b32_e32 v4, 16, v4
	v_and_b32_e32 v5, 0xffff, v5
	s_delay_alu instid0(VALU_DEP_1)
	v_or_b32_e32 v4, v4, v5
	global_store_b32 v[0:1], v4, off
.LBB70_191:
	s_mov_b32 s0, 0
.LBB70_192:
	s_delay_alu instid0(SALU_CYCLE_1)
	s_and_not1_b32 vcc_lo, exec_lo, s0
	s_cbranch_vccnz .LBB70_201
; %bb.193:
	v_cmp_gt_i16_e32 vcc_lo, 6, v2
	s_mov_b32 s0, -1
	s_cbranch_vccnz .LBB70_199
; %bb.194:
	v_cmp_lt_i16_e32 vcc_lo, 6, v2
	s_cbranch_vccz .LBB70_196
; %bb.195:
	v_cvt_f64_f32_e32 v[4:5], s2
	s_mov_b32 s0, 0
	global_store_b64 v[0:1], v[4:5], off
.LBB70_196:
	s_and_not1_b32 vcc_lo, exec_lo, s0
	s_cbranch_vccnz .LBB70_198
; %bb.197:
	v_mov_b32_e32 v4, s2
	global_store_b32 v[0:1], v4, off
.LBB70_198:
	s_mov_b32 s0, 0
.LBB70_199:
	s_delay_alu instid0(SALU_CYCLE_1)
	s_and_not1_b32 vcc_lo, exec_lo, s0
	s_cbranch_vccnz .LBB70_201
; %bb.200:
	v_cvt_f16_f32_e32 v4, s2
	global_store_b16 v[0:1], v4, off
.LBB70_201:
	s_mov_b32 s0, 0
.LBB70_202:
	s_delay_alu instid0(SALU_CYCLE_1)
	s_and_not1_b32 vcc_lo, exec_lo, s0
	s_cbranch_vccnz .LBB70_218
; %bb.203:
	v_cmp_gt_i16_e32 vcc_lo, 2, v2
	s_mov_b32 s0, -1
	s_cbranch_vccnz .LBB70_213
; %bb.204:
	v_cmp_gt_i16_e32 vcc_lo, 3, v2
	s_cbranch_vccnz .LBB70_210
; %bb.205:
	v_cmp_lt_i16_e32 vcc_lo, 3, v2
	s_cbranch_vccz .LBB70_207
; %bb.206:
	v_trunc_f32_e32 v4, s2
	s_mov_b32 s0, 0
	s_delay_alu instid0(VALU_DEP_1) | instskip(SKIP_1) | instid1(VALU_DEP_2)
	v_mul_f32_e64 v5, 0x2f800000, |v4|
	v_ashrrev_i32_e32 v7, 31, v4
	v_floor_f32_e32 v5, v5
	s_delay_alu instid0(VALU_DEP_1) | instskip(SKIP_1) | instid1(VALU_DEP_2)
	v_fma_f32 v6, 0xcf800000, v5, |v4|
	v_cvt_u32_f32_e32 v5, v5
	v_cvt_u32_f32_e32 v4, v6
	s_delay_alu instid0(VALU_DEP_2) | instskip(NEXT) | instid1(VALU_DEP_2)
	v_xor_b32_e32 v5, v5, v7
	v_xor_b32_e32 v4, v4, v7
	s_delay_alu instid0(VALU_DEP_1) | instskip(NEXT) | instid1(VALU_DEP_3)
	v_sub_co_u32 v4, vcc_lo, v4, v7
	v_sub_co_ci_u32_e32 v5, vcc_lo, v5, v7, vcc_lo
	global_store_b64 v[0:1], v[4:5], off
.LBB70_207:
	s_and_not1_b32 vcc_lo, exec_lo, s0
	s_cbranch_vccnz .LBB70_209
; %bb.208:
	v_cvt_i32_f32_e32 v4, s2
	global_store_b32 v[0:1], v4, off
.LBB70_209:
	s_mov_b32 s0, 0
.LBB70_210:
	s_delay_alu instid0(SALU_CYCLE_1)
	s_and_not1_b32 vcc_lo, exec_lo, s0
	s_cbranch_vccnz .LBB70_212
; %bb.211:
	v_cvt_i32_f32_e32 v4, s2
	global_store_b16 v[0:1], v4, off
.LBB70_212:
	s_mov_b32 s0, 0
.LBB70_213:
	s_delay_alu instid0(SALU_CYCLE_1)
	s_and_not1_b32 vcc_lo, exec_lo, s0
	s_cbranch_vccnz .LBB70_218
; %bb.214:
	v_cmp_lt_i16_e32 vcc_lo, 0, v2
	s_mov_b32 s0, -1
	s_cbranch_vccz .LBB70_216
; %bb.215:
	v_cvt_i32_f32_e32 v4, s2
	s_mov_b32 s0, 0
	global_store_b8 v[0:1], v4, off
.LBB70_216:
	s_and_not1_b32 vcc_lo, exec_lo, s0
	s_cbranch_vccnz .LBB70_218
; %bb.217:
	v_trunc_f32_e32 v4, s2
	s_delay_alu instid0(VALU_DEP_1) | instskip(NEXT) | instid1(VALU_DEP_1)
	v_mul_f32_e64 v5, 0x2f800000, |v4|
	v_floor_f32_e32 v5, v5
	s_delay_alu instid0(VALU_DEP_1) | instskip(SKIP_1) | instid1(VALU_DEP_2)
	v_fma_f32 v5, 0xcf800000, v5, |v4|
	v_ashrrev_i32_e32 v4, 31, v4
	v_cvt_u32_f32_e32 v5, v5
	s_delay_alu instid0(VALU_DEP_1) | instskip(NEXT) | instid1(VALU_DEP_1)
	v_xor_b32_e32 v5, v5, v4
	v_sub_nc_u32_e32 v4, v5, v4
	global_store_b8 v[0:1], v4, off
.LBB70_218:
	s_branch .LBB70_383
.LBB70_219:
	s_mov_b32 s37, 0
	s_mov_b32 s0, s35
	s_cbranch_execnz .LBB70_286
.LBB70_220:
	s_and_not1_b32 vcc_lo, exec_lo, s37
	s_cbranch_vccnz .LBB70_324
.LBB70_221:
	v_add_nc_u32_e32 v15, 0x80, v15
	s_mov_b32 s39, -1
	s_branch .LBB70_325
.LBB70_222:
	s_mov_b32 s39, -1
	s_mov_b32 s37, 0
	s_mov_b32 s0, s35
	s_branch .LBB70_263
.LBB70_223:
	s_mov_b32 s39, -1
	s_mov_b32 s37, 0
	s_mov_b32 s0, s35
	s_branch .LBB70_249
.LBB70_224:
	s_mov_b32 s39, -1
	s_mov_b32 s37, 0
	s_mov_b32 s0, s35
	s_branch .LBB70_245
.LBB70_225:
	s_mov_b32 s10, -1
	s_mov_b32 s8, 0
                                        ; implicit-def: $sgpr11
.LBB70_226:
	v_mov_b32_e32 v4, s11
	s_and_not1_b32 vcc_lo, exec_lo, s10
                                        ; implicit-def: $sgpr10
	s_cbranch_vccnz .LBB70_228
; %bb.227:
	v_add_f32_e64 v4, 0x46000000, |s2|
	s_mov_b32 s10, 0
	s_delay_alu instid0(VALU_DEP_1) | instskip(NEXT) | instid1(VALU_DEP_1)
	v_and_b32_e32 v4, 0xff, v4
	v_cmp_ne_u32_e64 s8, 0, v4
.LBB70_228:
	v_mov_b32_e32 v5, s10
	s_delay_alu instid0(VALU_DEP_2)
	s_and_not1_b32 vcc_lo, exec_lo, s8
	s_cbranch_vccnz .LBB70_230
; %bb.229:
	s_lshr_b32 s8, s2, 24
	s_delay_alu instid0(SALU_CYCLE_1) | instskip(NEXT) | instid1(SALU_CYCLE_1)
	s_and_b32 s8, s8, 0x80
	v_or_b32_e32 v5, s8, v4
.LBB70_230:
	global_store_b8 v[0:1], v5, off
.LBB70_231:
	s_mov_b32 s10, -1
.LBB70_232:
	s_mov_b32 s8, 0
.LBB70_233:
	s_delay_alu instid0(SALU_CYCLE_1)
	s_and_b32 vcc_lo, exec_lo, s8
	s_cbranch_vccz .LBB70_378
; %bb.234:
	v_cmp_lt_i16_e32 vcc_lo, 22, v2
	s_mov_b32 s8, -1
	s_cbranch_vccz .LBB70_371
; %bb.235:
	v_cmp_gt_i16_e32 vcc_lo, 24, v2
	s_cbranch_vccnz .LBB70_358
; %bb.236:
	v_cmp_lt_i16_e32 vcc_lo, 24, v2
	s_cbranch_vccz .LBB70_345
; %bb.237:
	v_mov_b32_e32 v5, 0x80
	s_and_b32 s8, s2, 0x7fffffff
	s_delay_alu instid0(SALU_CYCLE_1)
	s_cmp_gt_u32 s8, 0x477fffff
	s_cbranch_scc1 .LBB70_344
; %bb.238:
	s_cmp_gt_u32 s8, 0x37ffffff
	s_cbranch_scc0 .LBB70_339
; %bb.239:
	s_bfe_u32 s8, s2, 0x10015
	s_delay_alu instid0(SALU_CYCLE_1) | instskip(NEXT) | instid1(SALU_CYCLE_1)
	s_add_i32 s8, s2, s8
	s_add_i32 s8, s8, 0x88fffff
	s_delay_alu instid0(SALU_CYCLE_1)
	s_lshr_b32 s10, s8, 21
	s_mov_b32 s8, -1
	s_branch .LBB70_340
.LBB70_240:
	s_mov_b32 s39, -1
	s_mov_b32 s37, 0
	s_mov_b32 s0, s35
.LBB70_241:
	s_and_b32 vcc_lo, exec_lo, s39
	s_cbranch_vccz .LBB70_244
; %bb.242:
	v_cmp_eq_u16_e32 vcc_lo, 44, v17
	s_mov_b32 s0, -1
	s_cbranch_vccz .LBB70_244
; %bb.243:
	v_cndmask_b32_e64 v18, v16, 0xff, s31
	s_mov_b32 s37, -1
	s_mov_b32 s0, 0
	global_store_b8 v[8:9], v18, off
.LBB70_244:
	s_mov_b32 s39, 0
.LBB70_245:
	s_delay_alu instid0(SALU_CYCLE_1)
	s_and_b32 vcc_lo, exec_lo, s39
	s_cbranch_vccz .LBB70_248
; %bb.246:
	v_cmp_eq_u16_e32 vcc_lo, 29, v17
	s_mov_b32 s0, -1
	s_cbranch_vccz .LBB70_248
; %bb.247:
	s_mov_b32 s37, -1
	s_mov_b32 s0, 0
	global_store_b64 v[8:9], v[6:7], off
.LBB70_248:
	s_mov_b32 s39, 0
.LBB70_249:
	s_delay_alu instid0(SALU_CYCLE_1)
	s_and_b32 vcc_lo, exec_lo, s39
	s_cbranch_vccz .LBB70_262
; %bb.250:
	v_cmp_gt_i16_e32 vcc_lo, 27, v17
	s_mov_b32 s37, -1
	s_cbranch_vccnz .LBB70_256
; %bb.251:
	v_cmp_lt_i16_e32 vcc_lo, 27, v17
	s_cbranch_vccz .LBB70_253
; %bb.252:
	s_mov_b32 s37, 0
	global_store_b32 v[8:9], v14, off
.LBB70_253:
	s_and_not1_b32 vcc_lo, exec_lo, s37
	s_cbranch_vccnz .LBB70_255
; %bb.254:
	global_store_b16 v[8:9], v14, off
.LBB70_255:
	s_mov_b32 s37, 0
.LBB70_256:
	s_delay_alu instid0(SALU_CYCLE_1)
	s_and_not1_b32 vcc_lo, exec_lo, s37
	s_cbranch_vccnz .LBB70_261
; %bb.257:
	s_and_not1_b32 vcc_lo, exec_lo, s29
	s_movk_i32 s37, 0x80
	s_cbranch_vccnz .LBB70_260
; %bb.258:
	s_or_b32 s37, s26, s30
	s_delay_alu instid0(SALU_CYCLE_1)
	s_and_not1_b32 vcc_lo, exec_lo, s37
	s_mov_b32 s37, 0
	s_cbranch_vccnz .LBB70_260
; %bb.259:
	s_and_b32 s37, s26, exec_lo
	s_cselect_b32 s37, s28, s25
	s_delay_alu instid0(SALU_CYCLE_1)
	s_or_b32 s37, s37, s1
.LBB70_260:
	s_delay_alu instid0(SALU_CYCLE_1)
	v_mov_b32_e32 v18, s37
	global_store_b8 v[8:9], v18, off
.LBB70_261:
	s_mov_b32 s37, -1
.LBB70_262:
	s_mov_b32 s39, 0
.LBB70_263:
	s_delay_alu instid0(SALU_CYCLE_1)
	s_and_b32 vcc_lo, exec_lo, s39
	s_cbranch_vccz .LBB70_285
; %bb.264:
	v_cmp_lt_i16_e32 vcc_lo, 22, v17
	s_mov_b32 s39, -1
	s_cbranch_vccz .LBB70_277
; %bb.265:
	v_cmp_gt_i16_e32 vcc_lo, 24, v17
	s_mov_b32 s37, -1
	s_cbranch_vccnz .LBB70_274
; %bb.266:
	v_cmp_lt_i16_e32 vcc_lo, 24, v17
	s_cbranch_vccz .LBB70_271
; %bb.267:
	s_and_not1_b32 vcc_lo, exec_lo, s22
	s_movk_i32 s37, 0x80
	s_cbranch_vccnz .LBB70_270
; %bb.268:
	s_or_b32 s37, s19, s23
	s_delay_alu instid0(SALU_CYCLE_1)
	s_and_not1_b32 vcc_lo, exec_lo, s37
	s_mov_b32 s37, 0
	s_cbranch_vccnz .LBB70_270
; %bb.269:
	s_and_b32 s37, s19, exec_lo
	s_cselect_b32 s37, s20, s18
	s_delay_alu instid0(SALU_CYCLE_1)
	s_or_b32 s37, s37, s1
.LBB70_270:
	s_delay_alu instid0(SALU_CYCLE_1)
	v_mov_b32_e32 v18, s37
	s_mov_b32 s37, 0
	global_store_b8 v[8:9], v18, off
.LBB70_271:
	s_and_b32 vcc_lo, exec_lo, s37
	s_cbranch_vccz .LBB70_273
; %bb.272:
	s_and_b32 s37, s15, exec_lo
	s_cselect_b32 s37, s27, s17
	s_and_b32 s39, s14, exec_lo
	s_cselect_b32 s37, s21, s37
	s_delay_alu instid0(SALU_CYCLE_1) | instskip(NEXT) | instid1(SALU_CYCLE_1)
	s_or_b32 s37, s37, s1
	v_mov_b32_e32 v18, s37
	global_store_b8 v[8:9], v18, off
.LBB70_273:
	s_mov_b32 s37, 0
.LBB70_274:
	s_delay_alu instid0(SALU_CYCLE_1)
	s_and_not1_b32 vcc_lo, exec_lo, s37
	s_cbranch_vccnz .LBB70_276
; %bb.275:
	s_and_b32 s37, s12, exec_lo
	s_cselect_b32 s37, s24, s13
	s_and_b32 s39, s10, exec_lo
	s_cselect_b32 s37, s16, s37
	s_delay_alu instid0(SALU_CYCLE_1) | instskip(NEXT) | instid1(SALU_CYCLE_1)
	s_or_b32 s37, s37, s1
	v_mov_b32_e32 v18, s37
	global_store_b8 v[8:9], v18, off
.LBB70_276:
	s_mov_b32 s39, 0
	s_mov_b32 s37, -1
.LBB70_277:
	s_and_not1_b32 vcc_lo, exec_lo, s39
	s_cbranch_vccnz .LBB70_285
; %bb.278:
	v_cmp_lt_i16_e32 vcc_lo, 14, v17
	s_mov_b32 s39, -1
	s_cbranch_vccz .LBB70_282
; %bb.279:
	v_cmp_eq_u16_e32 vcc_lo, 15, v17
	s_mov_b32 s0, -1
	s_cbranch_vccz .LBB70_281
; %bb.280:
	v_mov_b32_e32 v18, s11
	s_mov_b32 s37, -1
	s_mov_b32 s0, 0
	global_store_b16 v[8:9], v18, off
.LBB70_281:
	s_mov_b32 s39, 0
.LBB70_282:
	s_delay_alu instid0(SALU_CYCLE_1)
	s_and_b32 vcc_lo, exec_lo, s39
	s_cbranch_vccz .LBB70_285
; %bb.283:
	v_cmp_eq_u16_e32 vcc_lo, 11, v17
	s_mov_b32 s0, -1
	s_cbranch_vccz .LBB70_285
; %bb.284:
	s_mov_b32 s37, -1
	s_mov_b32 s0, 0
	global_store_b8 v[8:9], v13, off
.LBB70_285:
	s_branch .LBB70_220
.LBB70_286:
	v_cmp_gt_i16_e32 vcc_lo, 5, v17
	s_mov_b32 s37, -1
	s_cbranch_vccnz .LBB70_307
; %bb.287:
	v_cmp_gt_i16_e32 vcc_lo, 8, v17
	s_cbranch_vccnz .LBB70_297
; %bb.288:
	v_cmp_gt_i16_e32 vcc_lo, 9, v17
	s_cbranch_vccnz .LBB70_294
; %bb.289:
	v_cmp_lt_i16_e32 vcc_lo, 9, v17
	s_cbranch_vccz .LBB70_291
; %bb.290:
	s_mov_b32 s37, 0
	global_store_b128 v[8:9], v[0:3], off
.LBB70_291:
	s_and_not1_b32 vcc_lo, exec_lo, s37
	s_cbranch_vccnz .LBB70_293
; %bb.292:
	v_dual_mov_b32 v18, s2 :: v_dual_mov_b32 v19, s3
	global_store_b64 v[8:9], v[18:19], off
.LBB70_293:
	s_mov_b32 s37, 0
.LBB70_294:
	s_delay_alu instid0(SALU_CYCLE_1)
	s_and_not1_b32 vcc_lo, exec_lo, s37
	s_cbranch_vccnz .LBB70_296
; %bb.295:
	global_store_b32 v[8:9], v12, off
.LBB70_296:
	s_mov_b32 s37, 0
.LBB70_297:
	s_delay_alu instid0(SALU_CYCLE_1)
	s_and_not1_b32 vcc_lo, exec_lo, s37
	s_cbranch_vccnz .LBB70_306
; %bb.298:
	v_cmp_gt_i16_e32 vcc_lo, 6, v17
	s_mov_b32 s37, -1
	s_cbranch_vccnz .LBB70_304
; %bb.299:
	v_cmp_lt_i16_e32 vcc_lo, 6, v17
	s_cbranch_vccz .LBB70_301
; %bb.300:
	s_mov_b32 s37, 0
	global_store_b64 v[8:9], v[0:1], off
.LBB70_301:
	s_and_not1_b32 vcc_lo, exec_lo, s37
	s_cbranch_vccnz .LBB70_303
; %bb.302:
	v_mov_b32_e32 v18, s2
	global_store_b32 v[8:9], v18, off
.LBB70_303:
	s_mov_b32 s37, 0
.LBB70_304:
	s_delay_alu instid0(SALU_CYCLE_1)
	s_and_not1_b32 vcc_lo, exec_lo, s37
	s_cbranch_vccnz .LBB70_306
; %bb.305:
	global_store_b16 v[8:9], v11, off
.LBB70_306:
	s_mov_b32 s37, 0
.LBB70_307:
	s_delay_alu instid0(SALU_CYCLE_1)
	s_and_not1_b32 vcc_lo, exec_lo, s37
	s_cbranch_vccnz .LBB70_323
; %bb.308:
	v_cmp_gt_i16_e32 vcc_lo, 2, v17
	s_mov_b32 s37, -1
	s_cbranch_vccnz .LBB70_318
; %bb.309:
	v_cmp_gt_i16_e32 vcc_lo, 3, v17
	s_cbranch_vccnz .LBB70_315
; %bb.310:
	v_cmp_lt_i16_e32 vcc_lo, 3, v17
	s_cbranch_vccz .LBB70_312
; %bb.311:
	s_mov_b32 s37, 0
	global_store_b64 v[8:9], v[4:5], off
.LBB70_312:
	s_and_not1_b32 vcc_lo, exec_lo, s37
	s_cbranch_vccnz .LBB70_314
; %bb.313:
	global_store_b32 v[8:9], v10, off
.LBB70_314:
	s_mov_b32 s37, 0
.LBB70_315:
	s_delay_alu instid0(SALU_CYCLE_1)
	s_and_not1_b32 vcc_lo, exec_lo, s37
	s_cbranch_vccnz .LBB70_317
; %bb.316:
	global_store_b16 v[8:9], v10, off
.LBB70_317:
	s_mov_b32 s37, 0
.LBB70_318:
	s_delay_alu instid0(SALU_CYCLE_1)
	s_and_not1_b32 vcc_lo, exec_lo, s37
	s_cbranch_vccnz .LBB70_323
; %bb.319:
	v_cmp_lt_i16_e32 vcc_lo, 0, v17
	s_mov_b32 s37, -1
	s_cbranch_vccz .LBB70_321
; %bb.320:
	s_mov_b32 s37, 0
	global_store_b8 v[8:9], v10, off
.LBB70_321:
	s_and_not1_b32 vcc_lo, exec_lo, s37
	s_cbranch_vccnz .LBB70_323
; %bb.322:
	global_store_b8 v[8:9], v4, off
.LBB70_323:
	s_branch .LBB70_221
.LBB70_324:
	s_mov_b32 s39, 0
                                        ; implicit-def: $vgpr15
.LBB70_325:
	s_and_not1_b32 s37, s35, exec_lo
	s_and_b32 s0, s0, exec_lo
	s_or_not1_b32 s40, s39, exec_lo
	s_or_b32 s37, s37, s0
.LBB70_326:
	s_or_b32 exec_lo, exec_lo, s38
	s_mov_b32 s0, 0
	s_mov_b32 s39, 0
                                        ; implicit-def: $vgpr17
                                        ; implicit-def: $vgpr8_vgpr9
	s_and_saveexec_b32 s38, s40
	s_cbranch_execz .LBB70_882
; %bb.327:
	s_mov_b32 s42, -1
	s_mov_b32 s40, s37
	s_mov_b32 s39, exec_lo
	v_cmpx_gt_i32_e64 s33, v15
	s_cbranch_execz .LBB70_558
; %bb.328:
	v_mul_lo_u32 v8, v15, s6
	v_and_b32_e64 v17, 0xff, s9
	s_delay_alu instid0(VALU_DEP_1) | instskip(NEXT) | instid1(VALU_DEP_3)
	v_cmp_gt_i16_e32 vcc_lo, 11, v17
	v_ashrrev_i32_e32 v9, 31, v8
	v_add_co_u32 v8, s0, s4, v8
	s_delay_alu instid0(VALU_DEP_1)
	v_add_co_ci_u32_e64 v9, s0, s5, v9, s0
	s_cbranch_vccnz .LBB70_335
; %bb.329:
	v_cmp_lt_i16_e32 vcc_lo, 25, v17
	s_cbranch_vccz .LBB70_336
; %bb.330:
	v_cmp_lt_i16_e32 vcc_lo, 28, v17
	s_cbranch_vccz .LBB70_337
	;; [unrolled: 3-line block ×4, first 2 shown]
; %bb.333:
	v_cmp_eq_u16_e32 vcc_lo, 46, v17
	s_mov_b32 s41, 0
	s_mov_b32 s0, -1
	s_mov_b32 s40, 0
	s_cbranch_vccz .LBB70_470
; %bb.334:
	v_mov_b32_e32 v18, s34
	s_mov_b32 s40, -1
	s_mov_b32 s0, 0
	global_store_b32 v[8:9], v18, off
	s_branch .LBB70_470
.LBB70_335:
	s_mov_b32 s41, -1
	s_mov_b32 s40, 0
	s_mov_b32 s0, s37
	s_branch .LBB70_515
.LBB70_336:
	s_mov_b32 s41, -1
	s_mov_b32 s40, 0
	s_mov_b32 s0, s37
	s_branch .LBB70_492
.LBB70_337:
	s_mov_b32 s41, -1
	s_mov_b32 s40, 0
	s_mov_b32 s0, s37
	s_branch .LBB70_478
.LBB70_338:
	s_mov_b32 s41, -1
	s_mov_b32 s40, 0
	s_mov_b32 s0, s37
	s_branch .LBB70_474
.LBB70_339:
	s_mov_b32 s9, -1
	s_mov_b32 s8, 0
                                        ; implicit-def: $sgpr10
.LBB70_340:
	v_mov_b32_e32 v4, s10
	s_and_not1_b32 vcc_lo, exec_lo, s9
                                        ; implicit-def: $sgpr9
	s_cbranch_vccnz .LBB70_342
; %bb.341:
	v_add_f32_e64 v4, 0x42800000, |s2|
	s_mov_b32 s9, 0
	s_delay_alu instid0(VALU_DEP_1) | instskip(NEXT) | instid1(VALU_DEP_1)
	v_and_b32_e32 v4, 0xff, v4
	v_cmp_ne_u32_e64 s8, 0, v4
.LBB70_342:
	v_mov_b32_e32 v5, s9
	s_delay_alu instid0(VALU_DEP_2)
	s_and_not1_b32 vcc_lo, exec_lo, s8
	s_cbranch_vccnz .LBB70_344
; %bb.343:
	s_lshr_b32 s8, s2, 24
	s_delay_alu instid0(SALU_CYCLE_1) | instskip(NEXT) | instid1(SALU_CYCLE_1)
	s_and_b32 s8, s8, 0x80
	v_or_b32_e32 v5, s8, v4
.LBB70_344:
	s_mov_b32 s8, 0
	global_store_b8 v[0:1], v5, off
.LBB70_345:
	s_and_b32 vcc_lo, exec_lo, s8
	s_cbranch_vccz .LBB70_357
; %bb.346:
	s_and_b32 s8, s2, 0x7fffffff
	s_delay_alu instid0(SALU_CYCLE_1)
	s_cmp_lt_u32 s8, 0x43f00000
	s_cbranch_scc0 .LBB70_349
; %bb.347:
	s_cmp_gt_u32 s8, 0x3c7fffff
	s_cbranch_scc0 .LBB70_350
; %bb.348:
	s_bfe_u32 s9, s2, 0x10014
	s_delay_alu instid0(SALU_CYCLE_1) | instskip(NEXT) | instid1(SALU_CYCLE_1)
	s_add_i32 s9, s2, s9
	s_add_i32 s9, s9, 0x407ffff
	s_delay_alu instid0(SALU_CYCLE_1)
	s_and_b32 s10, s9, 0xff00000
	s_lshr_b32 s9, s9, 20
	s_cmp_lg_u32 s10, 0x7f00000
	s_cselect_b32 s10, s9, 0x7e
	s_mov_b32 s9, 0
	s_branch .LBB70_351
.LBB70_349:
	s_mov_b32 s9, -1
                                        ; implicit-def: $vgpr4
	s_branch .LBB70_354
.LBB70_350:
	s_mov_b32 s9, -1
                                        ; implicit-def: $sgpr10
.LBB70_351:
	v_mov_b32_e32 v4, s10
	s_and_not1_b32 vcc_lo, exec_lo, s9
	s_cbranch_vccnz .LBB70_353
; %bb.352:
	v_add_f32_e64 v4, 0x46800000, |s2|
.LBB70_353:
	s_mov_b32 s9, 0
.LBB70_354:
	s_delay_alu instid0(SALU_CYCLE_1)
	s_and_not1_b32 vcc_lo, exec_lo, s9
	s_cbranch_vccnz .LBB70_356
; %bb.355:
	s_cmp_gt_u32 s8, 0x7f800000
	s_movk_i32 s8, 0x7f
	s_delay_alu instid0(SALU_CYCLE_1) | instskip(NEXT) | instid1(SALU_CYCLE_1)
	s_cselect_b32 s8, s8, 0x7e
	v_mov_b32_e32 v4, s8
.LBB70_356:
	s_lshr_b32 s8, s2, 24
	s_delay_alu instid0(SALU_CYCLE_1)
	s_and_b32 s8, s8, 0x80
	s_delay_alu instid0(VALU_DEP_1) | instid1(SALU_CYCLE_1)
	v_or_b32_e32 v4, s8, v4
	global_store_b8 v[0:1], v4, off
.LBB70_357:
	s_mov_b32 s8, 0
.LBB70_358:
	s_delay_alu instid0(SALU_CYCLE_1)
	s_and_not1_b32 vcc_lo, exec_lo, s8
	s_cbranch_vccnz .LBB70_370
; %bb.359:
	s_and_b32 s8, s2, 0x7fffffff
	s_delay_alu instid0(SALU_CYCLE_1)
	s_cmp_lt_u32 s8, 0x47800000
	s_cbranch_scc0 .LBB70_362
; %bb.360:
	s_cmp_gt_u32 s8, 0x387fffff
	s_cbranch_scc0 .LBB70_363
; %bb.361:
	s_bfe_u32 s9, s2, 0x10015
	s_delay_alu instid0(SALU_CYCLE_1) | instskip(NEXT) | instid1(SALU_CYCLE_1)
	s_add_i32 s9, s2, s9
	s_add_i32 s9, s9, 0x80fffff
	s_delay_alu instid0(SALU_CYCLE_1)
	s_lshr_b32 s10, s9, 21
	s_mov_b32 s9, 0
	s_branch .LBB70_364
.LBB70_362:
	s_mov_b32 s9, -1
                                        ; implicit-def: $vgpr4
	s_branch .LBB70_367
.LBB70_363:
	s_mov_b32 s9, -1
                                        ; implicit-def: $sgpr10
.LBB70_364:
	v_mov_b32_e32 v4, s10
	s_and_not1_b32 vcc_lo, exec_lo, s9
	s_cbranch_vccnz .LBB70_366
; %bb.365:
	v_add_f32_e64 v4, 0x43000000, |s2|
.LBB70_366:
	s_mov_b32 s9, 0
.LBB70_367:
	s_delay_alu instid0(SALU_CYCLE_1)
	s_and_not1_b32 vcc_lo, exec_lo, s9
	s_cbranch_vccnz .LBB70_369
; %bb.368:
	s_cmp_gt_u32 s8, 0x7f800000
	s_movk_i32 s8, 0x7f
	s_delay_alu instid0(SALU_CYCLE_1) | instskip(NEXT) | instid1(SALU_CYCLE_1)
	s_cselect_b32 s8, s8, 0x7c
	v_mov_b32_e32 v4, s8
.LBB70_369:
	s_lshr_b32 s8, s2, 24
	s_delay_alu instid0(SALU_CYCLE_1)
	s_and_b32 s8, s8, 0x80
	s_delay_alu instid0(VALU_DEP_1) | instid1(SALU_CYCLE_1)
	v_or_b32_e32 v4, s8, v4
	global_store_b8 v[0:1], v4, off
.LBB70_370:
	s_mov_b32 s8, 0
	s_mov_b32 s10, -1
.LBB70_371:
	s_and_not1_b32 vcc_lo, exec_lo, s8
	s_mov_b32 s9, 0
	s_cbranch_vccnz .LBB70_378
; %bb.372:
	v_cmp_lt_i16_e32 vcc_lo, 14, v2
	s_mov_b32 s8, -1
	s_cbranch_vccz .LBB70_376
; %bb.373:
	v_cmp_eq_u16_e32 vcc_lo, 15, v2
	s_mov_b32 s0, -1
	s_cbranch_vccz .LBB70_375
; %bb.374:
	s_bfe_u32 s0, s2, 0x10010
	v_cmp_o_f32_e64 s8, s2, s2
	s_add_i32 s0, s2, s0
	s_mov_b32 s10, -1
	s_addk_i32 s0, 0x7fff
	s_delay_alu instid0(SALU_CYCLE_1) | instskip(SKIP_2) | instid1(SALU_CYCLE_1)
	s_lshr_b32 s0, s0, 16
	s_and_b32 s8, s8, exec_lo
	s_cselect_b32 s0, s0, 0x7fc0
	v_mov_b32_e32 v4, s0
	s_mov_b32 s0, 0
	global_store_b16 v[0:1], v4, off
.LBB70_375:
	s_mov_b32 s8, 0
.LBB70_376:
	s_delay_alu instid0(SALU_CYCLE_1)
	s_and_b32 vcc_lo, exec_lo, s8
	s_cbranch_vccz .LBB70_378
; %bb.377:
	v_cmp_ne_u16_e64 s0, 11, v2
	s_mov_b32 s9, -1
.LBB70_378:
	s_delay_alu instid0(VALU_DEP_1)
	s_and_b32 vcc_lo, exec_lo, s0
	s_mov_b32 s8, s1
	s_cbranch_vccnz .LBB70_450
; %bb.379:
	s_and_not1_b32 vcc_lo, exec_lo, s9
	s_cbranch_vccnz .LBB70_381
.LBB70_380:
	s_or_b32 s0, s2, s3
	s_mov_b32 s10, -1
	s_bitset0_b32 s0, 31
	s_delay_alu instid0(SALU_CYCLE_1) | instskip(SKIP_1) | instid1(SALU_CYCLE_1)
	s_cmp_lg_u32 s0, 0
	s_cselect_b32 s0, -1, 0
	v_cndmask_b32_e64 v4, 0, 1, s0
	global_store_b8 v[0:1], v4, off
.LBB70_381:
.LBB70_382:
	s_and_not1_b32 vcc_lo, exec_lo, s10
	s_cbranch_vccnz .LBB70_679
.LBB70_383:
	s_lshl_b32 s6, s6, 7
	v_cmp_gt_i16_e32 vcc_lo, 11, v2
	v_add_nc_u32_e32 v3, s6, v3
	s_delay_alu instid0(VALU_DEP_1) | instskip(SKIP_1) | instid1(VALU_DEP_1)
	v_ashrrev_i32_e32 v1, 31, v3
	v_add_co_u32 v0, s0, s4, v3
	v_add_co_ci_u32_e64 v1, s0, s5, v1, s0
	s_cbranch_vccnz .LBB70_411
; %bb.384:
	v_cmp_lt_i16_e32 vcc_lo, 25, v2
	s_mov_b32 s11, -1
	s_mov_b32 s9, 0
	s_mov_b32 s10, 0
	s_mov_b32 s0, 0
	s_cbranch_vccz .LBB70_462
; %bb.385:
	v_cmp_lt_i16_e32 vcc_lo, 28, v2
	s_cbranch_vccz .LBB70_400
; %bb.386:
	v_cmp_lt_i16_e32 vcc_lo, 43, v2
	;; [unrolled: 3-line block ×3, first 2 shown]
	s_cbranch_vccz .LBB70_390
; %bb.388:
	v_cmp_eq_u16_e32 vcc_lo, 46, v2
	s_mov_b32 s0, -1
	s_mov_b32 s11, 0
	s_cbranch_vccz .LBB70_390
; %bb.389:
	s_bfe_u32 s0, s2, 0x10010
	s_bfe_u32 s10, s3, 0x10010
	s_add_i32 s0, s2, s0
	s_add_i32 s10, s3, s10
	v_cmp_o_f32_e64 s12, s3, s3
	v_cmp_o_f32_e64 s13, s2, s2
	s_addk_i32 s0, 0x7fff
	s_addk_i32 s10, 0x7fff
	s_lshr_b32 s0, s0, 16
	s_and_b32 s10, s10, 0xffff0000
	s_and_b32 s12, s12, exec_lo
	s_cselect_b32 s10, s10, 0x7fc00000
	s_and_b32 s12, s13, exec_lo
	s_cselect_b32 s0, s0, 0x7fc0
	s_delay_alu instid0(SALU_CYCLE_1)
	s_or_b32 s0, s10, s0
	s_mov_b32 s10, -1
	v_mov_b32_e32 v4, s0
	s_mov_b32 s0, 0
	global_store_b32 v[0:1], v4, off
.LBB70_390:
	s_and_b32 vcc_lo, exec_lo, s11
	s_cbranch_vccz .LBB70_395
; %bb.391:
	v_cmp_eq_u16_e32 vcc_lo, 44, v2
	s_mov_b32 s0, -1
	s_cbranch_vccz .LBB70_395
; %bb.392:
	v_mov_b32_e32 v4, 0xff
	s_bfe_u32 s0, s2, 0x80017
	s_delay_alu instid0(SALU_CYCLE_1)
	s_cmpk_eq_i32 s0, 0xff
	s_cbranch_scc1 .LBB70_394
; %bb.393:
	s_lshr_b32 s10, s2, 23
	s_bitcmp1_b32 s2, 22
	s_cselect_b32 s11, -1, 0
	s_and_b32 s12, s2, 0x3fffff
	s_delay_alu instid0(SALU_CYCLE_1) | instskip(NEXT) | instid1(SALU_CYCLE_1)
	s_or_b32 s0, s0, s12
	s_cmp_lg_u32 s0, 0
	s_cselect_b32 s0, -1, 0
	s_delay_alu instid0(SALU_CYCLE_1) | instskip(NEXT) | instid1(SALU_CYCLE_1)
	s_and_b32 s0, s11, s0
	v_cndmask_b32_e64 v4, 0, 1, s0
	s_delay_alu instid0(VALU_DEP_1)
	v_add_nc_u32_e32 v4, s10, v4
.LBB70_394:
	s_mov_b32 s0, 0
	s_mov_b32 s10, -1
	global_store_b8 v[0:1], v4, off
.LBB70_395:
	s_mov_b32 s11, 0
.LBB70_396:
	s_delay_alu instid0(SALU_CYCLE_1)
	s_and_b32 vcc_lo, exec_lo, s11
	s_cbranch_vccz .LBB70_399
; %bb.397:
	v_cmp_eq_u16_e32 vcc_lo, 29, v2
	s_mov_b32 s0, -1
	s_cbranch_vccz .LBB70_399
; %bb.398:
	v_trunc_f32_e32 v4, s2
	s_mov_b32 s0, 0
	s_mov_b32 s10, -1
	s_delay_alu instid0(VALU_DEP_1) | instskip(NEXT) | instid1(VALU_DEP_1)
	v_mul_f32_e32 v5, 0x2f800000, v4
	v_floor_f32_e32 v5, v5
	s_delay_alu instid0(VALU_DEP_1) | instskip(SKIP_1) | instid1(VALU_DEP_2)
	v_fmamk_f32 v4, v5, 0xcf800000, v4
	v_cvt_u32_f32_e32 v5, v5
	v_cvt_u32_f32_e32 v4, v4
	global_store_b64 v[0:1], v[4:5], off
.LBB70_399:
	s_mov_b32 s11, 0
.LBB70_400:
	s_delay_alu instid0(SALU_CYCLE_1)
	s_and_b32 vcc_lo, exec_lo, s11
	s_cbranch_vccz .LBB70_461
; %bb.401:
	v_cmp_gt_i16_e32 vcc_lo, 27, v2
	s_mov_b32 s10, -1
	s_cbranch_vccnz .LBB70_407
; %bb.402:
	v_cmp_lt_i16_e32 vcc_lo, 27, v2
	s_cbranch_vccz .LBB70_404
; %bb.403:
	v_cvt_u32_f32_e32 v4, s2
	s_mov_b32 s10, 0
	global_store_b32 v[0:1], v4, off
.LBB70_404:
	s_and_not1_b32 vcc_lo, exec_lo, s10
	s_cbranch_vccnz .LBB70_406
; %bb.405:
	v_cvt_u32_f32_e32 v4, s2
	global_store_b16 v[0:1], v4, off
.LBB70_406:
	s_mov_b32 s10, 0
.LBB70_407:
	s_delay_alu instid0(SALU_CYCLE_1)
	s_and_not1_b32 vcc_lo, exec_lo, s10
	s_cbranch_vccnz .LBB70_460
; %bb.408:
	v_mov_b32_e32 v5, 0x80
	s_and_b32 s10, s2, 0x7fffffff
	s_delay_alu instid0(SALU_CYCLE_1)
	s_cmp_gt_u32 s10, 0x437fffff
	s_cbranch_scc1 .LBB70_459
; %bb.409:
	s_cmp_gt_u32 s10, 0x3bffffff
	s_cbranch_scc0 .LBB70_454
; %bb.410:
	s_bfe_u32 s10, s2, 0x10014
	s_mov_b32 s11, 0
	s_add_i32 s10, s2, s10
	s_delay_alu instid0(SALU_CYCLE_1) | instskip(NEXT) | instid1(SALU_CYCLE_1)
	s_add_i32 s10, s10, 0x487ffff
	s_lshr_b32 s12, s10, 20
	s_mov_b32 s10, -1
	s_branch .LBB70_455
.LBB70_411:
	s_mov_b32 s10, 0
	s_cbranch_execz .LBB70_611
; %bb.412:
	v_cmp_gt_i16_e32 vcc_lo, 5, v2
	s_mov_b32 s0, -1
	s_cbranch_vccnz .LBB70_433
; %bb.413:
	v_cmp_gt_i16_e32 vcc_lo, 8, v2
	s_cbranch_vccnz .LBB70_423
; %bb.414:
	v_cmp_gt_i16_e32 vcc_lo, 9, v2
	s_cbranch_vccnz .LBB70_420
; %bb.415:
	v_cmp_lt_i16_e32 vcc_lo, 9, v2
	s_cbranch_vccz .LBB70_417
; %bb.416:
	v_cvt_f64_f32_e32 v[4:5], s2
	v_cvt_f64_f32_e32 v[6:7], s3
	s_mov_b32 s0, 0
	global_store_b128 v[0:1], v[4:7], off
.LBB70_417:
	s_and_not1_b32 vcc_lo, exec_lo, s0
	s_cbranch_vccnz .LBB70_419
; %bb.418:
	v_dual_mov_b32 v4, s2 :: v_dual_mov_b32 v5, s3
	global_store_b64 v[0:1], v[4:5], off
.LBB70_419:
	s_mov_b32 s0, 0
.LBB70_420:
	s_delay_alu instid0(SALU_CYCLE_1)
	s_and_not1_b32 vcc_lo, exec_lo, s0
	s_cbranch_vccnz .LBB70_422
; %bb.421:
	v_cvt_f16_f32_e32 v4, s3
	v_cvt_f16_f32_e32 v5, s2
	s_delay_alu instid0(VALU_DEP_2) | instskip(NEXT) | instid1(VALU_DEP_2)
	v_lshlrev_b32_e32 v4, 16, v4
	v_and_b32_e32 v5, 0xffff, v5
	s_delay_alu instid0(VALU_DEP_1)
	v_or_b32_e32 v4, v4, v5
	global_store_b32 v[0:1], v4, off
.LBB70_422:
	s_mov_b32 s0, 0
.LBB70_423:
	s_delay_alu instid0(SALU_CYCLE_1)
	s_and_not1_b32 vcc_lo, exec_lo, s0
	s_cbranch_vccnz .LBB70_432
; %bb.424:
	v_cmp_gt_i16_e32 vcc_lo, 6, v2
	s_mov_b32 s0, -1
	s_cbranch_vccnz .LBB70_430
; %bb.425:
	v_cmp_lt_i16_e32 vcc_lo, 6, v2
	s_cbranch_vccz .LBB70_427
; %bb.426:
	v_cvt_f64_f32_e32 v[4:5], s2
	s_mov_b32 s0, 0
	global_store_b64 v[0:1], v[4:5], off
.LBB70_427:
	s_and_not1_b32 vcc_lo, exec_lo, s0
	s_cbranch_vccnz .LBB70_429
; %bb.428:
	v_mov_b32_e32 v4, s2
	global_store_b32 v[0:1], v4, off
.LBB70_429:
	s_mov_b32 s0, 0
.LBB70_430:
	s_delay_alu instid0(SALU_CYCLE_1)
	s_and_not1_b32 vcc_lo, exec_lo, s0
	s_cbranch_vccnz .LBB70_432
; %bb.431:
	v_cvt_f16_f32_e32 v4, s2
	global_store_b16 v[0:1], v4, off
.LBB70_432:
	s_mov_b32 s0, 0
.LBB70_433:
	s_delay_alu instid0(SALU_CYCLE_1)
	s_and_not1_b32 vcc_lo, exec_lo, s0
	s_cbranch_vccnz .LBB70_449
; %bb.434:
	v_cmp_gt_i16_e32 vcc_lo, 2, v2
	s_mov_b32 s0, -1
	s_cbranch_vccnz .LBB70_444
; %bb.435:
	v_cmp_gt_i16_e32 vcc_lo, 3, v2
	s_cbranch_vccnz .LBB70_441
; %bb.436:
	v_cmp_lt_i16_e32 vcc_lo, 3, v2
	s_cbranch_vccz .LBB70_438
; %bb.437:
	v_trunc_f32_e32 v4, s2
	s_mov_b32 s0, 0
	s_delay_alu instid0(VALU_DEP_1) | instskip(SKIP_1) | instid1(VALU_DEP_2)
	v_mul_f32_e64 v5, 0x2f800000, |v4|
	v_ashrrev_i32_e32 v7, 31, v4
	v_floor_f32_e32 v5, v5
	s_delay_alu instid0(VALU_DEP_1) | instskip(SKIP_1) | instid1(VALU_DEP_2)
	v_fma_f32 v6, 0xcf800000, v5, |v4|
	v_cvt_u32_f32_e32 v5, v5
	v_cvt_u32_f32_e32 v4, v6
	s_delay_alu instid0(VALU_DEP_2) | instskip(NEXT) | instid1(VALU_DEP_2)
	v_xor_b32_e32 v5, v5, v7
	v_xor_b32_e32 v4, v4, v7
	s_delay_alu instid0(VALU_DEP_1) | instskip(NEXT) | instid1(VALU_DEP_3)
	v_sub_co_u32 v4, vcc_lo, v4, v7
	v_sub_co_ci_u32_e32 v5, vcc_lo, v5, v7, vcc_lo
	global_store_b64 v[0:1], v[4:5], off
.LBB70_438:
	s_and_not1_b32 vcc_lo, exec_lo, s0
	s_cbranch_vccnz .LBB70_440
; %bb.439:
	v_cvt_i32_f32_e32 v4, s2
	global_store_b32 v[0:1], v4, off
.LBB70_440:
	s_mov_b32 s0, 0
.LBB70_441:
	s_delay_alu instid0(SALU_CYCLE_1)
	s_and_not1_b32 vcc_lo, exec_lo, s0
	s_cbranch_vccnz .LBB70_443
; %bb.442:
	v_cvt_i32_f32_e32 v4, s2
	global_store_b16 v[0:1], v4, off
.LBB70_443:
	s_mov_b32 s0, 0
.LBB70_444:
	s_delay_alu instid0(SALU_CYCLE_1)
	s_and_not1_b32 vcc_lo, exec_lo, s0
	s_cbranch_vccnz .LBB70_449
; %bb.445:
	v_cmp_lt_i16_e32 vcc_lo, 0, v2
	s_mov_b32 s0, -1
	s_cbranch_vccz .LBB70_447
; %bb.446:
	v_cvt_i32_f32_e32 v4, s2
	s_mov_b32 s0, 0
	global_store_b8 v[0:1], v4, off
.LBB70_447:
	s_and_not1_b32 vcc_lo, exec_lo, s0
	s_cbranch_vccnz .LBB70_449
; %bb.448:
	v_trunc_f32_e32 v4, s2
	s_delay_alu instid0(VALU_DEP_1) | instskip(NEXT) | instid1(VALU_DEP_1)
	v_mul_f32_e64 v5, 0x2f800000, |v4|
	v_floor_f32_e32 v5, v5
	s_delay_alu instid0(VALU_DEP_1) | instskip(SKIP_1) | instid1(VALU_DEP_2)
	v_fma_f32 v5, 0xcf800000, v5, |v4|
	v_ashrrev_i32_e32 v4, 31, v4
	v_cvt_u32_f32_e32 v5, v5
	s_delay_alu instid0(VALU_DEP_1) | instskip(NEXT) | instid1(VALU_DEP_1)
	v_xor_b32_e32 v5, v5, v4
	v_sub_nc_u32_e32 v4, v5, v4
	global_store_b8 v[0:1], v4, off
.LBB70_449:
	s_branch .LBB70_612
.LBB70_450:
	s_cbranch_execnz .LBB70_452
; %bb.451:
	s_or_b32 s8, s1, exec_lo
	s_cbranch_execz .LBB70_380
	s_branch .LBB70_381
.LBB70_452:
	s_trap 2
	s_sendmsg_rtn_b32 s0, sendmsg(MSG_RTN_GET_DOORBELL)
	s_mov_b32 ttmp2, m0
	s_waitcnt lgkmcnt(0)
	s_and_b32 s0, s0, 0x3ff
	s_delay_alu instid0(SALU_CYCLE_1) | instskip(NEXT) | instid1(SALU_CYCLE_1)
	s_bitset1_b32 s0, 10
	s_mov_b32 m0, s0
	s_sendmsg sendmsg(MSG_INTERRUPT)
	s_mov_b32 m0, ttmp2
.LBB70_453:                             ; =>This Inner Loop Header: Depth=1
	s_sethalt 5
	s_branch .LBB70_453
.LBB70_454:
	s_mov_b32 s11, -1
	s_mov_b32 s10, 0
                                        ; implicit-def: $sgpr12
.LBB70_455:
	v_mov_b32_e32 v4, s12
	s_and_not1_b32 vcc_lo, exec_lo, s11
                                        ; implicit-def: $sgpr11
	s_cbranch_vccnz .LBB70_457
; %bb.456:
	v_add_f32_e64 v4, 0x46000000, |s2|
	s_mov_b32 s11, 0
	s_delay_alu instid0(VALU_DEP_1) | instskip(NEXT) | instid1(VALU_DEP_1)
	v_and_b32_e32 v4, 0xff, v4
	v_cmp_ne_u32_e64 s10, 0, v4
.LBB70_457:
	v_mov_b32_e32 v5, s11
	s_delay_alu instid0(VALU_DEP_2)
	s_and_not1_b32 vcc_lo, exec_lo, s10
	s_cbranch_vccnz .LBB70_459
; %bb.458:
	s_lshr_b32 s10, s2, 24
	s_delay_alu instid0(SALU_CYCLE_1) | instskip(NEXT) | instid1(SALU_CYCLE_1)
	s_and_b32 s10, s10, 0x80
	v_or_b32_e32 v5, s10, v4
.LBB70_459:
	global_store_b8 v[0:1], v5, off
.LBB70_460:
	s_mov_b32 s10, -1
.LBB70_461:
	s_mov_b32 s11, 0
.LBB70_462:
	s_delay_alu instid0(SALU_CYCLE_1)
	s_and_b32 vcc_lo, exec_lo, s11
	s_cbranch_vccz .LBB70_607
; %bb.463:
	v_cmp_lt_i16_e32 vcc_lo, 22, v2
	s_mov_b32 s9, -1
	s_cbranch_vccz .LBB70_600
; %bb.464:
	v_cmp_gt_i16_e32 vcc_lo, 24, v2
	s_cbranch_vccnz .LBB70_587
; %bb.465:
	v_cmp_lt_i16_e32 vcc_lo, 24, v2
	s_cbranch_vccz .LBB70_574
; %bb.466:
	v_mov_b32_e32 v5, 0x80
	s_and_b32 s9, s2, 0x7fffffff
	s_delay_alu instid0(SALU_CYCLE_1)
	s_cmp_gt_u32 s9, 0x477fffff
	s_cbranch_scc1 .LBB70_573
; %bb.467:
	s_cmp_gt_u32 s9, 0x37ffffff
	s_cbranch_scc0 .LBB70_568
; %bb.468:
	s_bfe_u32 s9, s2, 0x10015
	s_mov_b32 s10, 0
	s_add_i32 s9, s2, s9
	s_delay_alu instid0(SALU_CYCLE_1) | instskip(NEXT) | instid1(SALU_CYCLE_1)
	s_add_i32 s9, s9, 0x88fffff
	s_lshr_b32 s11, s9, 21
	s_mov_b32 s9, -1
	s_branch .LBB70_569
.LBB70_469:
	s_mov_b32 s41, -1
	s_mov_b32 s40, 0
	s_mov_b32 s0, s37
.LBB70_470:
	s_and_b32 vcc_lo, exec_lo, s41
	s_cbranch_vccz .LBB70_473
; %bb.471:
	v_cmp_eq_u16_e32 vcc_lo, 44, v17
	s_mov_b32 s0, -1
	s_cbranch_vccz .LBB70_473
; %bb.472:
	v_cndmask_b32_e64 v18, v16, 0xff, s31
	s_mov_b32 s40, -1
	s_mov_b32 s0, 0
	global_store_b8 v[8:9], v18, off
.LBB70_473:
	s_mov_b32 s41, 0
.LBB70_474:
	s_delay_alu instid0(SALU_CYCLE_1)
	s_and_b32 vcc_lo, exec_lo, s41
	s_cbranch_vccz .LBB70_477
; %bb.475:
	v_cmp_eq_u16_e32 vcc_lo, 29, v17
	s_mov_b32 s0, -1
	s_cbranch_vccz .LBB70_477
; %bb.476:
	s_mov_b32 s40, -1
	s_mov_b32 s0, 0
	global_store_b64 v[8:9], v[6:7], off
.LBB70_477:
	s_mov_b32 s41, 0
.LBB70_478:
	s_delay_alu instid0(SALU_CYCLE_1)
	s_and_b32 vcc_lo, exec_lo, s41
	s_cbranch_vccz .LBB70_491
; %bb.479:
	v_cmp_gt_i16_e32 vcc_lo, 27, v17
	s_mov_b32 s40, -1
	s_cbranch_vccnz .LBB70_485
; %bb.480:
	v_cmp_lt_i16_e32 vcc_lo, 27, v17
	s_cbranch_vccz .LBB70_482
; %bb.481:
	s_mov_b32 s40, 0
	global_store_b32 v[8:9], v14, off
.LBB70_482:
	s_and_not1_b32 vcc_lo, exec_lo, s40
	s_cbranch_vccnz .LBB70_484
; %bb.483:
	global_store_b16 v[8:9], v14, off
.LBB70_484:
	s_mov_b32 s40, 0
.LBB70_485:
	s_delay_alu instid0(SALU_CYCLE_1)
	s_and_not1_b32 vcc_lo, exec_lo, s40
	s_cbranch_vccnz .LBB70_490
; %bb.486:
	s_and_not1_b32 vcc_lo, exec_lo, s29
	s_movk_i32 s40, 0x80
	s_cbranch_vccnz .LBB70_489
; %bb.487:
	s_or_b32 s40, s26, s30
	s_delay_alu instid0(SALU_CYCLE_1)
	s_and_not1_b32 vcc_lo, exec_lo, s40
	s_mov_b32 s40, 0
	s_cbranch_vccnz .LBB70_489
; %bb.488:
	s_and_b32 s40, s26, exec_lo
	s_cselect_b32 s40, s28, s25
	s_delay_alu instid0(SALU_CYCLE_1)
	s_or_b32 s40, s40, s1
.LBB70_489:
	s_delay_alu instid0(SALU_CYCLE_1)
	v_mov_b32_e32 v18, s40
	global_store_b8 v[8:9], v18, off
.LBB70_490:
	s_mov_b32 s40, -1
.LBB70_491:
	s_mov_b32 s41, 0
.LBB70_492:
	s_delay_alu instid0(SALU_CYCLE_1)
	s_and_b32 vcc_lo, exec_lo, s41
	s_cbranch_vccz .LBB70_514
; %bb.493:
	v_cmp_lt_i16_e32 vcc_lo, 22, v17
	s_mov_b32 s41, -1
	s_cbranch_vccz .LBB70_506
; %bb.494:
	v_cmp_gt_i16_e32 vcc_lo, 24, v17
	s_mov_b32 s40, -1
	s_cbranch_vccnz .LBB70_503
; %bb.495:
	v_cmp_lt_i16_e32 vcc_lo, 24, v17
	s_cbranch_vccz .LBB70_500
; %bb.496:
	s_and_not1_b32 vcc_lo, exec_lo, s22
	s_movk_i32 s40, 0x80
	s_cbranch_vccnz .LBB70_499
; %bb.497:
	s_or_b32 s40, s19, s23
	s_delay_alu instid0(SALU_CYCLE_1)
	s_and_not1_b32 vcc_lo, exec_lo, s40
	s_mov_b32 s40, 0
	s_cbranch_vccnz .LBB70_499
; %bb.498:
	s_and_b32 s40, s19, exec_lo
	s_cselect_b32 s40, s20, s18
	s_delay_alu instid0(SALU_CYCLE_1)
	s_or_b32 s40, s40, s1
.LBB70_499:
	s_delay_alu instid0(SALU_CYCLE_1)
	v_mov_b32_e32 v18, s40
	s_mov_b32 s40, 0
	global_store_b8 v[8:9], v18, off
.LBB70_500:
	s_and_b32 vcc_lo, exec_lo, s40
	s_cbranch_vccz .LBB70_502
; %bb.501:
	s_and_b32 s40, s15, exec_lo
	s_cselect_b32 s40, s27, s17
	s_and_b32 s41, s14, exec_lo
	s_cselect_b32 s40, s21, s40
	s_delay_alu instid0(SALU_CYCLE_1) | instskip(NEXT) | instid1(SALU_CYCLE_1)
	s_or_b32 s40, s40, s1
	v_mov_b32_e32 v18, s40
	global_store_b8 v[8:9], v18, off
.LBB70_502:
	s_mov_b32 s40, 0
.LBB70_503:
	s_delay_alu instid0(SALU_CYCLE_1)
	s_and_not1_b32 vcc_lo, exec_lo, s40
	s_cbranch_vccnz .LBB70_505
; %bb.504:
	s_and_b32 s40, s12, exec_lo
	s_cselect_b32 s40, s24, s13
	s_and_b32 s41, s10, exec_lo
	s_cselect_b32 s40, s16, s40
	s_delay_alu instid0(SALU_CYCLE_1) | instskip(NEXT) | instid1(SALU_CYCLE_1)
	s_or_b32 s40, s40, s1
	v_mov_b32_e32 v18, s40
	global_store_b8 v[8:9], v18, off
.LBB70_505:
	s_mov_b32 s41, 0
	s_mov_b32 s40, -1
.LBB70_506:
	s_and_not1_b32 vcc_lo, exec_lo, s41
	s_cbranch_vccnz .LBB70_514
; %bb.507:
	v_cmp_lt_i16_e32 vcc_lo, 14, v17
	s_mov_b32 s41, -1
	s_cbranch_vccz .LBB70_511
; %bb.508:
	v_cmp_eq_u16_e32 vcc_lo, 15, v17
	s_mov_b32 s0, -1
	s_cbranch_vccz .LBB70_510
; %bb.509:
	v_mov_b32_e32 v18, s11
	s_mov_b32 s40, -1
	s_mov_b32 s0, 0
	global_store_b16 v[8:9], v18, off
.LBB70_510:
	s_mov_b32 s41, 0
.LBB70_511:
	s_delay_alu instid0(SALU_CYCLE_1)
	s_and_b32 vcc_lo, exec_lo, s41
	s_cbranch_vccz .LBB70_514
; %bb.512:
	v_cmp_eq_u16_e32 vcc_lo, 11, v17
	s_mov_b32 s0, -1
	s_cbranch_vccz .LBB70_514
; %bb.513:
	s_mov_b32 s40, -1
	s_mov_b32 s0, 0
	global_store_b8 v[8:9], v13, off
.LBB70_514:
	s_mov_b32 s41, 0
.LBB70_515:
	s_delay_alu instid0(SALU_CYCLE_1)
	s_and_b32 vcc_lo, exec_lo, s41
	s_cbranch_vccz .LBB70_554
; %bb.516:
	v_cmp_gt_i16_e32 vcc_lo, 5, v17
	s_mov_b32 s40, -1
	s_cbranch_vccnz .LBB70_537
; %bb.517:
	v_cmp_gt_i16_e32 vcc_lo, 8, v17
	s_cbranch_vccnz .LBB70_527
; %bb.518:
	v_cmp_gt_i16_e32 vcc_lo, 9, v17
	s_cbranch_vccnz .LBB70_524
; %bb.519:
	v_cmp_lt_i16_e32 vcc_lo, 9, v17
	s_cbranch_vccz .LBB70_521
; %bb.520:
	s_mov_b32 s40, 0
	global_store_b128 v[8:9], v[0:3], off
.LBB70_521:
	s_and_not1_b32 vcc_lo, exec_lo, s40
	s_cbranch_vccnz .LBB70_523
; %bb.522:
	v_dual_mov_b32 v18, s2 :: v_dual_mov_b32 v19, s3
	global_store_b64 v[8:9], v[18:19], off
.LBB70_523:
	s_mov_b32 s40, 0
.LBB70_524:
	s_delay_alu instid0(SALU_CYCLE_1)
	s_and_not1_b32 vcc_lo, exec_lo, s40
	s_cbranch_vccnz .LBB70_526
; %bb.525:
	global_store_b32 v[8:9], v12, off
.LBB70_526:
	s_mov_b32 s40, 0
.LBB70_527:
	s_delay_alu instid0(SALU_CYCLE_1)
	s_and_not1_b32 vcc_lo, exec_lo, s40
	s_cbranch_vccnz .LBB70_536
; %bb.528:
	v_cmp_gt_i16_e32 vcc_lo, 6, v17
	s_mov_b32 s40, -1
	s_cbranch_vccnz .LBB70_534
; %bb.529:
	v_cmp_lt_i16_e32 vcc_lo, 6, v17
	s_cbranch_vccz .LBB70_531
; %bb.530:
	s_mov_b32 s40, 0
	global_store_b64 v[8:9], v[0:1], off
.LBB70_531:
	s_and_not1_b32 vcc_lo, exec_lo, s40
	s_cbranch_vccnz .LBB70_533
; %bb.532:
	v_mov_b32_e32 v18, s2
	global_store_b32 v[8:9], v18, off
.LBB70_533:
	s_mov_b32 s40, 0
.LBB70_534:
	s_delay_alu instid0(SALU_CYCLE_1)
	s_and_not1_b32 vcc_lo, exec_lo, s40
	s_cbranch_vccnz .LBB70_536
; %bb.535:
	global_store_b16 v[8:9], v11, off
.LBB70_536:
	s_mov_b32 s40, 0
.LBB70_537:
	s_delay_alu instid0(SALU_CYCLE_1)
	s_and_not1_b32 vcc_lo, exec_lo, s40
	s_cbranch_vccnz .LBB70_553
; %bb.538:
	v_cmp_gt_i16_e32 vcc_lo, 2, v17
	s_mov_b32 s40, -1
	s_cbranch_vccnz .LBB70_548
; %bb.539:
	v_cmp_gt_i16_e32 vcc_lo, 3, v17
	s_cbranch_vccnz .LBB70_545
; %bb.540:
	v_cmp_lt_i16_e32 vcc_lo, 3, v17
	s_cbranch_vccz .LBB70_542
; %bb.541:
	s_mov_b32 s40, 0
	global_store_b64 v[8:9], v[4:5], off
.LBB70_542:
	s_and_not1_b32 vcc_lo, exec_lo, s40
	s_cbranch_vccnz .LBB70_544
; %bb.543:
	global_store_b32 v[8:9], v10, off
.LBB70_544:
	s_mov_b32 s40, 0
.LBB70_545:
	s_delay_alu instid0(SALU_CYCLE_1)
	s_and_not1_b32 vcc_lo, exec_lo, s40
	s_cbranch_vccnz .LBB70_547
; %bb.546:
	global_store_b16 v[8:9], v10, off
.LBB70_547:
	s_mov_b32 s40, 0
.LBB70_548:
	s_delay_alu instid0(SALU_CYCLE_1)
	s_and_not1_b32 vcc_lo, exec_lo, s40
	s_cbranch_vccnz .LBB70_553
; %bb.549:
	v_cmp_lt_i16_e32 vcc_lo, 0, v17
	s_mov_b32 s40, -1
	s_cbranch_vccz .LBB70_551
; %bb.550:
	s_mov_b32 s40, 0
	global_store_b8 v[8:9], v10, off
.LBB70_551:
	s_and_not1_b32 vcc_lo, exec_lo, s40
	s_cbranch_vccnz .LBB70_553
; %bb.552:
	global_store_b8 v[8:9], v4, off
.LBB70_553:
	s_mov_b32 s40, -1
.LBB70_554:
	s_delay_alu instid0(SALU_CYCLE_1)
	s_and_not1_b32 vcc_lo, exec_lo, s40
	s_cbranch_vccnz .LBB70_556
; %bb.555:
	v_add_nc_u32_e32 v15, 0x80, v15
	s_mov_b32 s41, -1
	s_branch .LBB70_557
.LBB70_556:
	s_mov_b32 s41, 0
                                        ; implicit-def: $vgpr15
.LBB70_557:
	s_and_not1_b32 s40, s37, exec_lo
	s_and_b32 s0, s0, exec_lo
	s_or_not1_b32 s42, s41, exec_lo
	s_or_b32 s40, s40, s0
.LBB70_558:
	s_or_b32 exec_lo, exec_lo, s39
	s_mov_b32 s0, 0
	s_mov_b32 s41, 0
                                        ; implicit-def: $vgpr17
                                        ; implicit-def: $vgpr8_vgpr9
	s_and_saveexec_b32 s39, s42
	s_cbranch_execz .LBB70_881
; %bb.559:
	v_cmp_gt_i32_e32 vcc_lo, s33, v15
	s_mov_b32 s42, s40
                                        ; implicit-def: $vgpr17
                                        ; implicit-def: $vgpr8_vgpr9
	s_and_saveexec_b32 s33, vcc_lo
	s_cbranch_execz .LBB70_880
; %bb.560:
	v_mul_lo_u32 v8, v15, s6
	v_and_b32_e64 v17, 0xff, s9
	s_delay_alu instid0(VALU_DEP_1) | instskip(NEXT) | instid1(VALU_DEP_3)
	v_cmp_gt_i16_e32 vcc_lo, 11, v17
	v_ashrrev_i32_e32 v9, 31, v8
	v_add_co_u32 v8, s0, s4, v8
	s_delay_alu instid0(VALU_DEP_1)
	v_add_co_ci_u32_e64 v9, s0, s5, v9, s0
	s_cbranch_vccnz .LBB70_567
; %bb.561:
	v_cmp_lt_i16_e32 vcc_lo, 25, v17
	s_mov_b32 s41, -1
	s_mov_b32 s0, s40
	s_cbranch_vccz .LBB70_857
; %bb.562:
	v_cmp_lt_i16_e32 vcc_lo, 28, v17
	s_mov_b32 s0, s40
	s_cbranch_vccz .LBB70_844
; %bb.563:
	v_cmp_lt_i16_e32 vcc_lo, 43, v17
	;; [unrolled: 4-line block ×3, first 2 shown]
	s_mov_b32 s0, s40
	s_cbranch_vccz .LBB70_836
; %bb.565:
	v_cmp_eq_u16_e32 vcc_lo, 46, v17
	s_mov_b32 s0, -1
	s_cbranch_vccz .LBB70_835
; %bb.566:
	v_mov_b32_e32 v15, s34
	s_mov_b32 s0, 0
	s_mov_b32 s41, 0
	global_store_b32 v[8:9], v15, off
	s_branch .LBB70_836
.LBB70_567:
	s_mov_b32 s1, 0
	s_mov_b32 s25, -1
	s_mov_b32 s0, s40
	s_branch .LBB70_879
.LBB70_568:
	s_mov_b32 s10, -1
	s_mov_b32 s9, 0
                                        ; implicit-def: $sgpr11
.LBB70_569:
	v_mov_b32_e32 v4, s11
	s_and_not1_b32 vcc_lo, exec_lo, s10
                                        ; implicit-def: $sgpr10
	s_cbranch_vccnz .LBB70_571
; %bb.570:
	v_add_f32_e64 v4, 0x42800000, |s2|
	s_mov_b32 s10, 0
	s_delay_alu instid0(VALU_DEP_1) | instskip(NEXT) | instid1(VALU_DEP_1)
	v_and_b32_e32 v4, 0xff, v4
	v_cmp_ne_u32_e64 s9, 0, v4
.LBB70_571:
	v_mov_b32_e32 v5, s10
	s_delay_alu instid0(VALU_DEP_2)
	s_and_not1_b32 vcc_lo, exec_lo, s9
	s_cbranch_vccnz .LBB70_573
; %bb.572:
	s_lshr_b32 s9, s2, 24
	s_delay_alu instid0(SALU_CYCLE_1) | instskip(NEXT) | instid1(SALU_CYCLE_1)
	s_and_b32 s9, s9, 0x80
	v_or_b32_e32 v5, s9, v4
.LBB70_573:
	s_mov_b32 s9, 0
	global_store_b8 v[0:1], v5, off
.LBB70_574:
	s_and_b32 vcc_lo, exec_lo, s9
	s_cbranch_vccz .LBB70_586
; %bb.575:
	s_and_b32 s9, s2, 0x7fffffff
	s_delay_alu instid0(SALU_CYCLE_1)
	s_cmp_lt_u32 s9, 0x43f00000
	s_cbranch_scc0 .LBB70_578
; %bb.576:
	s_cmp_gt_u32 s9, 0x3c7fffff
	s_cbranch_scc0 .LBB70_579
; %bb.577:
	s_bfe_u32 s10, s2, 0x10014
	s_delay_alu instid0(SALU_CYCLE_1) | instskip(NEXT) | instid1(SALU_CYCLE_1)
	s_add_i32 s10, s2, s10
	s_add_i32 s10, s10, 0x407ffff
	s_delay_alu instid0(SALU_CYCLE_1)
	s_and_b32 s11, s10, 0xff00000
	s_lshr_b32 s10, s10, 20
	s_cmp_lg_u32 s11, 0x7f00000
	s_cselect_b32 s11, s10, 0x7e
	s_mov_b32 s10, 0
	s_branch .LBB70_580
.LBB70_578:
	s_mov_b32 s10, -1
                                        ; implicit-def: $vgpr4
	s_branch .LBB70_583
.LBB70_579:
	s_mov_b32 s10, -1
                                        ; implicit-def: $sgpr11
.LBB70_580:
	v_mov_b32_e32 v4, s11
	s_and_not1_b32 vcc_lo, exec_lo, s10
	s_cbranch_vccnz .LBB70_582
; %bb.581:
	v_add_f32_e64 v4, 0x46800000, |s2|
.LBB70_582:
	s_mov_b32 s10, 0
.LBB70_583:
	s_delay_alu instid0(SALU_CYCLE_1)
	s_and_not1_b32 vcc_lo, exec_lo, s10
	s_cbranch_vccnz .LBB70_585
; %bb.584:
	s_cmp_gt_u32 s9, 0x7f800000
	s_movk_i32 s9, 0x7f
	s_delay_alu instid0(SALU_CYCLE_1) | instskip(NEXT) | instid1(SALU_CYCLE_1)
	s_cselect_b32 s9, s9, 0x7e
	v_mov_b32_e32 v4, s9
.LBB70_585:
	s_lshr_b32 s9, s2, 24
	s_delay_alu instid0(SALU_CYCLE_1)
	s_and_b32 s9, s9, 0x80
	s_delay_alu instid0(VALU_DEP_1) | instid1(SALU_CYCLE_1)
	v_or_b32_e32 v4, s9, v4
	global_store_b8 v[0:1], v4, off
.LBB70_586:
	s_mov_b32 s9, 0
.LBB70_587:
	s_delay_alu instid0(SALU_CYCLE_1)
	s_and_not1_b32 vcc_lo, exec_lo, s9
	s_cbranch_vccnz .LBB70_599
; %bb.588:
	s_and_b32 s9, s2, 0x7fffffff
	s_delay_alu instid0(SALU_CYCLE_1)
	s_cmp_lt_u32 s9, 0x47800000
	s_cbranch_scc0 .LBB70_591
; %bb.589:
	s_cmp_gt_u32 s9, 0x387fffff
	s_cbranch_scc0 .LBB70_592
; %bb.590:
	s_bfe_u32 s10, s2, 0x10015
	s_delay_alu instid0(SALU_CYCLE_1) | instskip(NEXT) | instid1(SALU_CYCLE_1)
	s_add_i32 s10, s2, s10
	s_add_i32 s10, s10, 0x80fffff
	s_delay_alu instid0(SALU_CYCLE_1)
	s_lshr_b32 s11, s10, 21
	s_mov_b32 s10, 0
	s_branch .LBB70_593
.LBB70_591:
	s_mov_b32 s10, -1
                                        ; implicit-def: $vgpr4
	s_branch .LBB70_596
.LBB70_592:
	s_mov_b32 s10, -1
                                        ; implicit-def: $sgpr11
.LBB70_593:
	v_mov_b32_e32 v4, s11
	s_and_not1_b32 vcc_lo, exec_lo, s10
	s_cbranch_vccnz .LBB70_595
; %bb.594:
	v_add_f32_e64 v4, 0x43000000, |s2|
.LBB70_595:
	s_mov_b32 s10, 0
.LBB70_596:
	s_delay_alu instid0(SALU_CYCLE_1)
	s_and_not1_b32 vcc_lo, exec_lo, s10
	s_cbranch_vccnz .LBB70_598
; %bb.597:
	s_cmp_gt_u32 s9, 0x7f800000
	s_movk_i32 s9, 0x7f
	s_delay_alu instid0(SALU_CYCLE_1) | instskip(NEXT) | instid1(SALU_CYCLE_1)
	s_cselect_b32 s9, s9, 0x7c
	v_mov_b32_e32 v4, s9
.LBB70_598:
	s_lshr_b32 s9, s2, 24
	s_delay_alu instid0(SALU_CYCLE_1)
	s_and_b32 s9, s9, 0x80
	s_delay_alu instid0(VALU_DEP_1) | instid1(SALU_CYCLE_1)
	v_or_b32_e32 v4, s9, v4
	global_store_b8 v[0:1], v4, off
.LBB70_599:
	s_mov_b32 s9, 0
	s_mov_b32 s10, -1
.LBB70_600:
	s_and_not1_b32 vcc_lo, exec_lo, s9
	s_mov_b32 s9, 0
	s_cbranch_vccnz .LBB70_607
; %bb.601:
	v_cmp_lt_i16_e32 vcc_lo, 14, v2
	s_mov_b32 s9, -1
	s_cbranch_vccz .LBB70_605
; %bb.602:
	v_cmp_eq_u16_e32 vcc_lo, 15, v2
	s_mov_b32 s0, -1
	s_cbranch_vccz .LBB70_604
; %bb.603:
	s_bfe_u32 s0, s2, 0x10010
	v_cmp_o_f32_e64 s9, s2, s2
	s_add_i32 s0, s2, s0
	s_mov_b32 s10, -1
	s_addk_i32 s0, 0x7fff
	s_delay_alu instid0(SALU_CYCLE_1) | instskip(SKIP_2) | instid1(SALU_CYCLE_1)
	s_lshr_b32 s0, s0, 16
	s_and_b32 s9, s9, exec_lo
	s_cselect_b32 s0, s0, 0x7fc0
	v_mov_b32_e32 v4, s0
	s_mov_b32 s0, 0
	global_store_b16 v[0:1], v4, off
.LBB70_604:
	s_mov_b32 s9, 0
.LBB70_605:
	s_delay_alu instid0(SALU_CYCLE_1)
	s_and_b32 vcc_lo, exec_lo, s9
	s_mov_b32 s9, 0
	s_cbranch_vccz .LBB70_607
; %bb.606:
	v_cmp_ne_u16_e64 s0, 11, v2
	s_mov_b32 s9, -1
.LBB70_607:
	s_delay_alu instid0(VALU_DEP_1)
	s_and_b32 vcc_lo, exec_lo, s0
	s_cbranch_vccnz .LBB70_724
; %bb.608:
	s_and_not1_b32 vcc_lo, exec_lo, s9
	s_cbranch_vccnz .LBB70_610
.LBB70_609:
	s_or_b32 s0, s2, s3
	s_mov_b32 s10, -1
	s_bitset0_b32 s0, 31
	s_delay_alu instid0(SALU_CYCLE_1) | instskip(SKIP_1) | instid1(SALU_CYCLE_1)
	s_cmp_lg_u32 s0, 0
	s_cselect_b32 s0, -1, 0
	v_cndmask_b32_e64 v4, 0, 1, s0
	global_store_b8 v[0:1], v4, off
.LBB70_610:
.LBB70_611:
	s_and_not1_b32 vcc_lo, exec_lo, s10
	s_cbranch_vccnz .LBB70_679
.LBB70_612:
	v_add_nc_u32_e32 v3, s6, v3
	v_cmp_gt_i16_e32 vcc_lo, 11, v2
	s_delay_alu instid0(VALU_DEP_2) | instskip(SKIP_1) | instid1(VALU_DEP_1)
	v_ashrrev_i32_e32 v1, 31, v3
	v_add_co_u32 v0, s0, s4, v3
	v_add_co_ci_u32_e64 v1, s0, s5, v1, s0
	s_cbranch_vccnz .LBB70_640
; %bb.613:
	v_cmp_lt_i16_e32 vcc_lo, 25, v2
	s_mov_b32 s11, -1
	s_mov_b32 s9, 0
	s_mov_b32 s10, 0
	;; [unrolled: 1-line block ×3, first 2 shown]
	s_cbranch_vccz .LBB70_736
; %bb.614:
	v_cmp_lt_i16_e32 vcc_lo, 28, v2
	s_cbranch_vccz .LBB70_629
; %bb.615:
	v_cmp_lt_i16_e32 vcc_lo, 43, v2
	;; [unrolled: 3-line block ×3, first 2 shown]
	s_cbranch_vccz .LBB70_619
; %bb.617:
	v_cmp_eq_u16_e32 vcc_lo, 46, v2
	s_mov_b32 s0, -1
	s_mov_b32 s11, 0
	s_cbranch_vccz .LBB70_619
; %bb.618:
	s_bfe_u32 s0, s2, 0x10010
	s_bfe_u32 s10, s3, 0x10010
	s_add_i32 s0, s2, s0
	s_add_i32 s10, s3, s10
	v_cmp_o_f32_e64 s12, s3, s3
	v_cmp_o_f32_e64 s13, s2, s2
	s_addk_i32 s0, 0x7fff
	s_addk_i32 s10, 0x7fff
	s_lshr_b32 s0, s0, 16
	s_and_b32 s10, s10, 0xffff0000
	s_and_b32 s12, s12, exec_lo
	s_cselect_b32 s10, s10, 0x7fc00000
	s_and_b32 s12, s13, exec_lo
	s_cselect_b32 s0, s0, 0x7fc0
	s_delay_alu instid0(SALU_CYCLE_1)
	s_or_b32 s0, s10, s0
	s_mov_b32 s10, -1
	v_mov_b32_e32 v4, s0
	s_mov_b32 s0, 0
	global_store_b32 v[0:1], v4, off
.LBB70_619:
	s_and_b32 vcc_lo, exec_lo, s11
	s_cbranch_vccz .LBB70_624
; %bb.620:
	v_cmp_eq_u16_e32 vcc_lo, 44, v2
	s_mov_b32 s0, -1
	s_cbranch_vccz .LBB70_624
; %bb.621:
	v_mov_b32_e32 v4, 0xff
	s_bfe_u32 s0, s2, 0x80017
	s_delay_alu instid0(SALU_CYCLE_1)
	s_cmpk_eq_i32 s0, 0xff
	s_cbranch_scc1 .LBB70_623
; %bb.622:
	s_lshr_b32 s10, s2, 23
	s_bitcmp1_b32 s2, 22
	s_cselect_b32 s11, -1, 0
	s_and_b32 s12, s2, 0x3fffff
	s_delay_alu instid0(SALU_CYCLE_1) | instskip(NEXT) | instid1(SALU_CYCLE_1)
	s_or_b32 s0, s0, s12
	s_cmp_lg_u32 s0, 0
	s_cselect_b32 s0, -1, 0
	s_delay_alu instid0(SALU_CYCLE_1) | instskip(NEXT) | instid1(SALU_CYCLE_1)
	s_and_b32 s0, s11, s0
	v_cndmask_b32_e64 v4, 0, 1, s0
	s_delay_alu instid0(VALU_DEP_1)
	v_add_nc_u32_e32 v4, s10, v4
.LBB70_623:
	s_mov_b32 s0, 0
	s_mov_b32 s10, -1
	global_store_b8 v[0:1], v4, off
.LBB70_624:
	s_mov_b32 s11, 0
.LBB70_625:
	s_delay_alu instid0(SALU_CYCLE_1)
	s_and_b32 vcc_lo, exec_lo, s11
	s_cbranch_vccz .LBB70_628
; %bb.626:
	v_cmp_eq_u16_e32 vcc_lo, 29, v2
	s_mov_b32 s0, -1
	s_cbranch_vccz .LBB70_628
; %bb.627:
	v_trunc_f32_e32 v4, s2
	s_mov_b32 s0, 0
	s_mov_b32 s10, -1
	s_delay_alu instid0(VALU_DEP_1) | instskip(NEXT) | instid1(VALU_DEP_1)
	v_mul_f32_e32 v5, 0x2f800000, v4
	v_floor_f32_e32 v5, v5
	s_delay_alu instid0(VALU_DEP_1) | instskip(SKIP_1) | instid1(VALU_DEP_2)
	v_fmamk_f32 v4, v5, 0xcf800000, v4
	v_cvt_u32_f32_e32 v5, v5
	v_cvt_u32_f32_e32 v4, v4
	global_store_b64 v[0:1], v[4:5], off
.LBB70_628:
	s_mov_b32 s11, 0
.LBB70_629:
	s_delay_alu instid0(SALU_CYCLE_1)
	s_and_b32 vcc_lo, exec_lo, s11
	s_cbranch_vccz .LBB70_735
; %bb.630:
	v_cmp_gt_i16_e32 vcc_lo, 27, v2
	s_mov_b32 s10, -1
	s_cbranch_vccnz .LBB70_636
; %bb.631:
	v_cmp_lt_i16_e32 vcc_lo, 27, v2
	s_cbranch_vccz .LBB70_633
; %bb.632:
	v_cvt_u32_f32_e32 v4, s2
	s_mov_b32 s10, 0
	global_store_b32 v[0:1], v4, off
.LBB70_633:
	s_and_not1_b32 vcc_lo, exec_lo, s10
	s_cbranch_vccnz .LBB70_635
; %bb.634:
	v_cvt_u32_f32_e32 v4, s2
	global_store_b16 v[0:1], v4, off
.LBB70_635:
	s_mov_b32 s10, 0
.LBB70_636:
	s_delay_alu instid0(SALU_CYCLE_1)
	s_and_not1_b32 vcc_lo, exec_lo, s10
	s_cbranch_vccnz .LBB70_734
; %bb.637:
	v_mov_b32_e32 v5, 0x80
	s_and_b32 s10, s2, 0x7fffffff
	s_delay_alu instid0(SALU_CYCLE_1)
	s_cmp_gt_u32 s10, 0x437fffff
	s_cbranch_scc1 .LBB70_733
; %bb.638:
	s_cmp_gt_u32 s10, 0x3bffffff
	s_cbranch_scc0 .LBB70_728
; %bb.639:
	s_bfe_u32 s10, s2, 0x10014
	s_mov_b32 s11, 0
	s_add_i32 s10, s2, s10
	s_delay_alu instid0(SALU_CYCLE_1) | instskip(NEXT) | instid1(SALU_CYCLE_1)
	s_add_i32 s10, s10, 0x487ffff
	s_lshr_b32 s12, s10, 20
	s_mov_b32 s10, -1
	s_branch .LBB70_729
.LBB70_640:
	s_mov_b32 s10, 0
	s_cbranch_execz .LBB70_786
; %bb.641:
	v_cmp_gt_i16_e32 vcc_lo, 5, v2
	s_mov_b32 s0, -1
	s_cbranch_vccnz .LBB70_662
; %bb.642:
	v_cmp_gt_i16_e32 vcc_lo, 8, v2
	s_cbranch_vccnz .LBB70_652
; %bb.643:
	v_cmp_gt_i16_e32 vcc_lo, 9, v2
	s_cbranch_vccnz .LBB70_649
; %bb.644:
	v_cmp_lt_i16_e32 vcc_lo, 9, v2
	s_cbranch_vccz .LBB70_646
; %bb.645:
	v_cvt_f64_f32_e32 v[4:5], s2
	v_cvt_f64_f32_e32 v[6:7], s3
	s_mov_b32 s0, 0
	global_store_b128 v[0:1], v[4:7], off
.LBB70_646:
	s_and_not1_b32 vcc_lo, exec_lo, s0
	s_cbranch_vccnz .LBB70_648
; %bb.647:
	v_dual_mov_b32 v4, s2 :: v_dual_mov_b32 v5, s3
	global_store_b64 v[0:1], v[4:5], off
.LBB70_648:
	s_mov_b32 s0, 0
.LBB70_649:
	s_delay_alu instid0(SALU_CYCLE_1)
	s_and_not1_b32 vcc_lo, exec_lo, s0
	s_cbranch_vccnz .LBB70_651
; %bb.650:
	v_cvt_f16_f32_e32 v4, s3
	v_cvt_f16_f32_e32 v5, s2
	s_delay_alu instid0(VALU_DEP_2) | instskip(NEXT) | instid1(VALU_DEP_2)
	v_lshlrev_b32_e32 v4, 16, v4
	v_and_b32_e32 v5, 0xffff, v5
	s_delay_alu instid0(VALU_DEP_1)
	v_or_b32_e32 v4, v4, v5
	global_store_b32 v[0:1], v4, off
.LBB70_651:
	s_mov_b32 s0, 0
.LBB70_652:
	s_delay_alu instid0(SALU_CYCLE_1)
	s_and_not1_b32 vcc_lo, exec_lo, s0
	s_cbranch_vccnz .LBB70_661
; %bb.653:
	v_cmp_gt_i16_e32 vcc_lo, 6, v2
	s_mov_b32 s0, -1
	s_cbranch_vccnz .LBB70_659
; %bb.654:
	v_cmp_lt_i16_e32 vcc_lo, 6, v2
	s_cbranch_vccz .LBB70_656
; %bb.655:
	v_cvt_f64_f32_e32 v[4:5], s2
	s_mov_b32 s0, 0
	global_store_b64 v[0:1], v[4:5], off
.LBB70_656:
	s_and_not1_b32 vcc_lo, exec_lo, s0
	s_cbranch_vccnz .LBB70_658
; %bb.657:
	v_mov_b32_e32 v4, s2
	global_store_b32 v[0:1], v4, off
.LBB70_658:
	s_mov_b32 s0, 0
.LBB70_659:
	s_delay_alu instid0(SALU_CYCLE_1)
	s_and_not1_b32 vcc_lo, exec_lo, s0
	s_cbranch_vccnz .LBB70_661
; %bb.660:
	v_cvt_f16_f32_e32 v4, s2
	global_store_b16 v[0:1], v4, off
.LBB70_661:
	s_mov_b32 s0, 0
.LBB70_662:
	s_delay_alu instid0(SALU_CYCLE_1)
	s_and_not1_b32 vcc_lo, exec_lo, s0
	s_cbranch_vccnz .LBB70_678
; %bb.663:
	v_cmp_gt_i16_e32 vcc_lo, 2, v2
	s_mov_b32 s0, -1
	s_cbranch_vccnz .LBB70_673
; %bb.664:
	v_cmp_gt_i16_e32 vcc_lo, 3, v2
	s_cbranch_vccnz .LBB70_670
; %bb.665:
	v_cmp_lt_i16_e32 vcc_lo, 3, v2
	s_cbranch_vccz .LBB70_667
; %bb.666:
	v_trunc_f32_e32 v4, s2
	s_mov_b32 s0, 0
	s_delay_alu instid0(VALU_DEP_1) | instskip(SKIP_1) | instid1(VALU_DEP_2)
	v_mul_f32_e64 v5, 0x2f800000, |v4|
	v_ashrrev_i32_e32 v7, 31, v4
	v_floor_f32_e32 v5, v5
	s_delay_alu instid0(VALU_DEP_1) | instskip(SKIP_1) | instid1(VALU_DEP_2)
	v_fma_f32 v6, 0xcf800000, v5, |v4|
	v_cvt_u32_f32_e32 v5, v5
	v_cvt_u32_f32_e32 v4, v6
	s_delay_alu instid0(VALU_DEP_2) | instskip(NEXT) | instid1(VALU_DEP_2)
	v_xor_b32_e32 v5, v5, v7
	v_xor_b32_e32 v4, v4, v7
	s_delay_alu instid0(VALU_DEP_1) | instskip(NEXT) | instid1(VALU_DEP_3)
	v_sub_co_u32 v4, vcc_lo, v4, v7
	v_sub_co_ci_u32_e32 v5, vcc_lo, v5, v7, vcc_lo
	global_store_b64 v[0:1], v[4:5], off
.LBB70_667:
	s_and_not1_b32 vcc_lo, exec_lo, s0
	s_cbranch_vccnz .LBB70_669
; %bb.668:
	v_cvt_i32_f32_e32 v4, s2
	global_store_b32 v[0:1], v4, off
.LBB70_669:
	s_mov_b32 s0, 0
.LBB70_670:
	s_delay_alu instid0(SALU_CYCLE_1)
	s_and_not1_b32 vcc_lo, exec_lo, s0
	s_cbranch_vccnz .LBB70_672
; %bb.671:
	v_cvt_i32_f32_e32 v4, s2
	global_store_b16 v[0:1], v4, off
.LBB70_672:
	s_mov_b32 s0, 0
.LBB70_673:
	s_delay_alu instid0(SALU_CYCLE_1)
	s_and_not1_b32 vcc_lo, exec_lo, s0
	s_cbranch_vccnz .LBB70_678
; %bb.674:
	v_cmp_lt_i16_e32 vcc_lo, 0, v2
	s_mov_b32 s0, -1
	s_cbranch_vccz .LBB70_676
; %bb.675:
	v_cvt_i32_f32_e32 v4, s2
	s_mov_b32 s0, 0
	global_store_b8 v[0:1], v4, off
.LBB70_676:
	s_and_not1_b32 vcc_lo, exec_lo, s0
	s_cbranch_vccnz .LBB70_678
; %bb.677:
	v_trunc_f32_e32 v4, s2
	s_delay_alu instid0(VALU_DEP_1) | instskip(NEXT) | instid1(VALU_DEP_1)
	v_mul_f32_e64 v5, 0x2f800000, |v4|
	v_floor_f32_e32 v5, v5
	s_delay_alu instid0(VALU_DEP_1) | instskip(SKIP_1) | instid1(VALU_DEP_2)
	v_fma_f32 v5, 0xcf800000, v5, |v4|
	v_ashrrev_i32_e32 v4, 31, v4
	v_cvt_u32_f32_e32 v5, v5
	s_delay_alu instid0(VALU_DEP_1) | instskip(NEXT) | instid1(VALU_DEP_1)
	v_xor_b32_e32 v5, v5, v4
	v_sub_nc_u32_e32 v4, v5, v4
	global_store_b8 v[0:1], v4, off
.LBB70_678:
	s_branch .LBB70_787
.LBB70_679:
	s_mov_b32 s0, 0
	s_mov_b32 s4, 0
                                        ; implicit-def: $vgpr2
                                        ; implicit-def: $vgpr0_vgpr1
.LBB70_680:
	s_and_not1_b32 s1, s1, exec_lo
	s_and_b32 s5, s8, exec_lo
	s_and_b32 s0, s0, exec_lo
	;; [unrolled: 1-line block ×3, first 2 shown]
	s_or_b32 s1, s1, s5
.LBB70_681:
	s_or_b32 exec_lo, exec_lo, s7
	s_and_saveexec_b32 s4, s1
	s_cbranch_execz .LBB70_684
; %bb.682:
	; divergent unreachable
	s_or_b32 exec_lo, exec_lo, s4
	s_and_saveexec_b32 s1, s8
	s_delay_alu instid0(SALU_CYCLE_1)
	s_xor_b32 s1, exec_lo, s1
	s_cbranch_execnz .LBB70_685
.LBB70_683:
	s_or_b32 exec_lo, exec_lo, s1
	s_and_saveexec_b32 s1, s0
	s_cbranch_execnz .LBB70_686
	s_branch .LBB70_723
.LBB70_684:
	s_or_b32 exec_lo, exec_lo, s4
	s_and_saveexec_b32 s1, s8
	s_delay_alu instid0(SALU_CYCLE_1)
	s_xor_b32 s1, exec_lo, s1
	s_cbranch_execz .LBB70_683
.LBB70_685:
	s_or_b32 s4, s2, s3
	s_delay_alu instid0(SALU_CYCLE_1) | instskip(NEXT) | instid1(SALU_CYCLE_1)
	s_bitset0_b32 s4, 31
	s_cmp_lg_u32 s4, 0
	s_cselect_b32 s4, -1, 0
	s_delay_alu instid0(SALU_CYCLE_1)
	v_cndmask_b32_e64 v3, 0, 1, s4
	global_store_b8 v[0:1], v3, off
	s_or_b32 exec_lo, exec_lo, s1
	s_and_saveexec_b32 s1, s0
	s_cbranch_execz .LBB70_723
.LBB70_686:
	v_cmp_gt_i16_e32 vcc_lo, 5, v2
	s_mov_b32 s0, -1
	s_cbranch_vccnz .LBB70_707
; %bb.687:
	v_cmp_gt_i16_e32 vcc_lo, 8, v2
	s_cbranch_vccnz .LBB70_697
; %bb.688:
	v_cmp_gt_i16_e32 vcc_lo, 9, v2
	s_cbranch_vccnz .LBB70_694
; %bb.689:
	v_cmp_lt_i16_e32 vcc_lo, 9, v2
	s_cbranch_vccz .LBB70_691
; %bb.690:
	v_cvt_f64_f32_e32 v[3:4], s2
	v_cvt_f64_f32_e32 v[5:6], s3
	s_mov_b32 s0, 0
	global_store_b128 v[0:1], v[3:6], off
.LBB70_691:
	s_and_not1_b32 vcc_lo, exec_lo, s0
	s_cbranch_vccnz .LBB70_693
; %bb.692:
	v_dual_mov_b32 v3, s2 :: v_dual_mov_b32 v4, s3
	global_store_b64 v[0:1], v[3:4], off
.LBB70_693:
	s_mov_b32 s0, 0
.LBB70_694:
	s_delay_alu instid0(SALU_CYCLE_1)
	s_and_not1_b32 vcc_lo, exec_lo, s0
	s_cbranch_vccnz .LBB70_696
; %bb.695:
	v_cvt_f16_f32_e32 v3, s3
	v_cvt_f16_f32_e32 v4, s2
	s_delay_alu instid0(VALU_DEP_2) | instskip(NEXT) | instid1(VALU_DEP_2)
	v_lshlrev_b32_e32 v3, 16, v3
	v_and_b32_e32 v4, 0xffff, v4
	s_delay_alu instid0(VALU_DEP_1)
	v_or_b32_e32 v3, v3, v4
	global_store_b32 v[0:1], v3, off
.LBB70_696:
	s_mov_b32 s0, 0
.LBB70_697:
	s_delay_alu instid0(SALU_CYCLE_1)
	s_and_not1_b32 vcc_lo, exec_lo, s0
	s_cbranch_vccnz .LBB70_706
; %bb.698:
	v_cmp_gt_i16_e32 vcc_lo, 6, v2
	s_mov_b32 s0, -1
	s_cbranch_vccnz .LBB70_704
; %bb.699:
	v_cmp_lt_i16_e32 vcc_lo, 6, v2
	s_cbranch_vccz .LBB70_701
; %bb.700:
	v_cvt_f64_f32_e32 v[3:4], s2
	s_mov_b32 s0, 0
	global_store_b64 v[0:1], v[3:4], off
.LBB70_701:
	s_and_not1_b32 vcc_lo, exec_lo, s0
	s_cbranch_vccnz .LBB70_703
; %bb.702:
	v_mov_b32_e32 v3, s2
	global_store_b32 v[0:1], v3, off
.LBB70_703:
	s_mov_b32 s0, 0
.LBB70_704:
	s_delay_alu instid0(SALU_CYCLE_1)
	s_and_not1_b32 vcc_lo, exec_lo, s0
	s_cbranch_vccnz .LBB70_706
; %bb.705:
	v_cvt_f16_f32_e32 v3, s2
	global_store_b16 v[0:1], v3, off
.LBB70_706:
	s_mov_b32 s0, 0
.LBB70_707:
	s_delay_alu instid0(SALU_CYCLE_1)
	s_and_not1_b32 vcc_lo, exec_lo, s0
	s_cbranch_vccnz .LBB70_723
; %bb.708:
	v_cmp_gt_i16_e32 vcc_lo, 2, v2
	s_mov_b32 s0, -1
	s_cbranch_vccnz .LBB70_718
; %bb.709:
	v_cmp_gt_i16_e32 vcc_lo, 3, v2
	s_cbranch_vccnz .LBB70_715
; %bb.710:
	v_cmp_lt_i16_e32 vcc_lo, 3, v2
	s_cbranch_vccz .LBB70_712
; %bb.711:
	v_trunc_f32_e32 v3, s2
	s_mov_b32 s0, 0
	s_delay_alu instid0(VALU_DEP_1) | instskip(SKIP_1) | instid1(VALU_DEP_2)
	v_mul_f32_e64 v4, 0x2f800000, |v3|
	v_ashrrev_i32_e32 v6, 31, v3
	v_floor_f32_e32 v4, v4
	s_delay_alu instid0(VALU_DEP_1) | instskip(SKIP_1) | instid1(VALU_DEP_2)
	v_fma_f32 v5, 0xcf800000, v4, |v3|
	v_cvt_u32_f32_e32 v4, v4
	v_cvt_u32_f32_e32 v3, v5
	s_delay_alu instid0(VALU_DEP_2) | instskip(NEXT) | instid1(VALU_DEP_2)
	v_xor_b32_e32 v4, v4, v6
	v_xor_b32_e32 v3, v3, v6
	s_delay_alu instid0(VALU_DEP_1) | instskip(NEXT) | instid1(VALU_DEP_3)
	v_sub_co_u32 v3, vcc_lo, v3, v6
	v_sub_co_ci_u32_e32 v4, vcc_lo, v4, v6, vcc_lo
	global_store_b64 v[0:1], v[3:4], off
.LBB70_712:
	s_and_not1_b32 vcc_lo, exec_lo, s0
	s_cbranch_vccnz .LBB70_714
; %bb.713:
	v_cvt_i32_f32_e32 v3, s2
	global_store_b32 v[0:1], v3, off
.LBB70_714:
	s_mov_b32 s0, 0
.LBB70_715:
	s_delay_alu instid0(SALU_CYCLE_1)
	s_and_not1_b32 vcc_lo, exec_lo, s0
	s_cbranch_vccnz .LBB70_717
; %bb.716:
	v_cvt_i32_f32_e32 v3, s2
	global_store_b16 v[0:1], v3, off
.LBB70_717:
	s_mov_b32 s0, 0
.LBB70_718:
	s_delay_alu instid0(SALU_CYCLE_1)
	s_and_not1_b32 vcc_lo, exec_lo, s0
	s_cbranch_vccnz .LBB70_723
; %bb.719:
	v_cmp_lt_i16_e32 vcc_lo, 0, v2
	s_mov_b32 s0, -1
	s_cbranch_vccz .LBB70_721
; %bb.720:
	v_cvt_i32_f32_e32 v2, s2
	s_mov_b32 s0, 0
	global_store_b8 v[0:1], v2, off
.LBB70_721:
	s_and_not1_b32 vcc_lo, exec_lo, s0
	s_cbranch_vccnz .LBB70_723
; %bb.722:
	v_trunc_f32_e32 v2, s2
	s_delay_alu instid0(VALU_DEP_1) | instskip(NEXT) | instid1(VALU_DEP_1)
	v_mul_f32_e64 v3, 0x2f800000, |v2|
	v_floor_f32_e32 v3, v3
	s_delay_alu instid0(VALU_DEP_1) | instskip(SKIP_1) | instid1(VALU_DEP_2)
	v_fma_f32 v3, 0xcf800000, v3, |v2|
	v_ashrrev_i32_e32 v2, 31, v2
	v_cvt_u32_f32_e32 v3, v3
	s_delay_alu instid0(VALU_DEP_1) | instskip(NEXT) | instid1(VALU_DEP_1)
	v_xor_b32_e32 v3, v3, v2
	v_sub_nc_u32_e32 v2, v3, v2
	global_store_b8 v[0:1], v2, off
	s_nop 0
	s_sendmsg sendmsg(MSG_DEALLOC_VGPRS)
	s_endpgm
.LBB70_723:
	s_nop 0
	s_sendmsg sendmsg(MSG_DEALLOC_VGPRS)
	s_endpgm
.LBB70_724:
	s_cbranch_execnz .LBB70_726
; %bb.725:
	s_or_b32 s8, s8, exec_lo
	s_cbranch_execz .LBB70_609
	s_branch .LBB70_610
.LBB70_726:
	s_trap 2
	s_sendmsg_rtn_b32 s0, sendmsg(MSG_RTN_GET_DOORBELL)
	s_mov_b32 ttmp2, m0
	s_waitcnt lgkmcnt(0)
	s_and_b32 s0, s0, 0x3ff
	s_delay_alu instid0(SALU_CYCLE_1) | instskip(NEXT) | instid1(SALU_CYCLE_1)
	s_bitset1_b32 s0, 10
	s_mov_b32 m0, s0
	s_sendmsg sendmsg(MSG_INTERRUPT)
	s_mov_b32 m0, ttmp2
.LBB70_727:                             ; =>This Inner Loop Header: Depth=1
	s_sethalt 5
	s_branch .LBB70_727
.LBB70_728:
	s_mov_b32 s11, -1
	s_mov_b32 s10, 0
                                        ; implicit-def: $sgpr12
.LBB70_729:
	v_mov_b32_e32 v4, s12
	s_and_not1_b32 vcc_lo, exec_lo, s11
                                        ; implicit-def: $sgpr11
	s_cbranch_vccnz .LBB70_731
; %bb.730:
	v_add_f32_e64 v4, 0x46000000, |s2|
	s_mov_b32 s11, 0
	s_delay_alu instid0(VALU_DEP_1) | instskip(NEXT) | instid1(VALU_DEP_1)
	v_and_b32_e32 v4, 0xff, v4
	v_cmp_ne_u32_e64 s10, 0, v4
.LBB70_731:
	v_mov_b32_e32 v5, s11
	s_delay_alu instid0(VALU_DEP_2)
	s_and_not1_b32 vcc_lo, exec_lo, s10
	s_cbranch_vccnz .LBB70_733
; %bb.732:
	s_lshr_b32 s10, s2, 24
	s_delay_alu instid0(SALU_CYCLE_1) | instskip(NEXT) | instid1(SALU_CYCLE_1)
	s_and_b32 s10, s10, 0x80
	v_or_b32_e32 v5, s10, v4
.LBB70_733:
	global_store_b8 v[0:1], v5, off
.LBB70_734:
	s_mov_b32 s10, -1
.LBB70_735:
	s_mov_b32 s11, 0
.LBB70_736:
	s_delay_alu instid0(SALU_CYCLE_1)
	s_and_b32 vcc_lo, exec_lo, s11
	s_cbranch_vccz .LBB70_782
; %bb.737:
	v_cmp_lt_i16_e32 vcc_lo, 22, v2
	s_mov_b32 s9, -1
	s_cbranch_vccz .LBB70_775
; %bb.738:
	v_cmp_gt_i16_e32 vcc_lo, 24, v2
	s_cbranch_vccnz .LBB70_762
; %bb.739:
	v_cmp_lt_i16_e32 vcc_lo, 24, v2
	s_cbranch_vccz .LBB70_749
; %bb.740:
	v_mov_b32_e32 v5, 0x80
	s_and_b32 s9, s2, 0x7fffffff
	s_delay_alu instid0(SALU_CYCLE_1)
	s_cmp_gt_u32 s9, 0x477fffff
	s_cbranch_scc1 .LBB70_748
; %bb.741:
	s_cmp_gt_u32 s9, 0x37ffffff
	s_cbranch_scc0 .LBB70_743
; %bb.742:
	s_bfe_u32 s9, s2, 0x10015
	s_mov_b32 s10, 0
	s_add_i32 s9, s2, s9
	s_delay_alu instid0(SALU_CYCLE_1) | instskip(NEXT) | instid1(SALU_CYCLE_1)
	s_add_i32 s9, s9, 0x88fffff
	s_lshr_b32 s11, s9, 21
	s_mov_b32 s9, -1
	s_branch .LBB70_744
.LBB70_743:
	s_mov_b32 s10, -1
	s_mov_b32 s9, 0
                                        ; implicit-def: $sgpr11
.LBB70_744:
	v_mov_b32_e32 v4, s11
	s_and_not1_b32 vcc_lo, exec_lo, s10
                                        ; implicit-def: $sgpr10
	s_cbranch_vccnz .LBB70_746
; %bb.745:
	v_add_f32_e64 v4, 0x42800000, |s2|
	s_mov_b32 s10, 0
	s_delay_alu instid0(VALU_DEP_1) | instskip(NEXT) | instid1(VALU_DEP_1)
	v_and_b32_e32 v4, 0xff, v4
	v_cmp_ne_u32_e64 s9, 0, v4
.LBB70_746:
	v_mov_b32_e32 v5, s10
	s_delay_alu instid0(VALU_DEP_2)
	s_and_not1_b32 vcc_lo, exec_lo, s9
	s_cbranch_vccnz .LBB70_748
; %bb.747:
	s_lshr_b32 s9, s2, 24
	s_delay_alu instid0(SALU_CYCLE_1) | instskip(NEXT) | instid1(SALU_CYCLE_1)
	s_and_b32 s9, s9, 0x80
	v_or_b32_e32 v5, s9, v4
.LBB70_748:
	s_mov_b32 s9, 0
	global_store_b8 v[0:1], v5, off
.LBB70_749:
	s_and_b32 vcc_lo, exec_lo, s9
	s_cbranch_vccz .LBB70_761
; %bb.750:
	s_and_b32 s9, s2, 0x7fffffff
	s_delay_alu instid0(SALU_CYCLE_1)
	s_cmp_lt_u32 s9, 0x43f00000
	s_cbranch_scc0 .LBB70_753
; %bb.751:
	s_cmp_gt_u32 s9, 0x3c7fffff
	s_cbranch_scc0 .LBB70_754
; %bb.752:
	s_bfe_u32 s10, s2, 0x10014
	s_delay_alu instid0(SALU_CYCLE_1) | instskip(NEXT) | instid1(SALU_CYCLE_1)
	s_add_i32 s10, s2, s10
	s_add_i32 s10, s10, 0x407ffff
	s_delay_alu instid0(SALU_CYCLE_1)
	s_and_b32 s11, s10, 0xff00000
	s_lshr_b32 s10, s10, 20
	s_cmp_lg_u32 s11, 0x7f00000
	s_cselect_b32 s11, s10, 0x7e
	s_mov_b32 s10, 0
	s_branch .LBB70_755
.LBB70_753:
	s_mov_b32 s10, -1
                                        ; implicit-def: $vgpr4
	s_branch .LBB70_758
.LBB70_754:
	s_mov_b32 s10, -1
                                        ; implicit-def: $sgpr11
.LBB70_755:
	v_mov_b32_e32 v4, s11
	s_and_not1_b32 vcc_lo, exec_lo, s10
	s_cbranch_vccnz .LBB70_757
; %bb.756:
	v_add_f32_e64 v4, 0x46800000, |s2|
.LBB70_757:
	s_mov_b32 s10, 0
.LBB70_758:
	s_delay_alu instid0(SALU_CYCLE_1)
	s_and_not1_b32 vcc_lo, exec_lo, s10
	s_cbranch_vccnz .LBB70_760
; %bb.759:
	s_cmp_gt_u32 s9, 0x7f800000
	s_movk_i32 s9, 0x7f
	s_delay_alu instid0(SALU_CYCLE_1) | instskip(NEXT) | instid1(SALU_CYCLE_1)
	s_cselect_b32 s9, s9, 0x7e
	v_mov_b32_e32 v4, s9
.LBB70_760:
	s_lshr_b32 s9, s2, 24
	s_delay_alu instid0(SALU_CYCLE_1)
	s_and_b32 s9, s9, 0x80
	s_delay_alu instid0(VALU_DEP_1) | instid1(SALU_CYCLE_1)
	v_or_b32_e32 v4, s9, v4
	global_store_b8 v[0:1], v4, off
.LBB70_761:
	s_mov_b32 s9, 0
.LBB70_762:
	s_delay_alu instid0(SALU_CYCLE_1)
	s_and_not1_b32 vcc_lo, exec_lo, s9
	s_cbranch_vccnz .LBB70_774
; %bb.763:
	s_and_b32 s9, s2, 0x7fffffff
	s_delay_alu instid0(SALU_CYCLE_1)
	s_cmp_lt_u32 s9, 0x47800000
	s_cbranch_scc0 .LBB70_766
; %bb.764:
	s_cmp_gt_u32 s9, 0x387fffff
	s_cbranch_scc0 .LBB70_767
; %bb.765:
	s_bfe_u32 s10, s2, 0x10015
	s_delay_alu instid0(SALU_CYCLE_1) | instskip(NEXT) | instid1(SALU_CYCLE_1)
	s_add_i32 s10, s2, s10
	s_add_i32 s10, s10, 0x80fffff
	s_delay_alu instid0(SALU_CYCLE_1)
	s_lshr_b32 s11, s10, 21
	s_mov_b32 s10, 0
	s_branch .LBB70_768
.LBB70_766:
	s_mov_b32 s10, -1
                                        ; implicit-def: $vgpr4
	s_branch .LBB70_771
.LBB70_767:
	s_mov_b32 s10, -1
                                        ; implicit-def: $sgpr11
.LBB70_768:
	v_mov_b32_e32 v4, s11
	s_and_not1_b32 vcc_lo, exec_lo, s10
	s_cbranch_vccnz .LBB70_770
; %bb.769:
	v_add_f32_e64 v4, 0x43000000, |s2|
.LBB70_770:
	s_mov_b32 s10, 0
.LBB70_771:
	s_delay_alu instid0(SALU_CYCLE_1)
	s_and_not1_b32 vcc_lo, exec_lo, s10
	s_cbranch_vccnz .LBB70_773
; %bb.772:
	s_cmp_gt_u32 s9, 0x7f800000
	s_movk_i32 s9, 0x7f
	s_delay_alu instid0(SALU_CYCLE_1) | instskip(NEXT) | instid1(SALU_CYCLE_1)
	s_cselect_b32 s9, s9, 0x7c
	v_mov_b32_e32 v4, s9
.LBB70_773:
	s_lshr_b32 s9, s2, 24
	s_delay_alu instid0(SALU_CYCLE_1)
	s_and_b32 s9, s9, 0x80
	s_delay_alu instid0(VALU_DEP_1) | instid1(SALU_CYCLE_1)
	v_or_b32_e32 v4, s9, v4
	global_store_b8 v[0:1], v4, off
.LBB70_774:
	s_mov_b32 s9, 0
	s_mov_b32 s10, -1
.LBB70_775:
	s_and_not1_b32 vcc_lo, exec_lo, s9
	s_mov_b32 s9, 0
	s_cbranch_vccnz .LBB70_782
; %bb.776:
	v_cmp_lt_i16_e32 vcc_lo, 14, v2
	s_mov_b32 s9, -1
	s_cbranch_vccz .LBB70_780
; %bb.777:
	v_cmp_eq_u16_e32 vcc_lo, 15, v2
	s_mov_b32 s0, -1
	s_cbranch_vccz .LBB70_779
; %bb.778:
	s_bfe_u32 s0, s2, 0x10010
	v_cmp_o_f32_e64 s9, s2, s2
	s_add_i32 s0, s2, s0
	s_mov_b32 s10, -1
	s_addk_i32 s0, 0x7fff
	s_delay_alu instid0(SALU_CYCLE_1) | instskip(SKIP_2) | instid1(SALU_CYCLE_1)
	s_lshr_b32 s0, s0, 16
	s_and_b32 s9, s9, exec_lo
	s_cselect_b32 s0, s0, 0x7fc0
	v_mov_b32_e32 v4, s0
	s_mov_b32 s0, 0
	global_store_b16 v[0:1], v4, off
.LBB70_779:
	s_mov_b32 s9, 0
.LBB70_780:
	s_delay_alu instid0(SALU_CYCLE_1)
	s_and_b32 vcc_lo, exec_lo, s9
	s_mov_b32 s9, 0
	s_cbranch_vccz .LBB70_782
; %bb.781:
	v_cmp_ne_u16_e64 s0, 11, v2
	s_mov_b32 s9, -1
.LBB70_782:
	s_delay_alu instid0(VALU_DEP_1)
	s_and_b32 vcc_lo, exec_lo, s0
	s_cbranch_vccnz .LBB70_817
; %bb.783:
	s_and_not1_b32 vcc_lo, exec_lo, s9
	s_cbranch_vccnz .LBB70_785
.LBB70_784:
	s_or_b32 s0, s2, s3
	s_mov_b32 s10, -1
	s_bitset0_b32 s0, 31
	s_delay_alu instid0(SALU_CYCLE_1) | instskip(SKIP_1) | instid1(SALU_CYCLE_1)
	s_cmp_lg_u32 s0, 0
	s_cselect_b32 s0, -1, 0
	v_cndmask_b32_e64 v4, 0, 1, s0
	global_store_b8 v[0:1], v4, off
.LBB70_785:
.LBB70_786:
	s_and_not1_b32 vcc_lo, exec_lo, s10
	s_cbranch_vccnz .LBB70_679
.LBB70_787:
	v_add_nc_u32_e32 v0, s6, v3
	v_cmp_gt_i16_e32 vcc_lo, 11, v2
	s_delay_alu instid0(VALU_DEP_2) | instskip(SKIP_1) | instid1(VALU_DEP_1)
	v_ashrrev_i32_e32 v1, 31, v0
	v_add_co_u32 v0, s0, s4, v0
	v_add_co_ci_u32_e64 v1, s0, s5, v1, s0
	s_cbranch_vccnz .LBB70_816
; %bb.788:
	v_cmp_lt_i16_e32 vcc_lo, 25, v2
	s_mov_b32 s5, -1
	s_mov_b32 s4, 0
	s_mov_b32 s0, 0
	s_cbranch_vccz .LBB70_828
; %bb.789:
	v_cmp_lt_i16_e32 vcc_lo, 28, v2
	s_cbranch_vccz .LBB70_805
; %bb.790:
	v_cmp_lt_i16_e32 vcc_lo, 43, v2
	;; [unrolled: 3-line block ×3, first 2 shown]
	s_cbranch_vccz .LBB70_795
; %bb.792:
	v_cmp_eq_u16_e32 vcc_lo, 46, v2
	s_mov_b32 s0, -1
	s_cbranch_vccz .LBB70_794
; %bb.793:
	s_bfe_u32 s0, s2, 0x10010
	s_bfe_u32 s5, s3, 0x10010
	s_add_i32 s0, s2, s0
	s_add_i32 s5, s3, s5
	v_cmp_o_f32_e64 s6, s3, s3
	v_cmp_o_f32_e64 s9, s2, s2
	s_addk_i32 s0, 0x7fff
	s_addk_i32 s5, 0x7fff
	s_lshr_b32 s0, s0, 16
	s_and_b32 s5, s5, 0xffff0000
	s_and_b32 s6, s6, exec_lo
	s_cselect_b32 s5, s5, 0x7fc00000
	s_and_b32 s6, s9, exec_lo
	s_cselect_b32 s0, s0, 0x7fc0
	s_delay_alu instid0(SALU_CYCLE_1) | instskip(NEXT) | instid1(SALU_CYCLE_1)
	s_or_b32 s0, s5, s0
	v_mov_b32_e32 v3, s0
	s_mov_b32 s0, 0
	global_store_b32 v[0:1], v3, off
.LBB70_794:
	s_mov_b32 s5, 0
.LBB70_795:
	s_delay_alu instid0(SALU_CYCLE_1)
	s_and_b32 vcc_lo, exec_lo, s5
	s_cbranch_vccz .LBB70_800
; %bb.796:
	v_cmp_eq_u16_e32 vcc_lo, 44, v2
	s_mov_b32 s0, -1
	s_cbranch_vccz .LBB70_800
; %bb.797:
	v_mov_b32_e32 v3, 0xff
	s_bfe_u32 s0, s2, 0x80017
	s_delay_alu instid0(SALU_CYCLE_1)
	s_cmpk_eq_i32 s0, 0xff
	s_cbranch_scc1 .LBB70_799
; %bb.798:
	s_lshr_b32 s5, s2, 23
	s_bitcmp1_b32 s2, 22
	s_cselect_b32 s6, -1, 0
	s_and_b32 s9, s2, 0x3fffff
	s_delay_alu instid0(SALU_CYCLE_1) | instskip(NEXT) | instid1(SALU_CYCLE_1)
	s_or_b32 s0, s0, s9
	s_cmp_lg_u32 s0, 0
	s_cselect_b32 s0, -1, 0
	s_delay_alu instid0(SALU_CYCLE_1) | instskip(NEXT) | instid1(SALU_CYCLE_1)
	s_and_b32 s0, s6, s0
	v_cndmask_b32_e64 v3, 0, 1, s0
	s_delay_alu instid0(VALU_DEP_1)
	v_add_nc_u32_e32 v3, s5, v3
.LBB70_799:
	s_mov_b32 s0, 0
	global_store_b8 v[0:1], v3, off
.LBB70_800:
	s_mov_b32 s5, 0
.LBB70_801:
	s_delay_alu instid0(SALU_CYCLE_1)
	s_and_b32 vcc_lo, exec_lo, s5
	s_cbranch_vccz .LBB70_804
; %bb.802:
	v_cmp_eq_u16_e32 vcc_lo, 29, v2
	s_mov_b32 s0, -1
	s_cbranch_vccz .LBB70_804
; %bb.803:
	v_trunc_f32_e32 v3, s2
	s_mov_b32 s0, 0
	s_delay_alu instid0(VALU_DEP_1) | instskip(NEXT) | instid1(VALU_DEP_1)
	v_mul_f32_e32 v4, 0x2f800000, v3
	v_floor_f32_e32 v4, v4
	s_delay_alu instid0(VALU_DEP_1) | instskip(SKIP_1) | instid1(VALU_DEP_2)
	v_fmamk_f32 v3, v4, 0xcf800000, v3
	v_cvt_u32_f32_e32 v4, v4
	v_cvt_u32_f32_e32 v3, v3
	global_store_b64 v[0:1], v[3:4], off
.LBB70_804:
	s_mov_b32 s5, 0
.LBB70_805:
	s_delay_alu instid0(SALU_CYCLE_1)
	s_and_b32 vcc_lo, exec_lo, s5
	s_cbranch_vccz .LBB70_827
; %bb.806:
	v_cmp_gt_i16_e32 vcc_lo, 27, v2
	s_mov_b32 s5, -1
	s_cbranch_vccnz .LBB70_812
; %bb.807:
	v_cmp_lt_i16_e32 vcc_lo, 27, v2
	v_cvt_u32_f32_e32 v3, s2
	s_cbranch_vccz .LBB70_809
; %bb.808:
	s_mov_b32 s5, 0
	global_store_b32 v[0:1], v3, off
.LBB70_809:
	s_and_not1_b32 vcc_lo, exec_lo, s5
	s_cbranch_vccnz .LBB70_811
; %bb.810:
	global_store_b16 v[0:1], v3, off
.LBB70_811:
	s_mov_b32 s5, 0
.LBB70_812:
	s_delay_alu instid0(SALU_CYCLE_1)
	s_and_not1_b32 vcc_lo, exec_lo, s5
	s_cbranch_vccnz .LBB70_827
; %bb.813:
	v_mov_b32_e32 v4, 0x80
	s_and_b32 s5, s2, 0x7fffffff
	s_delay_alu instid0(SALU_CYCLE_1)
	s_cmp_gt_u32 s5, 0x437fffff
	s_cbranch_scc1 .LBB70_826
; %bb.814:
	s_cmp_gt_u32 s5, 0x3bffffff
	s_cbranch_scc0 .LBB70_821
; %bb.815:
	s_bfe_u32 s5, s2, 0x10014
	s_mov_b32 s6, 0
	s_add_i32 s5, s2, s5
	s_delay_alu instid0(SALU_CYCLE_1) | instskip(NEXT) | instid1(SALU_CYCLE_1)
	s_add_i32 s5, s5, 0x487ffff
	s_lshr_b32 s9, s5, 20
	s_mov_b32 s5, -1
	s_branch .LBB70_822
.LBB70_816:
	s_mov_b32 s4, 0
	s_mov_b32 s0, -1
	s_branch .LBB70_680
.LBB70_817:
	s_cbranch_execnz .LBB70_819
; %bb.818:
	s_or_b32 s8, s8, exec_lo
	s_cbranch_execz .LBB70_784
	s_branch .LBB70_785
.LBB70_819:
	s_trap 2
	s_sendmsg_rtn_b32 s0, sendmsg(MSG_RTN_GET_DOORBELL)
	s_mov_b32 ttmp2, m0
	s_waitcnt lgkmcnt(0)
	s_and_b32 s0, s0, 0x3ff
	s_delay_alu instid0(SALU_CYCLE_1) | instskip(NEXT) | instid1(SALU_CYCLE_1)
	s_bitset1_b32 s0, 10
	s_mov_b32 m0, s0
	s_sendmsg sendmsg(MSG_INTERRUPT)
	s_mov_b32 m0, ttmp2
.LBB70_820:                             ; =>This Inner Loop Header: Depth=1
	s_sethalt 5
	s_branch .LBB70_820
.LBB70_821:
	s_mov_b32 s6, -1
	s_mov_b32 s5, 0
                                        ; implicit-def: $sgpr9
.LBB70_822:
	v_mov_b32_e32 v3, s9
	s_and_not1_b32 vcc_lo, exec_lo, s6
                                        ; implicit-def: $sgpr6
	s_cbranch_vccnz .LBB70_824
; %bb.823:
	v_add_f32_e64 v3, 0x46000000, |s2|
	s_mov_b32 s6, 0
	s_delay_alu instid0(VALU_DEP_1) | instskip(NEXT) | instid1(VALU_DEP_1)
	v_and_b32_e32 v3, 0xff, v3
	v_cmp_ne_u32_e64 s5, 0, v3
.LBB70_824:
	v_mov_b32_e32 v4, s6
	s_delay_alu instid0(VALU_DEP_2)
	s_and_not1_b32 vcc_lo, exec_lo, s5
	s_cbranch_vccnz .LBB70_826
; %bb.825:
	s_lshr_b32 s5, s2, 24
	s_delay_alu instid0(SALU_CYCLE_1) | instskip(NEXT) | instid1(SALU_CYCLE_1)
	s_and_b32 s5, s5, 0x80
	v_or_b32_e32 v4, s5, v3
.LBB70_826:
	global_store_b8 v[0:1], v4, off
.LBB70_827:
	s_mov_b32 s5, 0
.LBB70_828:
	s_delay_alu instid0(SALU_CYCLE_1)
	s_and_b32 vcc_lo, exec_lo, s5
	s_cbranch_vccz .LBB70_926
; %bb.829:
	v_cmp_lt_i16_e32 vcc_lo, 22, v2
	s_mov_b32 s4, -1
	s_cbranch_vccz .LBB70_919
; %bb.830:
	v_cmp_gt_i16_e32 vcc_lo, 24, v2
	s_cbranch_vccnz .LBB70_906
; %bb.831:
	v_cmp_lt_i16_e32 vcc_lo, 24, v2
	s_cbranch_vccz .LBB70_893
; %bb.832:
	v_mov_b32_e32 v4, 0x80
	s_and_b32 s4, s2, 0x7fffffff
	s_delay_alu instid0(SALU_CYCLE_1)
	s_cmp_gt_u32 s4, 0x477fffff
	s_cbranch_scc1 .LBB70_892
; %bb.833:
	s_cmp_gt_u32 s4, 0x37ffffff
	s_cbranch_scc0 .LBB70_887
; %bb.834:
	s_bfe_u32 s4, s2, 0x10015
	s_mov_b32 s5, 0
	s_add_i32 s4, s2, s4
	s_delay_alu instid0(SALU_CYCLE_1) | instskip(NEXT) | instid1(SALU_CYCLE_1)
	s_add_i32 s4, s4, 0x88fffff
	s_lshr_b32 s6, s4, 21
	s_mov_b32 s4, -1
	s_branch .LBB70_888
.LBB70_835:
	s_mov_b32 s41, 0
.LBB70_836:
	s_delay_alu instid0(SALU_CYCLE_1)
	s_and_b32 vcc_lo, exec_lo, s41
	s_cbranch_vccz .LBB70_839
; %bb.837:
	v_cmp_eq_u16_e32 vcc_lo, 44, v17
	s_mov_b32 s0, -1
	s_cbranch_vccz .LBB70_839
; %bb.838:
	v_cndmask_b32_e64 v15, v16, 0xff, s31
	s_mov_b32 s0, 0
	s_mov_b32 s41, 0
	global_store_b8 v[8:9], v15, off
	s_branch .LBB70_840
.LBB70_839:
	s_mov_b32 s41, 0
.LBB70_840:
	s_delay_alu instid0(SALU_CYCLE_1)
	s_and_b32 vcc_lo, exec_lo, s41
	s_cbranch_vccz .LBB70_843
; %bb.841:
	v_cmp_eq_u16_e32 vcc_lo, 29, v17
	s_mov_b32 s0, -1
	s_cbranch_vccz .LBB70_843
; %bb.842:
	s_mov_b32 s0, 0
	global_store_b64 v[8:9], v[6:7], off
.LBB70_843:
	s_mov_b32 s41, 0
.LBB70_844:
	s_delay_alu instid0(SALU_CYCLE_1)
	s_and_b32 vcc_lo, exec_lo, s41
	s_cbranch_vccz .LBB70_856
; %bb.845:
	v_cmp_gt_i16_e32 vcc_lo, 27, v17
	s_mov_b32 s31, -1
	s_cbranch_vccnz .LBB70_851
; %bb.846:
	v_cmp_lt_i16_e32 vcc_lo, 27, v17
	s_cbranch_vccz .LBB70_848
; %bb.847:
	s_mov_b32 s31, 0
	global_store_b32 v[8:9], v14, off
.LBB70_848:
	s_and_not1_b32 vcc_lo, exec_lo, s31
	s_cbranch_vccnz .LBB70_850
; %bb.849:
	global_store_b16 v[8:9], v14, off
.LBB70_850:
	s_mov_b32 s31, 0
.LBB70_851:
	s_delay_alu instid0(SALU_CYCLE_1)
	s_and_not1_b32 vcc_lo, exec_lo, s31
	s_cbranch_vccnz .LBB70_856
; %bb.852:
	s_and_not1_b32 vcc_lo, exec_lo, s29
	s_movk_i32 s29, 0x80
	s_cbranch_vccnz .LBB70_855
; %bb.853:
	s_or_b32 s29, s26, s30
	s_delay_alu instid0(SALU_CYCLE_1)
	s_and_not1_b32 vcc_lo, exec_lo, s29
	s_mov_b32 s29, 0
	s_cbranch_vccnz .LBB70_855
; %bb.854:
	s_and_b32 s26, s26, exec_lo
	s_cselect_b32 s25, s28, s25
	s_delay_alu instid0(SALU_CYCLE_1)
	s_or_b32 s29, s25, s1
.LBB70_855:
	s_delay_alu instid0(SALU_CYCLE_1)
	v_mov_b32_e32 v6, s29
	global_store_b8 v[8:9], v6, off
.LBB70_856:
	s_mov_b32 s41, 0
.LBB70_857:
	s_delay_alu instid0(SALU_CYCLE_1)
	s_and_b32 vcc_lo, exec_lo, s41
	s_mov_b32 s25, 0
	s_cbranch_vccz .LBB70_878
; %bb.858:
	v_cmp_lt_i16_e32 vcc_lo, 22, v17
	s_mov_b32 s26, -1
	s_cbranch_vccz .LBB70_871
; %bb.859:
	v_cmp_gt_i16_e32 vcc_lo, 24, v17
	s_cbranch_vccnz .LBB70_868
; %bb.860:
	v_cmp_lt_i16_e32 vcc_lo, 24, v17
	s_cbranch_vccz .LBB70_865
; %bb.861:
	s_and_not1_b32 vcc_lo, exec_lo, s22
	s_movk_i32 s22, 0x80
	s_cbranch_vccnz .LBB70_864
; %bb.862:
	s_or_b32 s22, s19, s23
	s_delay_alu instid0(SALU_CYCLE_1)
	s_and_not1_b32 vcc_lo, exec_lo, s22
	s_mov_b32 s22, 0
	s_cbranch_vccnz .LBB70_864
; %bb.863:
	s_and_b32 s19, s19, exec_lo
	s_cselect_b32 s18, s20, s18
	s_delay_alu instid0(SALU_CYCLE_1)
	s_or_b32 s22, s18, s1
.LBB70_864:
	s_delay_alu instid0(SALU_CYCLE_1)
	v_mov_b32_e32 v6, s22
	s_mov_b32 s26, 0
	global_store_b8 v[8:9], v6, off
.LBB70_865:
	s_and_b32 vcc_lo, exec_lo, s26
	s_cbranch_vccz .LBB70_867
; %bb.866:
	s_and_b32 s15, s15, exec_lo
	s_cselect_b32 s15, s27, s17
	s_and_b32 s14, s14, exec_lo
	s_cselect_b32 s14, s21, s15
	s_delay_alu instid0(SALU_CYCLE_1) | instskip(NEXT) | instid1(SALU_CYCLE_1)
	s_or_b32 s14, s14, s1
	v_mov_b32_e32 v6, s14
	global_store_b8 v[8:9], v6, off
.LBB70_867:
	s_mov_b32 s26, 0
.LBB70_868:
	s_delay_alu instid0(SALU_CYCLE_1)
	s_and_not1_b32 vcc_lo, exec_lo, s26
	s_cbranch_vccnz .LBB70_870
; %bb.869:
	s_and_b32 s12, s12, exec_lo
	s_cselect_b32 s12, s24, s13
	s_and_b32 s10, s10, exec_lo
	s_cselect_b32 s10, s16, s12
	s_delay_alu instid0(SALU_CYCLE_1) | instskip(NEXT) | instid1(SALU_CYCLE_1)
	s_or_b32 s1, s10, s1
	v_mov_b32_e32 v6, s1
	global_store_b8 v[8:9], v6, off
.LBB70_870:
	s_mov_b32 s26, 0
.LBB70_871:
	s_delay_alu instid0(SALU_CYCLE_1)
	s_and_not1_b32 vcc_lo, exec_lo, s26
	s_mov_b32 s1, 0
	s_cbranch_vccnz .LBB70_879
; %bb.872:
	v_cmp_lt_i16_e32 vcc_lo, 14, v17
	s_mov_b32 s1, -1
	s_cbranch_vccz .LBB70_876
; %bb.873:
	v_cmp_eq_u16_e32 vcc_lo, 15, v17
	s_mov_b32 s0, -1
	s_cbranch_vccz .LBB70_875
; %bb.874:
	v_mov_b32_e32 v6, s11
	s_mov_b32 s0, 0
	global_store_b16 v[8:9], v6, off
.LBB70_875:
	s_mov_b32 s1, 0
.LBB70_876:
	s_delay_alu instid0(SALU_CYCLE_1)
	s_and_b32 vcc_lo, exec_lo, s1
	s_mov_b32 s1, 0
	s_cbranch_vccz .LBB70_879
; %bb.877:
	v_cmp_ne_u16_e32 vcc_lo, 11, v17
	s_and_not1_b32 s0, s0, exec_lo
	s_mov_b32 s1, -1
	s_and_b32 s10, vcc_lo, exec_lo
	s_delay_alu instid0(SALU_CYCLE_1)
	s_or_b32 s0, s0, s10
	s_branch .LBB70_879
.LBB70_878:
	s_mov_b32 s1, 0
.LBB70_879:
	s_and_not1_b32 s10, s40, exec_lo
	s_and_b32 s11, s0, exec_lo
	s_and_b32 s41, s25, exec_lo
	;; [unrolled: 1-line block ×3, first 2 shown]
	s_or_b32 s42, s10, s11
.LBB70_880:
	s_or_b32 exec_lo, exec_lo, s33
	s_delay_alu instid0(SALU_CYCLE_1)
	s_and_not1_b32 s1, s40, exec_lo
	s_and_b32 s10, s42, exec_lo
	s_and_b32 s41, s41, exec_lo
	;; [unrolled: 1-line block ×3, first 2 shown]
	s_or_b32 s40, s1, s10
.LBB70_881:
	s_or_b32 exec_lo, exec_lo, s39
	s_delay_alu instid0(SALU_CYCLE_1)
	s_and_not1_b32 s1, s37, exec_lo
	s_and_b32 s10, s40, exec_lo
	s_and_b32 s39, s41, exec_lo
	;; [unrolled: 1-line block ×3, first 2 shown]
	s_or_b32 s37, s1, s10
.LBB70_882:
	s_or_b32 exec_lo, exec_lo, s38
	s_delay_alu instid0(SALU_CYCLE_1)
	s_and_not1_b32 s1, s35, exec_lo
	s_and_b32 s10, s37, exec_lo
	s_and_b32 s38, s39, exec_lo
	;; [unrolled: 1-line block ×3, first 2 shown]
	s_or_b32 s35, s1, s10
	s_or_b32 exec_lo, exec_lo, s36
	s_mov_b32 s0, 0
	s_and_saveexec_b32 s1, s35
	s_cbranch_execz .LBB70_110
.LBB70_883:
	s_cbranch_execnz .LBB70_885
; %bb.884:
	s_mov_b32 s0, exec_lo
	s_and_not1_b32 s37, s37, exec_lo
	s_or_b32 exec_lo, exec_lo, s1
	s_and_saveexec_b32 s1, s37
	s_delay_alu instid0(SALU_CYCLE_1)
	s_xor_b32 s1, exec_lo, s1
	s_cbranch_execnz .LBB70_111
	s_branch .LBB70_112
.LBB70_885:
	s_trap 2
	s_sendmsg_rtn_b32 s0, sendmsg(MSG_RTN_GET_DOORBELL)
	s_mov_b32 ttmp2, m0
	s_waitcnt lgkmcnt(0)
	s_and_b32 s0, s0, 0x3ff
	s_delay_alu instid0(SALU_CYCLE_1) | instskip(NEXT) | instid1(SALU_CYCLE_1)
	s_bitset1_b32 s0, 10
	s_mov_b32 m0, s0
	s_sendmsg sendmsg(MSG_INTERRUPT)
	s_mov_b32 m0, ttmp2
.LBB70_886:                             ; =>This Inner Loop Header: Depth=1
	s_sethalt 5
	s_branch .LBB70_886
.LBB70_887:
	s_mov_b32 s5, -1
	s_mov_b32 s4, 0
                                        ; implicit-def: $sgpr6
.LBB70_888:
	v_mov_b32_e32 v3, s6
	s_and_not1_b32 vcc_lo, exec_lo, s5
                                        ; implicit-def: $sgpr5
	s_cbranch_vccnz .LBB70_890
; %bb.889:
	v_add_f32_e64 v3, 0x42800000, |s2|
	s_mov_b32 s5, 0
	s_delay_alu instid0(VALU_DEP_1) | instskip(NEXT) | instid1(VALU_DEP_1)
	v_and_b32_e32 v3, 0xff, v3
	v_cmp_ne_u32_e64 s4, 0, v3
.LBB70_890:
	v_mov_b32_e32 v4, s5
	s_delay_alu instid0(VALU_DEP_2)
	s_and_not1_b32 vcc_lo, exec_lo, s4
	s_cbranch_vccnz .LBB70_892
; %bb.891:
	s_lshr_b32 s4, s2, 24
	s_delay_alu instid0(SALU_CYCLE_1) | instskip(NEXT) | instid1(SALU_CYCLE_1)
	s_and_b32 s4, s4, 0x80
	v_or_b32_e32 v4, s4, v3
.LBB70_892:
	s_mov_b32 s4, 0
	global_store_b8 v[0:1], v4, off
.LBB70_893:
	s_and_b32 vcc_lo, exec_lo, s4
	s_cbranch_vccz .LBB70_905
; %bb.894:
	s_and_b32 s4, s2, 0x7fffffff
	s_delay_alu instid0(SALU_CYCLE_1)
	s_cmp_lt_u32 s4, 0x43f00000
	s_cbranch_scc0 .LBB70_897
; %bb.895:
	s_cmp_gt_u32 s4, 0x3c7fffff
	s_cbranch_scc0 .LBB70_898
; %bb.896:
	s_bfe_u32 s5, s2, 0x10014
	s_delay_alu instid0(SALU_CYCLE_1) | instskip(NEXT) | instid1(SALU_CYCLE_1)
	s_add_i32 s5, s2, s5
	s_add_i32 s5, s5, 0x407ffff
	s_delay_alu instid0(SALU_CYCLE_1)
	s_and_b32 s6, s5, 0xff00000
	s_lshr_b32 s5, s5, 20
	s_cmp_lg_u32 s6, 0x7f00000
	s_cselect_b32 s6, s5, 0x7e
	s_mov_b32 s5, 0
	s_branch .LBB70_899
.LBB70_897:
	s_mov_b32 s5, -1
                                        ; implicit-def: $vgpr3
	s_branch .LBB70_902
.LBB70_898:
	s_mov_b32 s5, -1
                                        ; implicit-def: $sgpr6
.LBB70_899:
	v_mov_b32_e32 v3, s6
	s_and_not1_b32 vcc_lo, exec_lo, s5
	s_cbranch_vccnz .LBB70_901
; %bb.900:
	v_add_f32_e64 v3, 0x46800000, |s2|
.LBB70_901:
	s_mov_b32 s5, 0
.LBB70_902:
	s_delay_alu instid0(SALU_CYCLE_1)
	s_and_not1_b32 vcc_lo, exec_lo, s5
	s_cbranch_vccnz .LBB70_904
; %bb.903:
	s_cmp_gt_u32 s4, 0x7f800000
	s_movk_i32 s4, 0x7f
	s_delay_alu instid0(SALU_CYCLE_1) | instskip(NEXT) | instid1(SALU_CYCLE_1)
	s_cselect_b32 s4, s4, 0x7e
	v_mov_b32_e32 v3, s4
.LBB70_904:
	s_lshr_b32 s4, s2, 24
	s_delay_alu instid0(SALU_CYCLE_1)
	s_and_b32 s4, s4, 0x80
	s_delay_alu instid0(VALU_DEP_1) | instid1(SALU_CYCLE_1)
	v_or_b32_e32 v3, s4, v3
	global_store_b8 v[0:1], v3, off
.LBB70_905:
	s_mov_b32 s4, 0
.LBB70_906:
	s_delay_alu instid0(SALU_CYCLE_1)
	s_and_not1_b32 vcc_lo, exec_lo, s4
	s_cbranch_vccnz .LBB70_918
; %bb.907:
	s_and_b32 s4, s2, 0x7fffffff
	s_delay_alu instid0(SALU_CYCLE_1)
	s_cmp_lt_u32 s4, 0x47800000
	s_cbranch_scc0 .LBB70_910
; %bb.908:
	s_cmp_gt_u32 s4, 0x387fffff
	s_cbranch_scc0 .LBB70_911
; %bb.909:
	s_bfe_u32 s5, s2, 0x10015
	s_delay_alu instid0(SALU_CYCLE_1) | instskip(NEXT) | instid1(SALU_CYCLE_1)
	s_add_i32 s5, s2, s5
	s_add_i32 s5, s5, 0x80fffff
	s_delay_alu instid0(SALU_CYCLE_1)
	s_lshr_b32 s6, s5, 21
	s_mov_b32 s5, 0
	s_branch .LBB70_912
.LBB70_910:
	s_mov_b32 s5, -1
                                        ; implicit-def: $vgpr3
	s_branch .LBB70_915
.LBB70_911:
	s_mov_b32 s5, -1
                                        ; implicit-def: $sgpr6
.LBB70_912:
	v_mov_b32_e32 v3, s6
	s_and_not1_b32 vcc_lo, exec_lo, s5
	s_cbranch_vccnz .LBB70_914
; %bb.913:
	v_add_f32_e64 v3, 0x43000000, |s2|
.LBB70_914:
	s_mov_b32 s5, 0
.LBB70_915:
	s_delay_alu instid0(SALU_CYCLE_1)
	s_and_not1_b32 vcc_lo, exec_lo, s5
	s_cbranch_vccnz .LBB70_917
; %bb.916:
	s_cmp_gt_u32 s4, 0x7f800000
	s_movk_i32 s4, 0x7f
	s_delay_alu instid0(SALU_CYCLE_1) | instskip(NEXT) | instid1(SALU_CYCLE_1)
	s_cselect_b32 s4, s4, 0x7c
	v_mov_b32_e32 v3, s4
.LBB70_917:
	s_lshr_b32 s4, s2, 24
	s_delay_alu instid0(SALU_CYCLE_1)
	s_and_b32 s4, s4, 0x80
	s_delay_alu instid0(VALU_DEP_1) | instid1(SALU_CYCLE_1)
	v_or_b32_e32 v3, s4, v3
	global_store_b8 v[0:1], v3, off
.LBB70_918:
	s_mov_b32 s4, 0
.LBB70_919:
	s_delay_alu instid0(SALU_CYCLE_1)
	s_and_not1_b32 vcc_lo, exec_lo, s4
	s_mov_b32 s4, 0
	s_cbranch_vccnz .LBB70_926
; %bb.920:
	v_cmp_lt_i16_e32 vcc_lo, 14, v2
	s_mov_b32 s4, -1
	s_cbranch_vccz .LBB70_924
; %bb.921:
	v_cmp_eq_u16_e32 vcc_lo, 15, v2
	s_mov_b32 s0, -1
	s_cbranch_vccz .LBB70_923
; %bb.922:
	s_bfe_u32 s0, s2, 0x10010
	v_cmp_o_f32_e64 s4, s2, s2
	s_add_i32 s0, s2, s0
	s_delay_alu instid0(SALU_CYCLE_1) | instskip(NEXT) | instid1(SALU_CYCLE_1)
	s_addk_i32 s0, 0x7fff
	s_lshr_b32 s0, s0, 16
	s_delay_alu instid0(VALU_DEP_1) | instskip(SKIP_1) | instid1(SALU_CYCLE_1)
	s_and_b32 s4, s4, exec_lo
	s_cselect_b32 s0, s0, 0x7fc0
	v_mov_b32_e32 v3, s0
	s_mov_b32 s0, 0
	global_store_b16 v[0:1], v3, off
.LBB70_923:
	s_mov_b32 s4, 0
.LBB70_924:
	s_delay_alu instid0(SALU_CYCLE_1)
	s_and_b32 vcc_lo, exec_lo, s4
	s_mov_b32 s4, 0
	s_cbranch_vccz .LBB70_926
; %bb.925:
	v_cmp_ne_u16_e64 s0, 11, v2
	s_mov_b32 s4, -1
.LBB70_926:
	s_delay_alu instid0(VALU_DEP_1)
	s_and_b32 vcc_lo, exec_lo, s0
	s_cbranch_vccnz .LBB70_928
.LBB70_927:
	s_mov_b32 s0, 0
	s_branch .LBB70_680
.LBB70_928:
	s_cbranch_execnz .LBB70_930
; %bb.929:
	s_mov_b32 s4, 0
	s_or_b32 s8, s8, exec_lo
	s_branch .LBB70_927
.LBB70_930:
	s_trap 2
	s_sendmsg_rtn_b32 s0, sendmsg(MSG_RTN_GET_DOORBELL)
	s_mov_b32 ttmp2, m0
	s_waitcnt lgkmcnt(0)
	s_and_b32 s0, s0, 0x3ff
	s_delay_alu instid0(SALU_CYCLE_1) | instskip(NEXT) | instid1(SALU_CYCLE_1)
	s_bitset1_b32 s0, 10
	s_mov_b32 m0, s0
	s_sendmsg sendmsg(MSG_INTERRUPT)
	s_mov_b32 m0, ttmp2
.LBB70_931:                             ; =>This Inner Loop Header: Depth=1
	s_sethalt 5
	s_branch .LBB70_931
	.section	.rodata,"a",@progbits
	.p2align	6, 0x0
	.amdhsa_kernel _ZN2at6native32elementwise_kernel_manual_unrollILi128ELi4EZNS0_15gpu_kernel_implINS0_11FillFunctorIN3c107complexIfEEEEEEvRNS_18TensorIteratorBaseERKT_EUlibE_EEviT1_
		.amdhsa_group_segment_fixed_size 0
		.amdhsa_private_segment_fixed_size 0
		.amdhsa_kernarg_size 40
		.amdhsa_user_sgpr_count 15
		.amdhsa_user_sgpr_dispatch_ptr 0
		.amdhsa_user_sgpr_queue_ptr 0
		.amdhsa_user_sgpr_kernarg_segment_ptr 1
		.amdhsa_user_sgpr_dispatch_id 0
		.amdhsa_user_sgpr_private_segment_size 0
		.amdhsa_wavefront_size32 1
		.amdhsa_uses_dynamic_stack 0
		.amdhsa_enable_private_segment 0
		.amdhsa_system_sgpr_workgroup_id_x 1
		.amdhsa_system_sgpr_workgroup_id_y 0
		.amdhsa_system_sgpr_workgroup_id_z 0
		.amdhsa_system_sgpr_workgroup_info 0
		.amdhsa_system_vgpr_workitem_id 0
		.amdhsa_next_free_vgpr 20
		.amdhsa_next_free_sgpr 43
		.amdhsa_reserve_vcc 1
		.amdhsa_float_round_mode_32 0
		.amdhsa_float_round_mode_16_64 0
		.amdhsa_float_denorm_mode_32 3
		.amdhsa_float_denorm_mode_16_64 3
		.amdhsa_dx10_clamp 1
		.amdhsa_ieee_mode 1
		.amdhsa_fp16_overflow 0
		.amdhsa_workgroup_processor_mode 1
		.amdhsa_memory_ordered 1
		.amdhsa_forward_progress 0
		.amdhsa_shared_vgpr_count 0
		.amdhsa_exception_fp_ieee_invalid_op 0
		.amdhsa_exception_fp_denorm_src 0
		.amdhsa_exception_fp_ieee_div_zero 0
		.amdhsa_exception_fp_ieee_overflow 0
		.amdhsa_exception_fp_ieee_underflow 0
		.amdhsa_exception_fp_ieee_inexact 0
		.amdhsa_exception_int_div_zero 0
	.end_amdhsa_kernel
	.section	.text._ZN2at6native32elementwise_kernel_manual_unrollILi128ELi4EZNS0_15gpu_kernel_implINS0_11FillFunctorIN3c107complexIfEEEEEEvRNS_18TensorIteratorBaseERKT_EUlibE_EEviT1_,"axG",@progbits,_ZN2at6native32elementwise_kernel_manual_unrollILi128ELi4EZNS0_15gpu_kernel_implINS0_11FillFunctorIN3c107complexIfEEEEEEvRNS_18TensorIteratorBaseERKT_EUlibE_EEviT1_,comdat
.Lfunc_end70:
	.size	_ZN2at6native32elementwise_kernel_manual_unrollILi128ELi4EZNS0_15gpu_kernel_implINS0_11FillFunctorIN3c107complexIfEEEEEEvRNS_18TensorIteratorBaseERKT_EUlibE_EEviT1_, .Lfunc_end70-_ZN2at6native32elementwise_kernel_manual_unrollILi128ELi4EZNS0_15gpu_kernel_implINS0_11FillFunctorIN3c107complexIfEEEEEEvRNS_18TensorIteratorBaseERKT_EUlibE_EEviT1_
                                        ; -- End function
	.section	.AMDGPU.csdata,"",@progbits
; Kernel info:
; codeLenInByte = 14556
; NumSgprs: 45
; NumVgprs: 20
; ScratchSize: 0
; MemoryBound: 0
; FloatMode: 240
; IeeeMode: 1
; LDSByteSize: 0 bytes/workgroup (compile time only)
; SGPRBlocks: 5
; VGPRBlocks: 2
; NumSGPRsForWavesPerEU: 45
; NumVGPRsForWavesPerEU: 20
; Occupancy: 16
; WaveLimiterHint : 0
; COMPUTE_PGM_RSRC2:SCRATCH_EN: 0
; COMPUTE_PGM_RSRC2:USER_SGPR: 15
; COMPUTE_PGM_RSRC2:TRAP_HANDLER: 0
; COMPUTE_PGM_RSRC2:TGID_X_EN: 1
; COMPUTE_PGM_RSRC2:TGID_Y_EN: 0
; COMPUTE_PGM_RSRC2:TGID_Z_EN: 0
; COMPUTE_PGM_RSRC2:TIDIG_COMP_CNT: 0
	.section	.text._ZN2at6native32elementwise_kernel_manual_unrollILi128ELi4EZNS0_15gpu_kernel_implINS0_11FillFunctorIN3c107complexIfEEEEEEvRNS_18TensorIteratorBaseERKT_EUlibE0_EEviT1_,"axG",@progbits,_ZN2at6native32elementwise_kernel_manual_unrollILi128ELi4EZNS0_15gpu_kernel_implINS0_11FillFunctorIN3c107complexIfEEEEEEvRNS_18TensorIteratorBaseERKT_EUlibE0_EEviT1_,comdat
	.protected	_ZN2at6native32elementwise_kernel_manual_unrollILi128ELi4EZNS0_15gpu_kernel_implINS0_11FillFunctorIN3c107complexIfEEEEEEvRNS_18TensorIteratorBaseERKT_EUlibE0_EEviT1_ ; -- Begin function _ZN2at6native32elementwise_kernel_manual_unrollILi128ELi4EZNS0_15gpu_kernel_implINS0_11FillFunctorIN3c107complexIfEEEEEEvRNS_18TensorIteratorBaseERKT_EUlibE0_EEviT1_
	.globl	_ZN2at6native32elementwise_kernel_manual_unrollILi128ELi4EZNS0_15gpu_kernel_implINS0_11FillFunctorIN3c107complexIfEEEEEEvRNS_18TensorIteratorBaseERKT_EUlibE0_EEviT1_
	.p2align	8
	.type	_ZN2at6native32elementwise_kernel_manual_unrollILi128ELi4EZNS0_15gpu_kernel_implINS0_11FillFunctorIN3c107complexIfEEEEEEvRNS_18TensorIteratorBaseERKT_EUlibE0_EEviT1_,@function
_ZN2at6native32elementwise_kernel_manual_unrollILi128ELi4EZNS0_15gpu_kernel_implINS0_11FillFunctorIN3c107complexIfEEEEEEvRNS_18TensorIteratorBaseERKT_EUlibE0_EEviT1_: ; @_ZN2at6native32elementwise_kernel_manual_unrollILi128ELi4EZNS0_15gpu_kernel_implINS0_11FillFunctorIN3c107complexIfEEEEEEvRNS_18TensorIteratorBaseERKT_EUlibE0_EEviT1_
; %bb.0:
	s_clause 0x1
	s_load_b32 s20, s[0:1], 0x8
	s_load_b32 s52, s[0:1], 0x0
	v_lshl_or_b32 v11, s15, 9, v0
	s_or_b32 s0, s0, 8
	s_mov_b32 s16, -1
	s_mov_b32 s22, 0
	s_mov_b32 s6, 0
	v_or_b32_e32 v4, 0x180, v11
	s_mov_b32 s2, exec_lo
	s_waitcnt lgkmcnt(0)
	s_add_i32 s21, s20, -1
	s_delay_alu instid0(SALU_CYCLE_1)
	s_cmp_gt_u32 s21, 1
	s_cselect_b32 s23, -1, 0
	v_cmpx_le_i32_e64 s52, v4
	s_xor_b32 s24, exec_lo, s2
	s_cbranch_execz .LBB71_159
; %bb.1:
	s_load_b128 s[4:7], s[0:1], 0x108
	s_cmp_lg_u32 s20, 0
	s_movk_i32 s34, 0x7f
	s_cselect_b32 s54, -1, 0
	s_add_u32 s14, s0, 0xc4
	s_addc_u32 s15, s1, 0
	s_min_u32 s53, s21, 15
	s_cmp_gt_u32 s20, 1
	s_movk_i32 s46, 0x7c
	s_cselect_b32 s49, -1, 0
	s_mov_b32 s57, 0
	s_mov_b32 s55, 0
	s_mov_b32 s56, exec_lo
	s_load_b32 s50, s[0:1], 0x118
	s_waitcnt lgkmcnt(0)
	s_bfe_u32 s2, s6, 0x80017
	s_lshr_b32 s17, s6, 23
	s_cmpk_eq_i32 s2, 0xff
	v_add_f32_e64 v0, 0x46000000, |s6|
	s_cselect_b32 s48, -1, 0
	s_bitcmp1_b32 s6, 22
	v_trunc_f32_e32 v4, s6
	s_cselect_b32 s3, -1, 0
	s_and_b32 s8, s6, 0x3fffff
	v_readfirstlane_b32 s41, v0
	s_or_b32 s2, s2, s8
	v_add_f32_e64 v0, 0x42800000, |s6|
	s_cmp_lg_u32 s2, 0
	v_cvt_f64_f32_e32 v[2:3], s7
	s_cselect_b32 s2, -1, 0
	s_and_b32 s18, s6, 0x7fffffff
	s_and_b32 s19, s3, s2
	s_cmp_lt_u32 s18, 0x43800000
	v_readfirstlane_b32 s33, v0
	s_cselect_b32 s45, -1, 0
	s_cmp_gt_u32 s18, 0x3bffffff
	v_cvt_f64_f32_e32 v[0:1], s6
	s_cselect_b32 s40, -1, 0
	s_bfe_u32 s8, s6, 0x10014
	s_and_b32 s26, s41, 0xff
	s_add_i32 s27, s6, s8
	v_add_f32_e64 v5, 0x46800000, |s6|
	s_add_i32 s25, s27, 0x487ffff
	v_mul_f32_e32 v6, 0x2f800000, v4
	s_lshr_b32 s44, s25, 20
	s_cmp_lg_u32 s26, 0
	v_readfirstlane_b32 s39, v5
	s_cselect_b32 s47, -1, 0
	s_lshr_b32 s25, s6, 24
	v_floor_f32_e32 v5, v6
	s_and_b32 s25, s25, 0x80
	s_cmp_gt_u32 s18, 0x477fffff
	v_mul_f32_e64 v9, 0x2f800000, |v4|
	s_cselect_b32 s26, -1, 0
	s_cmp_lt_u32 s18, 0x47800000
	v_cmp_o_f32_e64 s51, s6, s6
	s_cselect_b32 s38, -1, 0
	s_cmp_gt_u32 s18, 0x37ffffff
	v_add_f32_e64 v8, 0x43000000, |s6|
	s_cselect_b32 s35, -1, 0
	s_bfe_u32 s28, s6, 0x10015
	s_and_b32 s29, s33, 0xff
	s_add_i32 s30, s6, s28
	v_fmamk_f32 v10, v5, 0xcf800000, v4
	s_add_i32 s28, s30, 0x88fffff
	v_cvt_u32_f32_e32 v7, v5
	s_lshr_b32 s36, s28, 21
	s_cmp_lg_u32 s29, 0
	v_floor_f32_e32 v5, v9
	s_cselect_b32 s43, -1, 0
	s_cmp_gt_u32 s18, 0x43efffff
	v_cndmask_b32_e64 v6, 0, 1, s19
	s_cselect_b32 s28, -1, 0
	s_cmp_lt_u32 s18, 0x3c800000
	s_load_b64 s[2:3], s[0:1], 0xc4
	s_cselect_b32 s31, -1, 0
	s_add_i32 s27, s27, 0x407ffff
	s_clause 0x1
	s_load_b128 s[8:11], s[0:1], 0x4
	s_load_b64 s[12:13], s[0:1], 0x14
	s_and_b32 s29, s27, 0xff00000
	s_lshr_b32 s27, s27, 20
	s_cmp_lg_u32 s29, 0x7f00000
	v_add_nc_u32_e32 v16, s17, v6
	s_cselect_b32 s37, s27, 0x7e
	s_cmp_lt_u32 s18, 0x38800000
	v_cvt_u32_f32_e32 v6, v10
	s_cselect_b32 s29, -1, 0
	s_add_i32 s30, s30, 0x80fffff
	v_cvt_f16_f32_e32 v9, s7
	s_lshr_b32 s30, s30, 21
	s_cmp_gt_u32 s18, 0x7f800000
	v_cvt_f16_f32_e32 v12, s6
	s_cselect_b32 s42, s34, 0x7e
	s_cselect_b32 s34, 0x7f, s46
	s_bfe_u32 s18, s6, 0x10010
	v_readfirstlane_b32 s46, v8
	s_add_i32 s18, s6, s18
	v_fma_f32 v8, 0xcf800000, v5, |v4|
	s_addk_i32 s18, 0x7fff
	v_ashrrev_i32_e32 v10, 31, v4
	s_lshr_b32 s18, s18, 16
	s_and_b32 s19, s51, exec_lo
	s_cselect_b32 s27, s18, 0x7fc0
	s_or_b32 s18, s6, s7
	v_cvt_u32_f32_e32 v8, v8
	s_bitset0_b32 s18, 31
	v_cvt_u32_f32_e32 v5, v5
	s_cmp_lg_u32 s18, 0
	v_lshlrev_b32_e32 v4, 16, v9
	s_cselect_b32 s17, -1, 0
	s_bfe_u32 s18, s7, 0x10010
	v_and_b32_e32 v9, 0xffff, v12
	s_add_i32 s18, s7, s18
	v_xor_b32_e32 v8, v8, v10
	s_addk_i32 s18, 0x7fff
	v_cndmask_b32_e64 v14, 0, 1, s17
	s_and_b32 s17, s18, 0xffff0000
	v_cmp_o_f32_e64 s18, s7, s7
	v_xor_b32_e32 v5, v5, v10
	v_or_b32_e32 v13, v4, v9
	v_sub_co_u32 v4, vcc_lo, v8, v10
	v_cvt_u32_f32_e32 v15, s6
	s_and_b32 s18, s18, exec_lo
	v_sub_co_ci_u32_e32 v5, vcc_lo, v5, v10, vcc_lo
	v_cvt_i32_f32_e32 v10, s6
	s_cselect_b32 s17, s17, 0x7fc00000
	s_delay_alu instid0(SALU_CYCLE_1)
	s_or_b32 s51, s17, s27
	v_cmpx_gt_i32_e64 s52, v11
	s_cbranch_execz .LBB71_110
; %bb.2:
	s_and_not1_b32 vcc_lo, exec_lo, s23
	s_cbranch_vccnz .LBB71_7
; %bb.3:
	v_mov_b32_e32 v8, 0
	s_and_not1_b32 vcc_lo, exec_lo, s54
	s_cbranch_vccnz .LBB71_12
; %bb.4:
	s_add_i32 s58, s53, 1
	s_cmp_eq_u32 s21, 2
	s_cbranch_scc1 .LBB71_8
; %bb.5:
	v_dual_mov_b32 v8, 0 :: v_dual_mov_b32 v9, v11
	s_and_b32 s55, s58, 28
	s_mov_b32 s59, 0
	s_mov_b64 s[16:17], s[0:1]
	s_mov_b64 s[18:19], s[14:15]
.LBB71_6:                               ; =>This Inner Loop Header: Depth=1
	s_clause 0x1
	s_load_b256 s[60:67], s[16:17], 0x4
	s_load_b128 s[68:71], s[16:17], 0x24
	s_load_b128 s[72:75], s[18:19], 0x0
	s_add_u32 s16, s16, 48
	s_addc_u32 s17, s17, 0
	s_add_i32 s59, s59, 4
	s_add_u32 s18, s18, 16
	s_addc_u32 s19, s19, 0
	s_cmp_lg_u32 s55, s59
	s_waitcnt lgkmcnt(0)
	v_mul_hi_u32 v17, s61, v9
	s_delay_alu instid0(VALU_DEP_1) | instskip(NEXT) | instid1(VALU_DEP_1)
	v_add_nc_u32_e32 v17, v9, v17
	v_lshrrev_b32_e32 v17, s62, v17
	s_delay_alu instid0(VALU_DEP_1) | instskip(SKIP_1) | instid1(VALU_DEP_2)
	v_mul_hi_u32 v18, s64, v17
	v_mul_lo_u32 v21, v17, s60
	v_add_nc_u32_e32 v18, v17, v18
	s_delay_alu instid0(VALU_DEP_2) | instskip(NEXT) | instid1(VALU_DEP_2)
	v_sub_nc_u32_e32 v21, v9, v21
	v_lshrrev_b32_e32 v18, s65, v18
	s_delay_alu instid0(VALU_DEP_2) | instskip(NEXT) | instid1(VALU_DEP_2)
	v_mul_lo_u32 v21, v21, s72
	v_mul_hi_u32 v19, s67, v18
	v_mul_lo_u32 v22, v18, s63
	s_delay_alu instid0(VALU_DEP_2) | instskip(NEXT) | instid1(VALU_DEP_2)
	v_add_nc_u32_e32 v19, v18, v19
	v_sub_nc_u32_e32 v17, v17, v22
	s_delay_alu instid0(VALU_DEP_2) | instskip(NEXT) | instid1(VALU_DEP_2)
	v_lshrrev_b32_e32 v19, s68, v19
	v_mul_lo_u32 v17, v17, s73
	s_delay_alu instid0(VALU_DEP_2) | instskip(NEXT) | instid1(VALU_DEP_2)
	v_mul_hi_u32 v20, s70, v19
	v_add3_u32 v8, v21, v8, v17
	s_delay_alu instid0(VALU_DEP_2) | instskip(NEXT) | instid1(VALU_DEP_1)
	v_add_nc_u32_e32 v20, v19, v20
	v_lshrrev_b32_e32 v9, s71, v20
	v_mul_lo_u32 v20, v19, s66
	s_delay_alu instid0(VALU_DEP_2) | instskip(NEXT) | instid1(VALU_DEP_2)
	v_mul_lo_u32 v23, v9, s69
	v_sub_nc_u32_e32 v18, v18, v20
	s_delay_alu instid0(VALU_DEP_2) | instskip(NEXT) | instid1(VALU_DEP_2)
	v_sub_nc_u32_e32 v19, v19, v23
	v_mul_lo_u32 v18, v18, s74
	s_delay_alu instid0(VALU_DEP_2) | instskip(NEXT) | instid1(VALU_DEP_1)
	v_mul_lo_u32 v19, v19, s75
	v_add3_u32 v8, v18, v8, v19
	s_cbranch_scc1 .LBB71_6
	s_branch .LBB71_9
.LBB71_7:
                                        ; implicit-def: $vgpr8
	s_and_not1_b32 vcc_lo, exec_lo, s16
	s_cbranch_vccz .LBB71_13
	s_branch .LBB71_15
.LBB71_8:
	v_mov_b32_e32 v9, v11
.LBB71_9:
	s_and_b32 s58, s58, 3
	s_delay_alu instid0(SALU_CYCLE_1)
	s_cmp_eq_u32 s58, 0
	s_cbranch_scc1 .LBB71_12
; %bb.10:
	s_lshl_b32 s16, s55, 2
	s_mul_i32 s18, s55, 12
	s_add_u32 s16, s16, s0
	s_addc_u32 s17, s1, 0
	s_add_u32 s16, s16, 0xc4
	s_addc_u32 s17, s17, 0
	;; [unrolled: 2-line block ×3, first 2 shown]
	.p2align	6
.LBB71_11:                              ; =>This Inner Loop Header: Depth=1
	s_clause 0x1
	s_load_b64 s[60:61], s[18:19], 0x4
	s_load_b32 s55, s[18:19], 0xc
	s_load_b32 s59, s[16:17], 0x0
	s_add_u32 s18, s18, 12
	s_addc_u32 s19, s19, 0
	s_add_u32 s16, s16, 4
	s_addc_u32 s17, s17, 0
	s_add_i32 s58, s58, -1
	s_delay_alu instid0(SALU_CYCLE_1) | instskip(SKIP_2) | instid1(VALU_DEP_1)
	s_cmp_lg_u32 s58, 0
	s_waitcnt lgkmcnt(0)
	v_mul_hi_u32 v17, s61, v9
	v_add_nc_u32_e32 v17, v9, v17
	s_delay_alu instid0(VALU_DEP_1) | instskip(NEXT) | instid1(VALU_DEP_1)
	v_lshrrev_b32_e32 v19, s55, v17
	v_mul_lo_u32 v17, v19, s60
	s_delay_alu instid0(VALU_DEP_1) | instskip(NEXT) | instid1(VALU_DEP_1)
	v_sub_nc_u32_e32 v9, v9, v17
	v_mad_u64_u32 v[17:18], null, v9, s59, v[8:9]
	s_delay_alu instid0(VALU_DEP_1)
	v_dual_mov_b32 v9, v19 :: v_dual_mov_b32 v8, v17
	s_cbranch_scc1 .LBB71_11
.LBB71_12:
	s_cbranch_execnz .LBB71_15
.LBB71_13:
	s_waitcnt lgkmcnt(0)
	v_mul_hi_u32 v8, s9, v11
	s_and_not1_b32 vcc_lo, exec_lo, s49
	s_delay_alu instid0(VALU_DEP_1) | instskip(NEXT) | instid1(VALU_DEP_1)
	v_add_nc_u32_e32 v8, v11, v8
	v_lshrrev_b32_e32 v9, s10, v8
	s_delay_alu instid0(VALU_DEP_1) | instskip(NEXT) | instid1(VALU_DEP_1)
	v_mul_lo_u32 v8, v9, s8
	v_sub_nc_u32_e32 v8, v11, v8
	s_delay_alu instid0(VALU_DEP_1)
	v_mul_lo_u32 v8, v8, s2
	s_cbranch_vccnz .LBB71_15
; %bb.14:
	v_mul_hi_u32 v17, s12, v9
	s_delay_alu instid0(VALU_DEP_1) | instskip(NEXT) | instid1(VALU_DEP_1)
	v_add_nc_u32_e32 v17, v9, v17
	v_lshrrev_b32_e32 v17, s13, v17
	s_delay_alu instid0(VALU_DEP_1) | instskip(NEXT) | instid1(VALU_DEP_1)
	v_mul_lo_u32 v17, v17, s11
	v_sub_nc_u32_e32 v9, v9, v17
	s_delay_alu instid0(VALU_DEP_1) | instskip(NEXT) | instid1(VALU_DEP_1)
	v_mad_u64_u32 v[17:18], null, v9, s3, v[8:9]
	v_mov_b32_e32 v8, v17
.LBB71_15:
	v_and_b32_e64 v17, 0xff, s50
	s_delay_alu instid0(VALU_DEP_2) | instskip(NEXT) | instid1(VALU_DEP_1)
	v_add_co_u32 v8, s17, s4, v8
	v_add_co_ci_u32_e64 v9, null, s5, 0, s17
	s_delay_alu instid0(VALU_DEP_3)
	v_cmp_gt_i16_e32 vcc_lo, 11, v17
	s_mov_b32 s16, 0
	s_mov_b32 s18, -1
	s_mov_b32 s17, 0
	s_cbranch_vccnz .LBB71_69
; %bb.16:
	v_cmp_lt_i16_e32 vcc_lo, 25, v17
	s_cbranch_vccz .LBB71_44
; %bb.17:
	v_cmp_lt_i16_e32 vcc_lo, 28, v17
	s_cbranch_vccz .LBB71_30
	;; [unrolled: 3-line block ×4, first 2 shown]
; %bb.20:
	v_cmp_eq_u16_e32 vcc_lo, 46, v17
	s_mov_b32 s18, 0
	s_mov_b32 s16, -1
	s_cbranch_vccz .LBB71_22
; %bb.21:
	v_mov_b32_e32 v18, s51
	s_mov_b32 s17, -1
	s_mov_b32 s16, 0
	global_store_b32 v[8:9], v18, off
.LBB71_22:
	s_and_b32 vcc_lo, exec_lo, s18
	s_cbranch_vccz .LBB71_25
; %bb.23:
	v_cmp_eq_u16_e32 vcc_lo, 44, v17
	s_mov_b32 s16, -1
	s_cbranch_vccz .LBB71_25
; %bb.24:
	v_cndmask_b32_e64 v18, v16, 0xff, s48
	s_mov_b32 s17, -1
	s_mov_b32 s16, 0
	global_store_b8 v[8:9], v18, off
.LBB71_25:
	s_mov_b32 s18, 0
.LBB71_26:
	s_delay_alu instid0(SALU_CYCLE_1)
	s_and_b32 vcc_lo, exec_lo, s18
	s_cbranch_vccz .LBB71_29
; %bb.27:
	v_cmp_eq_u16_e32 vcc_lo, 29, v17
	s_mov_b32 s16, -1
	s_cbranch_vccz .LBB71_29
; %bb.28:
	s_mov_b32 s17, -1
	s_mov_b32 s16, 0
	global_store_b64 v[8:9], v[6:7], off
.LBB71_29:
	s_mov_b32 s18, 0
.LBB71_30:
	s_delay_alu instid0(SALU_CYCLE_1)
	s_and_b32 vcc_lo, exec_lo, s18
	s_cbranch_vccz .LBB71_43
; %bb.31:
	v_cmp_gt_i16_e32 vcc_lo, 27, v17
	s_mov_b32 s17, -1
	s_cbranch_vccnz .LBB71_37
; %bb.32:
	v_cmp_lt_i16_e32 vcc_lo, 27, v17
	s_cbranch_vccz .LBB71_34
; %bb.33:
	s_mov_b32 s17, 0
	global_store_b32 v[8:9], v15, off
.LBB71_34:
	s_and_not1_b32 vcc_lo, exec_lo, s17
	s_cbranch_vccnz .LBB71_36
; %bb.35:
	global_store_b16 v[8:9], v15, off
.LBB71_36:
	s_mov_b32 s17, 0
.LBB71_37:
	s_delay_alu instid0(SALU_CYCLE_1)
	s_and_not1_b32 vcc_lo, exec_lo, s17
	s_cbranch_vccnz .LBB71_42
; %bb.38:
	s_and_not1_b32 vcc_lo, exec_lo, s45
	s_movk_i32 s17, 0x80
	s_cbranch_vccnz .LBB71_41
; %bb.39:
	s_or_b32 s17, s40, s47
	s_delay_alu instid0(SALU_CYCLE_1)
	s_and_not1_b32 vcc_lo, exec_lo, s17
	s_mov_b32 s17, 0
	s_cbranch_vccnz .LBB71_41
; %bb.40:
	s_and_b32 s17, s40, exec_lo
	s_cselect_b32 s17, s44, s41
	s_delay_alu instid0(SALU_CYCLE_1)
	s_or_b32 s17, s17, s25
.LBB71_41:
	s_delay_alu instid0(SALU_CYCLE_1)
	v_mov_b32_e32 v18, s17
	global_store_b8 v[8:9], v18, off
.LBB71_42:
	s_mov_b32 s17, -1
.LBB71_43:
	s_mov_b32 s18, 0
.LBB71_44:
	s_delay_alu instid0(SALU_CYCLE_1)
	s_and_b32 vcc_lo, exec_lo, s18
	s_cbranch_vccz .LBB71_66
; %bb.45:
	v_cmp_lt_i16_e32 vcc_lo, 22, v17
	s_mov_b32 s18, -1
	s_cbranch_vccz .LBB71_58
; %bb.46:
	v_cmp_gt_i16_e32 vcc_lo, 24, v17
	s_mov_b32 s17, -1
	s_cbranch_vccnz .LBB71_55
; %bb.47:
	v_cmp_lt_i16_e32 vcc_lo, 24, v17
	s_cbranch_vccz .LBB71_52
; %bb.48:
	s_and_not1_b32 vcc_lo, exec_lo, s38
	s_movk_i32 s17, 0x80
	s_cbranch_vccnz .LBB71_51
; %bb.49:
	s_or_b32 s17, s35, s43
	s_delay_alu instid0(SALU_CYCLE_1)
	s_and_not1_b32 vcc_lo, exec_lo, s17
	s_mov_b32 s17, 0
	s_cbranch_vccnz .LBB71_51
; %bb.50:
	s_and_b32 s17, s35, exec_lo
	s_cselect_b32 s17, s36, s33
	s_delay_alu instid0(SALU_CYCLE_1)
	s_or_b32 s17, s17, s25
.LBB71_51:
	s_delay_alu instid0(SALU_CYCLE_1)
	v_mov_b32_e32 v18, s17
	s_mov_b32 s17, 0
	global_store_b8 v[8:9], v18, off
.LBB71_52:
	s_and_b32 vcc_lo, exec_lo, s17
	s_cbranch_vccz .LBB71_54
; %bb.53:
	s_and_b32 s17, s31, exec_lo
	s_cselect_b32 s17, s39, s37
	s_and_b32 s18, s28, exec_lo
	s_cselect_b32 s17, s42, s17
	s_delay_alu instid0(SALU_CYCLE_1) | instskip(NEXT) | instid1(SALU_CYCLE_1)
	s_or_b32 s17, s17, s25
	v_mov_b32_e32 v18, s17
	global_store_b8 v[8:9], v18, off
.LBB71_54:
	s_mov_b32 s17, 0
.LBB71_55:
	s_delay_alu instid0(SALU_CYCLE_1)
	s_and_not1_b32 vcc_lo, exec_lo, s17
	s_cbranch_vccnz .LBB71_57
; %bb.56:
	s_and_b32 s17, s29, exec_lo
	s_cselect_b32 s17, s46, s30
	s_and_b32 s18, s26, exec_lo
	s_cselect_b32 s17, s34, s17
	s_delay_alu instid0(SALU_CYCLE_1) | instskip(NEXT) | instid1(SALU_CYCLE_1)
	s_or_b32 s17, s17, s25
	v_mov_b32_e32 v18, s17
	global_store_b8 v[8:9], v18, off
.LBB71_57:
	s_mov_b32 s18, 0
	s_mov_b32 s17, -1
.LBB71_58:
	s_and_not1_b32 vcc_lo, exec_lo, s18
	s_cbranch_vccnz .LBB71_66
; %bb.59:
	v_cmp_lt_i16_e32 vcc_lo, 14, v17
	s_mov_b32 s18, -1
	s_cbranch_vccz .LBB71_63
; %bb.60:
	v_cmp_eq_u16_e32 vcc_lo, 15, v17
	s_mov_b32 s16, -1
	s_cbranch_vccz .LBB71_62
; %bb.61:
	v_mov_b32_e32 v18, s27
	s_mov_b32 s17, -1
	s_mov_b32 s16, 0
	global_store_b16 v[8:9], v18, off
.LBB71_62:
	s_mov_b32 s18, 0
.LBB71_63:
	s_delay_alu instid0(SALU_CYCLE_1)
	s_and_b32 vcc_lo, exec_lo, s18
	s_cbranch_vccz .LBB71_66
; %bb.64:
	v_cmp_eq_u16_e32 vcc_lo, 11, v17
	s_mov_b32 s16, -1
	s_cbranch_vccz .LBB71_66
; %bb.65:
	s_mov_b32 s17, -1
	s_mov_b32 s16, 0
	global_store_b8 v[8:9], v14, off
.LBB71_66:
.LBB71_67:
	s_and_not1_b32 vcc_lo, exec_lo, s17
	s_cbranch_vccnz .LBB71_108
.LBB71_68:
	v_add_nc_u32_e32 v11, 0x80, v11
	s_mov_b32 s17, -1
	s_branch .LBB71_109
.LBB71_69:
	s_and_b32 vcc_lo, exec_lo, s18
	s_cbranch_vccz .LBB71_67
; %bb.70:
	v_cmp_gt_i16_e32 vcc_lo, 5, v17
	s_mov_b32 s17, -1
	s_cbranch_vccnz .LBB71_91
; %bb.71:
	v_cmp_gt_i16_e32 vcc_lo, 8, v17
	s_cbranch_vccnz .LBB71_81
; %bb.72:
	v_cmp_gt_i16_e32 vcc_lo, 9, v17
	s_cbranch_vccnz .LBB71_78
; %bb.73:
	v_cmp_lt_i16_e32 vcc_lo, 9, v17
	s_cbranch_vccz .LBB71_75
; %bb.74:
	s_mov_b32 s17, 0
	global_store_b128 v[8:9], v[0:3], off
.LBB71_75:
	s_and_not1_b32 vcc_lo, exec_lo, s17
	s_cbranch_vccnz .LBB71_77
; %bb.76:
	v_dual_mov_b32 v18, s6 :: v_dual_mov_b32 v19, s7
	global_store_b64 v[8:9], v[18:19], off
.LBB71_77:
	s_mov_b32 s17, 0
.LBB71_78:
	s_delay_alu instid0(SALU_CYCLE_1)
	s_and_not1_b32 vcc_lo, exec_lo, s17
	s_cbranch_vccnz .LBB71_80
; %bb.79:
	global_store_b32 v[8:9], v13, off
.LBB71_80:
	s_mov_b32 s17, 0
.LBB71_81:
	s_delay_alu instid0(SALU_CYCLE_1)
	s_and_not1_b32 vcc_lo, exec_lo, s17
	s_cbranch_vccnz .LBB71_90
; %bb.82:
	v_cmp_gt_i16_e32 vcc_lo, 6, v17
	s_mov_b32 s17, -1
	s_cbranch_vccnz .LBB71_88
; %bb.83:
	v_cmp_lt_i16_e32 vcc_lo, 6, v17
	s_cbranch_vccz .LBB71_85
; %bb.84:
	s_mov_b32 s17, 0
	global_store_b64 v[8:9], v[0:1], off
.LBB71_85:
	s_and_not1_b32 vcc_lo, exec_lo, s17
	s_cbranch_vccnz .LBB71_87
; %bb.86:
	v_mov_b32_e32 v18, s6
	global_store_b32 v[8:9], v18, off
.LBB71_87:
	s_mov_b32 s17, 0
.LBB71_88:
	s_delay_alu instid0(SALU_CYCLE_1)
	s_and_not1_b32 vcc_lo, exec_lo, s17
	s_cbranch_vccnz .LBB71_90
; %bb.89:
	global_store_b16 v[8:9], v12, off
.LBB71_90:
	s_mov_b32 s17, 0
.LBB71_91:
	s_delay_alu instid0(SALU_CYCLE_1)
	s_and_not1_b32 vcc_lo, exec_lo, s17
	s_cbranch_vccnz .LBB71_107
; %bb.92:
	v_cmp_gt_i16_e32 vcc_lo, 2, v17
	s_mov_b32 s17, -1
	s_cbranch_vccnz .LBB71_102
; %bb.93:
	v_cmp_gt_i16_e32 vcc_lo, 3, v17
	s_cbranch_vccnz .LBB71_99
; %bb.94:
	v_cmp_lt_i16_e32 vcc_lo, 3, v17
	s_cbranch_vccz .LBB71_96
; %bb.95:
	s_mov_b32 s17, 0
	global_store_b64 v[8:9], v[4:5], off
.LBB71_96:
	s_and_not1_b32 vcc_lo, exec_lo, s17
	s_cbranch_vccnz .LBB71_98
; %bb.97:
	global_store_b32 v[8:9], v10, off
.LBB71_98:
	s_mov_b32 s17, 0
.LBB71_99:
	s_delay_alu instid0(SALU_CYCLE_1)
	s_and_not1_b32 vcc_lo, exec_lo, s17
	s_cbranch_vccnz .LBB71_101
; %bb.100:
	global_store_b16 v[8:9], v10, off
.LBB71_101:
	s_mov_b32 s17, 0
.LBB71_102:
	s_delay_alu instid0(SALU_CYCLE_1)
	s_and_not1_b32 vcc_lo, exec_lo, s17
	s_cbranch_vccnz .LBB71_107
; %bb.103:
	v_cmp_lt_i16_e32 vcc_lo, 0, v17
	s_mov_b32 s17, -1
	s_cbranch_vccz .LBB71_105
; %bb.104:
	s_mov_b32 s17, 0
	global_store_b8 v[8:9], v10, off
.LBB71_105:
	s_and_not1_b32 vcc_lo, exec_lo, s17
	s_cbranch_vccnz .LBB71_107
; %bb.106:
	global_store_b8 v[8:9], v4, off
.LBB71_107:
	s_branch .LBB71_68
.LBB71_108:
	s_mov_b32 s17, 0
                                        ; implicit-def: $vgpr11
.LBB71_109:
	s_and_b32 s55, s16, exec_lo
	s_or_not1_b32 s16, s17, exec_lo
.LBB71_110:
	s_or_b32 exec_lo, exec_lo, s56
	s_mov_b32 s17, 0
                                        ; implicit-def: $vgpr17
                                        ; implicit-def: $vgpr8_vgpr9
	s_and_saveexec_b32 s56, s16
	s_cbranch_execz .LBB71_117
; %bb.111:
	s_mov_b32 s18, -1
	s_mov_b32 s57, s55
	s_mov_b32 s58, exec_lo
	v_cmpx_gt_i32_e64 s52, v11
	s_cbranch_execz .LBB71_364
; %bb.112:
	s_and_not1_b32 vcc_lo, exec_lo, s23
	s_cbranch_vccnz .LBB71_219
; %bb.113:
	v_mov_b32_e32 v8, 0
	s_and_not1_b32 vcc_lo, exec_lo, s54
	s_cbranch_vccnz .LBB71_226
; %bb.114:
	s_add_i32 s59, s53, 1
	s_cmp_eq_u32 s21, 2
	s_mov_b32 s57, 0
	s_cbranch_scc1 .LBB71_222
; %bb.115:
	v_dual_mov_b32 v8, 0 :: v_dual_mov_b32 v9, v11
	s_and_b32 s57, s59, 28
	s_mov_b32 s60, 0
	s_mov_b64 s[16:17], s[0:1]
	s_mov_b64 s[18:19], s[14:15]
.LBB71_116:                             ; =>This Inner Loop Header: Depth=1
	s_clause 0x1
	s_load_b256 s[64:71], s[16:17], 0x4
	s_load_b128 s[72:75], s[16:17], 0x24
	s_load_b128 s[76:79], s[18:19], 0x0
	s_add_u32 s16, s16, 48
	s_addc_u32 s17, s17, 0
	s_add_i32 s60, s60, 4
	s_add_u32 s18, s18, 16
	s_addc_u32 s19, s19, 0
	s_cmp_eq_u32 s57, s60
	s_waitcnt lgkmcnt(0)
	v_mul_hi_u32 v17, s65, v9
	s_delay_alu instid0(VALU_DEP_1) | instskip(NEXT) | instid1(VALU_DEP_1)
	v_add_nc_u32_e32 v17, v9, v17
	v_lshrrev_b32_e32 v17, s66, v17
	s_delay_alu instid0(VALU_DEP_1) | instskip(SKIP_1) | instid1(VALU_DEP_2)
	v_mul_hi_u32 v18, s68, v17
	v_mul_lo_u32 v21, v17, s64
	v_add_nc_u32_e32 v18, v17, v18
	s_delay_alu instid0(VALU_DEP_2) | instskip(NEXT) | instid1(VALU_DEP_2)
	v_sub_nc_u32_e32 v21, v9, v21
	v_lshrrev_b32_e32 v18, s69, v18
	s_delay_alu instid0(VALU_DEP_2) | instskip(NEXT) | instid1(VALU_DEP_2)
	v_mul_lo_u32 v21, v21, s76
	v_mul_hi_u32 v19, s71, v18
	v_mul_lo_u32 v22, v18, s67
	s_delay_alu instid0(VALU_DEP_2) | instskip(NEXT) | instid1(VALU_DEP_2)
	v_add_nc_u32_e32 v19, v18, v19
	v_sub_nc_u32_e32 v17, v17, v22
	s_delay_alu instid0(VALU_DEP_2) | instskip(NEXT) | instid1(VALU_DEP_2)
	v_lshrrev_b32_e32 v19, s72, v19
	v_mul_lo_u32 v17, v17, s77
	s_delay_alu instid0(VALU_DEP_2) | instskip(NEXT) | instid1(VALU_DEP_2)
	v_mul_hi_u32 v20, s74, v19
	v_add3_u32 v8, v21, v8, v17
	s_delay_alu instid0(VALU_DEP_2) | instskip(NEXT) | instid1(VALU_DEP_1)
	v_add_nc_u32_e32 v20, v19, v20
	v_lshrrev_b32_e32 v9, s75, v20
	v_mul_lo_u32 v20, v19, s70
	s_delay_alu instid0(VALU_DEP_2) | instskip(NEXT) | instid1(VALU_DEP_2)
	v_mul_lo_u32 v23, v9, s73
	v_sub_nc_u32_e32 v18, v18, v20
	s_delay_alu instid0(VALU_DEP_2) | instskip(NEXT) | instid1(VALU_DEP_2)
	v_sub_nc_u32_e32 v19, v19, v23
	v_mul_lo_u32 v18, v18, s78
	s_delay_alu instid0(VALU_DEP_2) | instskip(NEXT) | instid1(VALU_DEP_1)
	v_mul_lo_u32 v19, v19, s79
	v_add3_u32 v8, v18, v8, v19
	s_cbranch_scc0 .LBB71_116
	s_branch .LBB71_223
.LBB71_117:
	s_or_b32 exec_lo, exec_lo, s56
	s_waitcnt lgkmcnt(0)
	s_mov_b32 s2, 0
	s_and_saveexec_b32 s3, s55
	s_cbranch_execnz .LBB71_682
.LBB71_118:
	s_or_b32 exec_lo, exec_lo, s3
	s_and_saveexec_b32 s3, s57
	s_delay_alu instid0(SALU_CYCLE_1)
	s_xor_b32 s3, exec_lo, s3
	s_cbranch_execz .LBB71_120
.LBB71_119:
	global_store_b8 v[8:9], v14, off
.LBB71_120:
	s_or_b32 exec_lo, exec_lo, s3
	s_and_saveexec_b32 s3, s17
	s_delay_alu instid0(SALU_CYCLE_1)
	s_xor_b32 s3, exec_lo, s3
	s_cbranch_execz .LBB71_158
; %bb.121:
	v_cmp_gt_i16_e32 vcc_lo, 5, v17
	s_mov_b32 s4, -1
	s_cbranch_vccnz .LBB71_142
; %bb.122:
	v_cmp_gt_i16_e32 vcc_lo, 8, v17
	s_cbranch_vccnz .LBB71_132
; %bb.123:
	v_cmp_gt_i16_e32 vcc_lo, 9, v17
	s_cbranch_vccnz .LBB71_129
; %bb.124:
	v_cmp_lt_i16_e32 vcc_lo, 9, v17
	s_cbranch_vccz .LBB71_126
; %bb.125:
	s_mov_b32 s4, 0
	global_store_b128 v[8:9], v[0:3], off
.LBB71_126:
	s_and_not1_b32 vcc_lo, exec_lo, s4
	s_cbranch_vccnz .LBB71_128
; %bb.127:
	v_dual_mov_b32 v2, s6 :: v_dual_mov_b32 v3, s7
	global_store_b64 v[8:9], v[2:3], off
.LBB71_128:
	s_mov_b32 s4, 0
.LBB71_129:
	s_delay_alu instid0(SALU_CYCLE_1)
	s_and_not1_b32 vcc_lo, exec_lo, s4
	s_cbranch_vccnz .LBB71_131
; %bb.130:
	global_store_b32 v[8:9], v13, off
.LBB71_131:
	s_mov_b32 s4, 0
.LBB71_132:
	s_delay_alu instid0(SALU_CYCLE_1)
	s_and_not1_b32 vcc_lo, exec_lo, s4
	s_cbranch_vccnz .LBB71_141
; %bb.133:
	v_cmp_gt_i16_e32 vcc_lo, 6, v17
	s_mov_b32 s4, -1
	s_cbranch_vccnz .LBB71_139
; %bb.134:
	v_cmp_lt_i16_e32 vcc_lo, 6, v17
	s_cbranch_vccz .LBB71_136
; %bb.135:
	s_mov_b32 s4, 0
	global_store_b64 v[8:9], v[0:1], off
.LBB71_136:
	s_and_not1_b32 vcc_lo, exec_lo, s4
	s_cbranch_vccnz .LBB71_138
; %bb.137:
	v_mov_b32_e32 v0, s6
	global_store_b32 v[8:9], v0, off
.LBB71_138:
	s_mov_b32 s4, 0
.LBB71_139:
	s_delay_alu instid0(SALU_CYCLE_1)
	s_and_not1_b32 vcc_lo, exec_lo, s4
	s_cbranch_vccnz .LBB71_141
; %bb.140:
	global_store_b16 v[8:9], v12, off
.LBB71_141:
	s_mov_b32 s4, 0
.LBB71_142:
	s_delay_alu instid0(SALU_CYCLE_1)
	s_and_not1_b32 vcc_lo, exec_lo, s4
	s_cbranch_vccnz .LBB71_158
; %bb.143:
	v_cmp_gt_i16_e32 vcc_lo, 2, v17
	s_mov_b32 s4, -1
	s_cbranch_vccnz .LBB71_153
; %bb.144:
	v_cmp_gt_i16_e32 vcc_lo, 3, v17
	s_cbranch_vccnz .LBB71_150
; %bb.145:
	v_cmp_lt_i16_e32 vcc_lo, 3, v17
	s_cbranch_vccz .LBB71_147
; %bb.146:
	s_mov_b32 s4, 0
	global_store_b64 v[8:9], v[4:5], off
.LBB71_147:
	s_and_not1_b32 vcc_lo, exec_lo, s4
	s_cbranch_vccnz .LBB71_149
; %bb.148:
	global_store_b32 v[8:9], v10, off
.LBB71_149:
	s_mov_b32 s4, 0
.LBB71_150:
	s_delay_alu instid0(SALU_CYCLE_1)
	s_and_not1_b32 vcc_lo, exec_lo, s4
	s_cbranch_vccnz .LBB71_152
; %bb.151:
	global_store_b16 v[8:9], v10, off
.LBB71_152:
	s_mov_b32 s4, 0
.LBB71_153:
	s_delay_alu instid0(SALU_CYCLE_1)
	s_and_not1_b32 vcc_lo, exec_lo, s4
	s_cbranch_vccnz .LBB71_158
; %bb.154:
	v_cmp_lt_i16_e32 vcc_lo, 0, v17
	s_mov_b32 s4, -1
	s_cbranch_vccz .LBB71_156
; %bb.155:
	s_mov_b32 s4, 0
	global_store_b8 v[8:9], v10, off
.LBB71_156:
	s_and_not1_b32 vcc_lo, exec_lo, s4
	s_cbranch_vccnz .LBB71_158
; %bb.157:
	global_store_b8 v[8:9], v4, off
.LBB71_158:
	s_or_b32 exec_lo, exec_lo, s3
	s_delay_alu instid0(SALU_CYCLE_1)
	s_and_b32 s6, s2, exec_lo
                                        ; implicit-def: $vgpr4
                                        ; implicit-def: $vgpr11
.LBB71_159:
	s_or_saveexec_b32 s7, s24
	s_mov_b32 s9, 0
                                        ; implicit-def: $sgpr4
                                        ; implicit-def: $vgpr0_vgpr1
                                        ; implicit-def: $sgpr3
	s_xor_b32 exec_lo, exec_lo, s7
	s_cbranch_execz .LBB71_912
; %bb.160:
	v_cndmask_b32_e64 v0, 0, 1, s23
	s_and_not1_b32 vcc_lo, exec_lo, s23
	s_cbranch_vccnz .LBB71_166
; %bb.161:
	v_mov_b32_e32 v3, 0
	s_cmp_eq_u32 s20, 0
	s_mov_b32 s8, 0
	s_cbranch_scc1 .LBB71_170
; %bb.162:
	s_min_u32 s9, s21, 15
	v_mov_b32_e32 v3, 0
	s_add_i32 s9, s9, 1
	s_cmp_eq_u32 s21, 2
	s_mov_b32 s10, 0
	s_cbranch_scc1 .LBB71_167
; %bb.163:
	v_mov_b32_e32 v3, 0
	v_mov_b32_e32 v1, v11
	s_add_u32 s2, s0, 0xc4
	s_addc_u32 s3, s1, 0
	s_and_b32 s10, s9, 28
	s_mov_b32 s11, 0
	s_mov_b64 s[4:5], s[0:1]
.LBB71_164:                             ; =>This Inner Loop Header: Depth=1
	s_clause 0x1
	s_load_b256 s[12:19], s[4:5], 0x4
	s_load_b128 s[24:27], s[4:5], 0x24
	s_load_b128 s[28:31], s[2:3], 0x0
	s_add_u32 s4, s4, 48
	s_addc_u32 s5, s5, 0
	s_add_i32 s11, s11, 4
	s_add_u32 s2, s2, 16
	s_addc_u32 s3, s3, 0
	s_cmp_lg_u32 s10, s11
	s_waitcnt lgkmcnt(0)
	v_mul_hi_u32 v2, s13, v1
	s_delay_alu instid0(VALU_DEP_1) | instskip(NEXT) | instid1(VALU_DEP_1)
	v_add_nc_u32_e32 v2, v1, v2
	v_lshrrev_b32_e32 v2, s14, v2
	s_delay_alu instid0(VALU_DEP_1) | instskip(SKIP_1) | instid1(VALU_DEP_2)
	v_mul_hi_u32 v5, s16, v2
	v_mul_lo_u32 v8, v2, s12
	v_add_nc_u32_e32 v5, v2, v5
	s_delay_alu instid0(VALU_DEP_2) | instskip(NEXT) | instid1(VALU_DEP_2)
	v_sub_nc_u32_e32 v8, v1, v8
	v_lshrrev_b32_e32 v5, s17, v5
	s_delay_alu instid0(VALU_DEP_2) | instskip(NEXT) | instid1(VALU_DEP_2)
	v_mul_lo_u32 v8, v8, s28
	v_mul_hi_u32 v6, s19, v5
	v_mul_lo_u32 v9, v5, s15
	s_delay_alu instid0(VALU_DEP_2) | instskip(NEXT) | instid1(VALU_DEP_2)
	v_add_nc_u32_e32 v6, v5, v6
	v_sub_nc_u32_e32 v2, v2, v9
	s_delay_alu instid0(VALU_DEP_2) | instskip(NEXT) | instid1(VALU_DEP_2)
	v_lshrrev_b32_e32 v6, s24, v6
	v_mul_lo_u32 v2, v2, s29
	s_delay_alu instid0(VALU_DEP_2) | instskip(NEXT) | instid1(VALU_DEP_2)
	v_mul_hi_u32 v7, s26, v6
	v_add3_u32 v2, v8, v3, v2
	s_delay_alu instid0(VALU_DEP_2) | instskip(NEXT) | instid1(VALU_DEP_1)
	v_add_nc_u32_e32 v7, v6, v7
	v_lshrrev_b32_e32 v1, s27, v7
	v_mul_lo_u32 v7, v6, s18
	s_delay_alu instid0(VALU_DEP_2) | instskip(NEXT) | instid1(VALU_DEP_2)
	v_mul_lo_u32 v10, v1, s25
	v_sub_nc_u32_e32 v5, v5, v7
	s_delay_alu instid0(VALU_DEP_2) | instskip(NEXT) | instid1(VALU_DEP_2)
	v_sub_nc_u32_e32 v6, v6, v10
	v_mul_lo_u32 v5, v5, s30
	s_delay_alu instid0(VALU_DEP_2) | instskip(NEXT) | instid1(VALU_DEP_1)
	v_mul_lo_u32 v6, v6, s31
	v_add3_u32 v3, v5, v2, v6
	s_cbranch_scc1 .LBB71_164
; %bb.165:
	s_and_b32 s9, s9, 3
	s_delay_alu instid0(SALU_CYCLE_1)
	s_cmp_eq_u32 s9, 0
	s_cbranch_scc0 .LBB71_168
	s_branch .LBB71_170
.LBB71_166:
	s_mov_b32 s8, -1
                                        ; implicit-def: $vgpr3
	s_branch .LBB71_170
.LBB71_167:
	v_mov_b32_e32 v1, v11
	s_and_b32 s9, s9, 3
	s_delay_alu instid0(SALU_CYCLE_1)
	s_cmp_eq_u32 s9, 0
	s_cbranch_scc1 .LBB71_170
.LBB71_168:
	s_lshl_b32 s2, s10, 2
	s_mul_i32 s4, s10, 12
	s_add_u32 s2, s2, s0
	s_addc_u32 s3, 0, s1
	s_add_u32 s2, s2, 0xc4
	s_addc_u32 s3, s3, 0
	;; [unrolled: 2-line block ×3, first 2 shown]
	.p2align	6
.LBB71_169:                             ; =>This Inner Loop Header: Depth=1
	s_clause 0x1
	s_load_b64 s[10:11], s[4:5], 0x4
	s_load_b32 s12, s[4:5], 0xc
	s_add_u32 s4, s4, 12
	s_addc_u32 s5, s5, 0
	s_waitcnt lgkmcnt(0)
	v_mul_hi_u32 v2, s11, v1
	s_load_b32 s11, s[2:3], 0x0
	s_add_u32 s2, s2, 4
	s_addc_u32 s3, s3, 0
	s_add_i32 s9, s9, -1
	s_delay_alu instid0(SALU_CYCLE_1) | instskip(NEXT) | instid1(VALU_DEP_1)
	s_cmp_lg_u32 s9, 0
	v_add_nc_u32_e32 v2, v1, v2
	s_delay_alu instid0(VALU_DEP_1) | instskip(NEXT) | instid1(VALU_DEP_1)
	v_lshrrev_b32_e32 v2, s12, v2
	v_mul_lo_u32 v5, v2, s10
	s_delay_alu instid0(VALU_DEP_1) | instskip(SKIP_1) | instid1(VALU_DEP_1)
	v_sub_nc_u32_e32 v1, v1, v5
	s_waitcnt lgkmcnt(0)
	v_mad_u64_u32 v[5:6], null, v1, s11, v[3:4]
	v_mov_b32_e32 v1, v2
	s_delay_alu instid0(VALU_DEP_2)
	v_mov_b32_e32 v3, v5
	s_cbranch_scc1 .LBB71_169
.LBB71_170:
	s_and_not1_b32 vcc_lo, exec_lo, s8
	s_cbranch_vccnz .LBB71_173
; %bb.171:
	s_clause 0x1
	s_load_b128 s[8:11], s[0:1], 0x4
	s_load_b32 s2, s[0:1], 0xc4
	s_cmp_lt_u32 s20, 2
	s_waitcnt lgkmcnt(0)
	v_mul_hi_u32 v1, s9, v11
	s_delay_alu instid0(VALU_DEP_1) | instskip(NEXT) | instid1(VALU_DEP_1)
	v_add_nc_u32_e32 v1, v11, v1
	v_lshrrev_b32_e32 v1, s10, v1
	s_delay_alu instid0(VALU_DEP_1) | instskip(NEXT) | instid1(VALU_DEP_1)
	v_mul_lo_u32 v2, v1, s8
	v_sub_nc_u32_e32 v2, v11, v2
	s_delay_alu instid0(VALU_DEP_1)
	v_mul_lo_u32 v3, v2, s2
	s_cbranch_scc1 .LBB71_173
; %bb.172:
	s_clause 0x1
	s_load_b128 s[8:11], s[0:1], 0x10
	s_load_b32 s2, s[0:1], 0xc8
	s_waitcnt lgkmcnt(0)
	v_mul_hi_u32 v2, s9, v1
	s_delay_alu instid0(VALU_DEP_1) | instskip(NEXT) | instid1(VALU_DEP_1)
	v_add_nc_u32_e32 v2, v1, v2
	v_lshrrev_b32_e32 v2, s10, v2
	s_delay_alu instid0(VALU_DEP_1) | instskip(NEXT) | instid1(VALU_DEP_1)
	v_mul_lo_u32 v2, v2, s8
	v_sub_nc_u32_e32 v5, v1, v2
	s_delay_alu instid0(VALU_DEP_1) | instskip(NEXT) | instid1(VALU_DEP_1)
	v_mad_u64_u32 v[1:2], null, v5, s2, v[3:4]
	v_mov_b32_e32 v3, v1
.LBB71_173:
	v_cmp_ne_u32_e32 vcc_lo, 1, v0
	v_add_nc_u32_e32 v1, 0x80, v11
	s_cbranch_vccnz .LBB71_179
; %bb.174:
	v_mov_b32_e32 v2, 0
	s_cmp_eq_u32 s20, 0
	s_mov_b32 s8, 0
	s_cbranch_scc1 .LBB71_183
; %bb.175:
	s_min_u32 s9, s21, 15
	v_mov_b32_e32 v2, 0
	s_add_i32 s9, s9, 1
	s_cmp_eq_u32 s21, 2
	s_mov_b32 s10, 0
	s_cbranch_scc1 .LBB71_180
; %bb.176:
	v_dual_mov_b32 v2, 0 :: v_dual_mov_b32 v5, v1
	s_add_u32 s2, s0, 0xc4
	s_addc_u32 s3, s1, 0
	s_and_b32 s10, s9, 28
	s_mov_b32 s11, 0
	s_mov_b64 s[4:5], s[0:1]
.LBB71_177:                             ; =>This Inner Loop Header: Depth=1
	s_clause 0x1
	s_load_b256 s[12:19], s[4:5], 0x4
	s_load_b128 s[24:27], s[4:5], 0x24
	s_load_b128 s[28:31], s[2:3], 0x0
	s_add_u32 s4, s4, 48
	s_addc_u32 s5, s5, 0
	s_add_i32 s11, s11, 4
	s_add_u32 s2, s2, 16
	s_addc_u32 s3, s3, 0
	s_cmp_lg_u32 s10, s11
	s_waitcnt lgkmcnt(0)
	v_mul_hi_u32 v6, s13, v5
	s_delay_alu instid0(VALU_DEP_1) | instskip(NEXT) | instid1(VALU_DEP_1)
	v_add_nc_u32_e32 v6, v5, v6
	v_lshrrev_b32_e32 v6, s14, v6
	s_delay_alu instid0(VALU_DEP_1) | instskip(SKIP_1) | instid1(VALU_DEP_2)
	v_mul_hi_u32 v7, s16, v6
	v_mul_lo_u32 v10, v6, s12
	v_add_nc_u32_e32 v7, v6, v7
	s_delay_alu instid0(VALU_DEP_2) | instskip(NEXT) | instid1(VALU_DEP_2)
	v_sub_nc_u32_e32 v10, v5, v10
	v_lshrrev_b32_e32 v7, s17, v7
	s_delay_alu instid0(VALU_DEP_2) | instskip(NEXT) | instid1(VALU_DEP_2)
	v_mul_lo_u32 v10, v10, s28
	v_mul_hi_u32 v8, s19, v7
	v_mul_lo_u32 v12, v7, s15
	s_delay_alu instid0(VALU_DEP_2) | instskip(NEXT) | instid1(VALU_DEP_2)
	v_add_nc_u32_e32 v8, v7, v8
	v_sub_nc_u32_e32 v6, v6, v12
	s_delay_alu instid0(VALU_DEP_2) | instskip(NEXT) | instid1(VALU_DEP_2)
	v_lshrrev_b32_e32 v8, s24, v8
	v_mul_lo_u32 v6, v6, s29
	s_delay_alu instid0(VALU_DEP_2) | instskip(NEXT) | instid1(VALU_DEP_2)
	v_mul_hi_u32 v9, s26, v8
	v_add3_u32 v2, v10, v2, v6
	s_delay_alu instid0(VALU_DEP_2) | instskip(NEXT) | instid1(VALU_DEP_1)
	v_add_nc_u32_e32 v9, v8, v9
	v_lshrrev_b32_e32 v5, s27, v9
	v_mul_lo_u32 v9, v8, s18
	s_delay_alu instid0(VALU_DEP_2) | instskip(NEXT) | instid1(VALU_DEP_2)
	v_mul_lo_u32 v13, v5, s25
	v_sub_nc_u32_e32 v7, v7, v9
	s_delay_alu instid0(VALU_DEP_2) | instskip(NEXT) | instid1(VALU_DEP_2)
	v_sub_nc_u32_e32 v8, v8, v13
	v_mul_lo_u32 v7, v7, s30
	s_delay_alu instid0(VALU_DEP_2) | instskip(NEXT) | instid1(VALU_DEP_1)
	v_mul_lo_u32 v8, v8, s31
	v_add3_u32 v2, v7, v2, v8
	s_cbranch_scc1 .LBB71_177
; %bb.178:
	s_and_b32 s9, s9, 3
	s_delay_alu instid0(SALU_CYCLE_1)
	s_cmp_eq_u32 s9, 0
	s_cbranch_scc0 .LBB71_181
	s_branch .LBB71_183
.LBB71_179:
	s_mov_b32 s8, -1
                                        ; implicit-def: $vgpr2
	s_branch .LBB71_183
.LBB71_180:
	v_mov_b32_e32 v5, v1
	s_and_b32 s9, s9, 3
	s_delay_alu instid0(SALU_CYCLE_1)
	s_cmp_eq_u32 s9, 0
	s_cbranch_scc1 .LBB71_183
.LBB71_181:
	s_lshl_b32 s2, s10, 2
	s_mul_i32 s4, s10, 12
	s_add_u32 s2, s2, s0
	s_addc_u32 s3, 0, s1
	s_add_u32 s2, s2, 0xc4
	s_addc_u32 s3, s3, 0
	;; [unrolled: 2-line block ×3, first 2 shown]
	.p2align	6
.LBB71_182:                             ; =>This Inner Loop Header: Depth=1
	s_clause 0x1
	s_load_b64 s[10:11], s[4:5], 0x4
	s_load_b32 s12, s[4:5], 0xc
	s_add_u32 s4, s4, 12
	s_addc_u32 s5, s5, 0
	s_waitcnt lgkmcnt(0)
	v_mul_hi_u32 v6, s11, v5
	s_load_b32 s11, s[2:3], 0x0
	s_add_u32 s2, s2, 4
	s_addc_u32 s3, s3, 0
	s_add_i32 s9, s9, -1
	s_delay_alu instid0(SALU_CYCLE_1) | instskip(NEXT) | instid1(VALU_DEP_1)
	s_cmp_lg_u32 s9, 0
	v_add_nc_u32_e32 v6, v5, v6
	s_delay_alu instid0(VALU_DEP_1) | instskip(NEXT) | instid1(VALU_DEP_1)
	v_lshrrev_b32_e32 v8, s12, v6
	v_mul_lo_u32 v6, v8, s10
	s_delay_alu instid0(VALU_DEP_1) | instskip(SKIP_1) | instid1(VALU_DEP_1)
	v_sub_nc_u32_e32 v5, v5, v6
	s_waitcnt lgkmcnt(0)
	v_mad_u64_u32 v[6:7], null, v5, s11, v[2:3]
	s_delay_alu instid0(VALU_DEP_1)
	v_dual_mov_b32 v5, v8 :: v_dual_mov_b32 v2, v6
	s_cbranch_scc1 .LBB71_182
.LBB71_183:
	s_and_not1_b32 vcc_lo, exec_lo, s8
	s_cbranch_vccnz .LBB71_186
; %bb.184:
	s_clause 0x1
	s_load_b128 s[8:11], s[0:1], 0x4
	s_load_b32 s2, s[0:1], 0xc4
	s_cmp_lt_u32 s20, 2
	s_waitcnt lgkmcnt(0)
	v_mul_hi_u32 v2, s9, v1
	s_delay_alu instid0(VALU_DEP_1) | instskip(NEXT) | instid1(VALU_DEP_1)
	v_add_nc_u32_e32 v2, v1, v2
	v_lshrrev_b32_e32 v5, s10, v2
	s_delay_alu instid0(VALU_DEP_1) | instskip(NEXT) | instid1(VALU_DEP_1)
	v_mul_lo_u32 v2, v5, s8
	v_sub_nc_u32_e32 v1, v1, v2
	s_delay_alu instid0(VALU_DEP_1)
	v_mul_lo_u32 v2, v1, s2
	s_cbranch_scc1 .LBB71_186
; %bb.185:
	s_clause 0x1
	s_load_b128 s[8:11], s[0:1], 0x10
	s_load_b32 s2, s[0:1], 0xc8
	s_waitcnt lgkmcnt(0)
	v_mul_hi_u32 v1, s9, v5
	s_delay_alu instid0(VALU_DEP_1) | instskip(NEXT) | instid1(VALU_DEP_1)
	v_add_nc_u32_e32 v1, v5, v1
	v_lshrrev_b32_e32 v1, s10, v1
	s_delay_alu instid0(VALU_DEP_1) | instskip(NEXT) | instid1(VALU_DEP_1)
	v_mul_lo_u32 v1, v1, s8
	v_sub_nc_u32_e32 v1, v5, v1
	s_delay_alu instid0(VALU_DEP_1) | instskip(NEXT) | instid1(VALU_DEP_1)
	v_mad_u64_u32 v[5:6], null, v1, s2, v[2:3]
	v_mov_b32_e32 v2, v5
.LBB71_186:
	v_cmp_ne_u32_e32 vcc_lo, 1, v0
	v_add_nc_u32_e32 v5, 0x100, v11
	s_cbranch_vccnz .LBB71_192
; %bb.187:
	v_mov_b32_e32 v1, 0
	s_cmp_eq_u32 s20, 0
	s_mov_b32 s8, 0
	s_cbranch_scc1 .LBB71_196
; %bb.188:
	s_min_u32 s9, s21, 15
	v_mov_b32_e32 v1, 0
	s_add_i32 s9, s9, 1
	s_cmp_eq_u32 s21, 2
	s_mov_b32 s10, 0
	s_cbranch_scc1 .LBB71_193
; %bb.189:
	v_dual_mov_b32 v1, 0 :: v_dual_mov_b32 v6, v5
	s_add_u32 s2, s0, 0xc4
	s_addc_u32 s3, s1, 0
	s_and_b32 s10, s9, 28
	s_mov_b32 s11, 0
	s_mov_b64 s[4:5], s[0:1]
.LBB71_190:                             ; =>This Inner Loop Header: Depth=1
	s_clause 0x1
	s_load_b256 s[12:19], s[4:5], 0x4
	s_load_b128 s[24:27], s[4:5], 0x24
	s_load_b128 s[28:31], s[2:3], 0x0
	s_add_u32 s4, s4, 48
	s_addc_u32 s5, s5, 0
	s_add_i32 s11, s11, 4
	s_add_u32 s2, s2, 16
	s_addc_u32 s3, s3, 0
	s_cmp_lg_u32 s10, s11
	s_waitcnt lgkmcnt(0)
	v_mul_hi_u32 v7, s13, v6
	s_delay_alu instid0(VALU_DEP_1) | instskip(NEXT) | instid1(VALU_DEP_1)
	v_add_nc_u32_e32 v7, v6, v7
	v_lshrrev_b32_e32 v7, s14, v7
	s_delay_alu instid0(VALU_DEP_1) | instskip(SKIP_1) | instid1(VALU_DEP_2)
	v_mul_hi_u32 v8, s16, v7
	v_mul_lo_u32 v11, v7, s12
	v_add_nc_u32_e32 v8, v7, v8
	s_delay_alu instid0(VALU_DEP_2) | instskip(NEXT) | instid1(VALU_DEP_2)
	v_sub_nc_u32_e32 v11, v6, v11
	v_lshrrev_b32_e32 v8, s17, v8
	s_delay_alu instid0(VALU_DEP_2) | instskip(NEXT) | instid1(VALU_DEP_2)
	v_mul_lo_u32 v11, v11, s28
	v_mul_hi_u32 v9, s19, v8
	v_mul_lo_u32 v12, v8, s15
	s_delay_alu instid0(VALU_DEP_2) | instskip(NEXT) | instid1(VALU_DEP_2)
	v_add_nc_u32_e32 v9, v8, v9
	v_sub_nc_u32_e32 v7, v7, v12
	s_delay_alu instid0(VALU_DEP_2) | instskip(NEXT) | instid1(VALU_DEP_2)
	v_lshrrev_b32_e32 v9, s24, v9
	v_mul_lo_u32 v7, v7, s29
	s_delay_alu instid0(VALU_DEP_2) | instskip(NEXT) | instid1(VALU_DEP_2)
	v_mul_hi_u32 v10, s26, v9
	v_add3_u32 v1, v11, v1, v7
	s_delay_alu instid0(VALU_DEP_2) | instskip(NEXT) | instid1(VALU_DEP_1)
	v_add_nc_u32_e32 v10, v9, v10
	v_lshrrev_b32_e32 v6, s27, v10
	v_mul_lo_u32 v10, v9, s18
	s_delay_alu instid0(VALU_DEP_2) | instskip(NEXT) | instid1(VALU_DEP_2)
	v_mul_lo_u32 v13, v6, s25
	v_sub_nc_u32_e32 v8, v8, v10
	s_delay_alu instid0(VALU_DEP_2) | instskip(NEXT) | instid1(VALU_DEP_2)
	v_sub_nc_u32_e32 v9, v9, v13
	v_mul_lo_u32 v8, v8, s30
	s_delay_alu instid0(VALU_DEP_2) | instskip(NEXT) | instid1(VALU_DEP_1)
	v_mul_lo_u32 v9, v9, s31
	v_add3_u32 v1, v8, v1, v9
	s_cbranch_scc1 .LBB71_190
; %bb.191:
	s_and_b32 s9, s9, 3
	s_delay_alu instid0(SALU_CYCLE_1)
	s_cmp_eq_u32 s9, 0
	s_cbranch_scc0 .LBB71_194
	s_branch .LBB71_196
.LBB71_192:
	s_mov_b32 s8, -1
                                        ; implicit-def: $vgpr1
	s_branch .LBB71_196
.LBB71_193:
	v_mov_b32_e32 v6, v5
	s_and_b32 s9, s9, 3
	s_delay_alu instid0(SALU_CYCLE_1)
	s_cmp_eq_u32 s9, 0
	s_cbranch_scc1 .LBB71_196
.LBB71_194:
	s_lshl_b32 s2, s10, 2
	s_mul_i32 s4, s10, 12
	s_add_u32 s2, s2, s0
	s_addc_u32 s3, 0, s1
	s_add_u32 s2, s2, 0xc4
	s_addc_u32 s3, s3, 0
	s_add_u32 s4, s0, s4
	s_addc_u32 s5, 0, s1
	.p2align	6
.LBB71_195:                             ; =>This Inner Loop Header: Depth=1
	s_clause 0x1
	s_load_b64 s[10:11], s[4:5], 0x4
	s_load_b32 s12, s[4:5], 0xc
	s_add_u32 s4, s4, 12
	s_addc_u32 s5, s5, 0
	s_waitcnt lgkmcnt(0)
	v_mul_hi_u32 v7, s11, v6
	s_load_b32 s11, s[2:3], 0x0
	s_add_u32 s2, s2, 4
	s_addc_u32 s3, s3, 0
	s_add_i32 s9, s9, -1
	s_delay_alu instid0(SALU_CYCLE_1) | instskip(NEXT) | instid1(VALU_DEP_1)
	s_cmp_lg_u32 s9, 0
	v_add_nc_u32_e32 v7, v6, v7
	s_delay_alu instid0(VALU_DEP_1) | instskip(NEXT) | instid1(VALU_DEP_1)
	v_lshrrev_b32_e32 v9, s12, v7
	v_mul_lo_u32 v7, v9, s10
	s_delay_alu instid0(VALU_DEP_1) | instskip(SKIP_1) | instid1(VALU_DEP_1)
	v_sub_nc_u32_e32 v6, v6, v7
	s_waitcnt lgkmcnt(0)
	v_mad_u64_u32 v[7:8], null, v6, s11, v[1:2]
	s_delay_alu instid0(VALU_DEP_1)
	v_dual_mov_b32 v6, v9 :: v_dual_mov_b32 v1, v7
	s_cbranch_scc1 .LBB71_195
.LBB71_196:
	s_and_not1_b32 vcc_lo, exec_lo, s8
	s_cbranch_vccnz .LBB71_199
; %bb.197:
	s_clause 0x1
	s_load_b128 s[8:11], s[0:1], 0x4
	s_load_b32 s2, s[0:1], 0xc4
	s_cmp_lt_u32 s20, 2
	s_waitcnt lgkmcnt(0)
	v_mul_hi_u32 v1, s9, v5
	s_delay_alu instid0(VALU_DEP_1) | instskip(NEXT) | instid1(VALU_DEP_1)
	v_add_nc_u32_e32 v1, v5, v1
	v_lshrrev_b32_e32 v6, s10, v1
	s_delay_alu instid0(VALU_DEP_1) | instskip(NEXT) | instid1(VALU_DEP_1)
	v_mul_lo_u32 v1, v6, s8
	v_sub_nc_u32_e32 v1, v5, v1
	s_delay_alu instid0(VALU_DEP_1)
	v_mul_lo_u32 v1, v1, s2
	s_cbranch_scc1 .LBB71_199
; %bb.198:
	s_clause 0x1
	s_load_b128 s[8:11], s[0:1], 0x10
	s_load_b32 s2, s[0:1], 0xc8
	s_waitcnt lgkmcnt(0)
	v_mul_hi_u32 v5, s9, v6
	s_delay_alu instid0(VALU_DEP_1) | instskip(NEXT) | instid1(VALU_DEP_1)
	v_add_nc_u32_e32 v5, v6, v5
	v_lshrrev_b32_e32 v5, s10, v5
	s_delay_alu instid0(VALU_DEP_1) | instskip(NEXT) | instid1(VALU_DEP_1)
	v_mul_lo_u32 v5, v5, s8
	v_sub_nc_u32_e32 v7, v6, v5
	s_delay_alu instid0(VALU_DEP_1) | instskip(NEXT) | instid1(VALU_DEP_1)
	v_mad_u64_u32 v[5:6], null, v7, s2, v[1:2]
	v_mov_b32_e32 v1, v5
.LBB71_199:
	v_cmp_ne_u32_e32 vcc_lo, 1, v0
	s_cbranch_vccnz .LBB71_205
; %bb.200:
	v_mov_b32_e32 v0, 0
	s_cmp_eq_u32 s20, 0
	s_mov_b32 s8, 0
	s_cbranch_scc1 .LBB71_209
; %bb.201:
	s_min_u32 s9, s21, 15
	v_mov_b32_e32 v0, 0
	s_add_i32 s9, s9, 1
	s_cmp_eq_u32 s21, 2
	s_mov_b32 s10, 0
	s_cbranch_scc1 .LBB71_206
; %bb.202:
	v_dual_mov_b32 v0, 0 :: v_dual_mov_b32 v5, v4
	s_add_u32 s2, s0, 0xc4
	s_addc_u32 s3, s1, 0
	s_and_b32 s10, s9, 28
	s_mov_b32 s11, 0
	s_mov_b64 s[4:5], s[0:1]
.LBB71_203:                             ; =>This Inner Loop Header: Depth=1
	s_clause 0x1
	s_load_b256 s[12:19], s[4:5], 0x4
	s_load_b128 s[24:27], s[4:5], 0x24
	s_load_b128 s[28:31], s[2:3], 0x0
	s_add_u32 s4, s4, 48
	s_addc_u32 s5, s5, 0
	s_add_i32 s11, s11, 4
	s_add_u32 s2, s2, 16
	s_addc_u32 s3, s3, 0
	s_cmp_lg_u32 s10, s11
	s_waitcnt lgkmcnt(0)
	v_mul_hi_u32 v6, s13, v5
	s_delay_alu instid0(VALU_DEP_1) | instskip(NEXT) | instid1(VALU_DEP_1)
	v_add_nc_u32_e32 v6, v5, v6
	v_lshrrev_b32_e32 v6, s14, v6
	s_delay_alu instid0(VALU_DEP_1) | instskip(SKIP_1) | instid1(VALU_DEP_2)
	v_mul_hi_u32 v7, s16, v6
	v_mul_lo_u32 v10, v6, s12
	v_add_nc_u32_e32 v7, v6, v7
	s_delay_alu instid0(VALU_DEP_2) | instskip(NEXT) | instid1(VALU_DEP_2)
	v_sub_nc_u32_e32 v10, v5, v10
	v_lshrrev_b32_e32 v7, s17, v7
	s_delay_alu instid0(VALU_DEP_2) | instskip(NEXT) | instid1(VALU_DEP_2)
	v_mul_lo_u32 v10, v10, s28
	v_mul_hi_u32 v8, s19, v7
	v_mul_lo_u32 v11, v7, s15
	s_delay_alu instid0(VALU_DEP_2) | instskip(NEXT) | instid1(VALU_DEP_2)
	v_add_nc_u32_e32 v8, v7, v8
	v_sub_nc_u32_e32 v6, v6, v11
	s_delay_alu instid0(VALU_DEP_2) | instskip(NEXT) | instid1(VALU_DEP_2)
	v_lshrrev_b32_e32 v8, s24, v8
	v_mul_lo_u32 v6, v6, s29
	s_delay_alu instid0(VALU_DEP_2) | instskip(NEXT) | instid1(VALU_DEP_2)
	v_mul_hi_u32 v9, s26, v8
	v_add3_u32 v0, v10, v0, v6
	s_delay_alu instid0(VALU_DEP_2) | instskip(NEXT) | instid1(VALU_DEP_1)
	v_add_nc_u32_e32 v9, v8, v9
	v_lshrrev_b32_e32 v5, s27, v9
	v_mul_lo_u32 v9, v8, s18
	s_delay_alu instid0(VALU_DEP_2) | instskip(NEXT) | instid1(VALU_DEP_2)
	v_mul_lo_u32 v12, v5, s25
	v_sub_nc_u32_e32 v7, v7, v9
	s_delay_alu instid0(VALU_DEP_2) | instskip(NEXT) | instid1(VALU_DEP_2)
	v_sub_nc_u32_e32 v8, v8, v12
	v_mul_lo_u32 v7, v7, s30
	s_delay_alu instid0(VALU_DEP_2) | instskip(NEXT) | instid1(VALU_DEP_1)
	v_mul_lo_u32 v8, v8, s31
	v_add3_u32 v0, v7, v0, v8
	s_cbranch_scc1 .LBB71_203
; %bb.204:
	s_and_b32 s9, s9, 3
	s_delay_alu instid0(SALU_CYCLE_1)
	s_cmp_eq_u32 s9, 0
	s_cbranch_scc0 .LBB71_207
	s_branch .LBB71_209
.LBB71_205:
	s_mov_b32 s8, -1
                                        ; implicit-def: $vgpr0
	s_branch .LBB71_209
.LBB71_206:
	v_mov_b32_e32 v5, v4
	s_and_b32 s9, s9, 3
	s_delay_alu instid0(SALU_CYCLE_1)
	s_cmp_eq_u32 s9, 0
	s_cbranch_scc1 .LBB71_209
.LBB71_207:
	s_lshl_b32 s2, s10, 2
	s_mul_i32 s4, s10, 12
	s_add_u32 s2, s2, s0
	s_addc_u32 s3, 0, s1
	s_add_u32 s2, s2, 0xc4
	s_addc_u32 s3, s3, 0
	s_add_u32 s4, s0, s4
	s_addc_u32 s5, 0, s1
	.p2align	6
.LBB71_208:                             ; =>This Inner Loop Header: Depth=1
	s_clause 0x1
	s_load_b64 s[10:11], s[4:5], 0x4
	s_load_b32 s12, s[4:5], 0xc
	s_add_u32 s4, s4, 12
	s_addc_u32 s5, s5, 0
	s_waitcnt lgkmcnt(0)
	v_mul_hi_u32 v6, s11, v5
	s_load_b32 s11, s[2:3], 0x0
	s_add_u32 s2, s2, 4
	s_addc_u32 s3, s3, 0
	s_add_i32 s9, s9, -1
	s_delay_alu instid0(SALU_CYCLE_1) | instskip(NEXT) | instid1(VALU_DEP_1)
	s_cmp_lg_u32 s9, 0
	v_add_nc_u32_e32 v6, v5, v6
	s_delay_alu instid0(VALU_DEP_1) | instskip(NEXT) | instid1(VALU_DEP_1)
	v_lshrrev_b32_e32 v8, s12, v6
	v_mul_lo_u32 v6, v8, s10
	s_delay_alu instid0(VALU_DEP_1) | instskip(SKIP_1) | instid1(VALU_DEP_1)
	v_sub_nc_u32_e32 v5, v5, v6
	s_waitcnt lgkmcnt(0)
	v_mad_u64_u32 v[6:7], null, v5, s11, v[0:1]
	s_delay_alu instid0(VALU_DEP_1)
	v_dual_mov_b32 v5, v8 :: v_dual_mov_b32 v0, v6
	s_cbranch_scc1 .LBB71_208
.LBB71_209:
	s_and_not1_b32 vcc_lo, exec_lo, s8
	s_cbranch_vccnz .LBB71_212
; %bb.210:
	s_clause 0x1
	s_load_b128 s[8:11], s[0:1], 0x4
	s_load_b32 s2, s[0:1], 0xc4
	s_cmp_lt_u32 s20, 2
	s_waitcnt lgkmcnt(0)
	v_mul_hi_u32 v0, s9, v4
	s_delay_alu instid0(VALU_DEP_1) | instskip(NEXT) | instid1(VALU_DEP_1)
	v_add_nc_u32_e32 v0, v4, v0
	v_lshrrev_b32_e32 v5, s10, v0
	s_delay_alu instid0(VALU_DEP_1) | instskip(NEXT) | instid1(VALU_DEP_1)
	v_mul_lo_u32 v0, v5, s8
	v_sub_nc_u32_e32 v0, v4, v0
	s_delay_alu instid0(VALU_DEP_1)
	v_mul_lo_u32 v0, v0, s2
	s_cbranch_scc1 .LBB71_212
; %bb.211:
	s_clause 0x1
	s_load_b128 s[8:11], s[0:1], 0x10
	s_load_b32 s2, s[0:1], 0xc8
	s_waitcnt lgkmcnt(0)
	v_mul_hi_u32 v4, s9, v5
	s_delay_alu instid0(VALU_DEP_1) | instskip(NEXT) | instid1(VALU_DEP_1)
	v_add_nc_u32_e32 v4, v5, v4
	v_lshrrev_b32_e32 v4, s10, v4
	s_delay_alu instid0(VALU_DEP_1) | instskip(NEXT) | instid1(VALU_DEP_1)
	v_mul_lo_u32 v4, v4, s8
	v_sub_nc_u32_e32 v6, v5, v4
	s_delay_alu instid0(VALU_DEP_1) | instskip(NEXT) | instid1(VALU_DEP_1)
	v_mad_u64_u32 v[4:5], null, v6, s2, v[0:1]
	v_mov_b32_e32 v0, v4
.LBB71_212:
	s_clause 0x1
	s_load_b32 s4, s[0:1], 0x118
	s_load_b128 s[0:3], s[0:1], 0x108
	s_mov_b32 s9, 0
	s_waitcnt lgkmcnt(0)
	s_and_b32 s4, s4, 0xff
	v_add_co_u32 v3, s8, s0, v3
	v_cmp_lt_i16_e64 s5, s4, 11
	v_add_co_ci_u32_e64 v4, null, s1, 0, s8
	s_mov_b32 s8, -1
	s_delay_alu instid0(VALU_DEP_2)
	s_and_b32 vcc_lo, exec_lo, s5
	s_mov_b32 s5, s6
	s_cbranch_vccnz .LBB71_473
; %bb.213:
	v_cmp_gt_i16_e64 s5, s4, 25
	s_mov_b32 s10, -1
	s_mov_b32 s8, 0
	s_delay_alu instid0(VALU_DEP_1)
	s_and_b32 vcc_lo, exec_lo, s5
	s_mov_b32 s5, 0
	s_cbranch_vccz .LBB71_308
; %bb.214:
	v_cmp_gt_i16_e64 s5, s4, 28
	s_delay_alu instid0(VALU_DEP_1)
	s_and_b32 vcc_lo, exec_lo, s5
	s_cbranch_vccz .LBB71_220
; %bb.215:
	v_cmp_gt_i16_e64 s5, s4, 43
	s_delay_alu instid0(VALU_DEP_1)
	s_and_b32 vcc_lo, exec_lo, s5
	;; [unrolled: 5-line block ×3, first 2 shown]
	s_cbranch_vccz .LBB71_278
; %bb.217:
	v_cmp_eq_u16_e64 s9, s4, 46
	s_mov_b32 s5, -1
	s_mov_b32 s10, 0
	s_delay_alu instid0(VALU_DEP_1)
	s_and_b32 vcc_lo, exec_lo, s9
	s_mov_b32 s9, 0
	s_cbranch_vccz .LBB71_279
; %bb.218:
	s_bfe_u32 s5, s2, 0x10010
	s_bfe_u32 s9, s3, 0x10010
	s_add_i32 s5, s2, s5
	s_add_i32 s9, s3, s9
	v_cmp_o_f32_e64 s11, s3, s3
	v_cmp_o_f32_e64 s12, s2, s2
	s_addk_i32 s5, 0x7fff
	s_addk_i32 s9, 0x7fff
	s_lshr_b32 s5, s5, 16
	s_and_b32 s9, s9, 0xffff0000
	s_and_b32 s11, s11, exec_lo
	s_cselect_b32 s9, s9, 0x7fc00000
	s_and_b32 s11, s12, exec_lo
	s_cselect_b32 s5, s5, 0x7fc0
	s_delay_alu instid0(SALU_CYCLE_1)
	s_or_b32 s5, s9, s5
	s_mov_b32 s9, -1
	v_mov_b32_e32 v5, s5
	s_mov_b32 s5, 0
	global_store_b32 v[3:4], v5, off
	s_branch .LBB71_279
.LBB71_219:
                                        ; implicit-def: $vgpr8
	s_branch .LBB71_227
.LBB71_220:
	s_mov_b32 s5, 0
	s_branch .LBB71_288
.LBB71_221:
	s_mov_b32 s5, 0
	s_and_b32 vcc_lo, exec_lo, s10
	s_cbranch_vccnz .LBB71_285
	s_branch .LBB71_287
.LBB71_222:
	v_mov_b32_e32 v9, v11
.LBB71_223:
	s_and_b32 s59, s59, 3
	s_delay_alu instid0(SALU_CYCLE_1)
	s_cmp_eq_u32 s59, 0
	s_cbranch_scc1 .LBB71_226
; %bb.224:
	s_lshl_b32 s16, s57, 2
	s_mul_i32 s18, s57, 12
	s_add_u32 s16, s16, s0
	s_addc_u32 s17, s1, 0
	s_add_u32 s16, s16, 0xc4
	s_addc_u32 s17, s17, 0
	;; [unrolled: 2-line block ×3, first 2 shown]
	.p2align	6
.LBB71_225:                             ; =>This Inner Loop Header: Depth=1
	s_clause 0x1
	s_load_b64 s[60:61], s[18:19], 0x4
	s_load_b32 s57, s[18:19], 0xc
	s_add_u32 s18, s18, 12
	s_addc_u32 s19, s19, 0
	s_waitcnt lgkmcnt(0)
	v_mul_hi_u32 v17, s61, v9
	s_load_b32 s61, s[16:17], 0x0
	s_add_u32 s16, s16, 4
	s_addc_u32 s17, s17, 0
	s_add_i32 s59, s59, -1
	s_delay_alu instid0(SALU_CYCLE_1) | instskip(NEXT) | instid1(VALU_DEP_1)
	s_cmp_lg_u32 s59, 0
	v_add_nc_u32_e32 v17, v9, v17
	s_delay_alu instid0(VALU_DEP_1) | instskip(NEXT) | instid1(VALU_DEP_1)
	v_lshrrev_b32_e32 v19, s57, v17
	v_mul_lo_u32 v17, v19, s60
	s_delay_alu instid0(VALU_DEP_1) | instskip(SKIP_1) | instid1(VALU_DEP_1)
	v_sub_nc_u32_e32 v9, v9, v17
	s_waitcnt lgkmcnt(0)
	v_mad_u64_u32 v[17:18], null, v9, s61, v[8:9]
	s_delay_alu instid0(VALU_DEP_1)
	v_dual_mov_b32 v9, v19 :: v_dual_mov_b32 v8, v17
	s_cbranch_scc1 .LBB71_225
.LBB71_226:
	s_cbranch_execnz .LBB71_229
.LBB71_227:
	s_waitcnt lgkmcnt(0)
	v_mul_hi_u32 v8, s9, v11
	s_and_not1_b32 vcc_lo, exec_lo, s49
	s_delay_alu instid0(VALU_DEP_1) | instskip(NEXT) | instid1(VALU_DEP_1)
	v_add_nc_u32_e32 v8, v11, v8
	v_lshrrev_b32_e32 v9, s10, v8
	s_delay_alu instid0(VALU_DEP_1) | instskip(NEXT) | instid1(VALU_DEP_1)
	v_mul_lo_u32 v8, v9, s8
	v_sub_nc_u32_e32 v8, v11, v8
	s_delay_alu instid0(VALU_DEP_1)
	v_mul_lo_u32 v8, v8, s2
	s_cbranch_vccnz .LBB71_229
; %bb.228:
	v_mul_hi_u32 v17, s12, v9
	s_delay_alu instid0(VALU_DEP_1) | instskip(NEXT) | instid1(VALU_DEP_1)
	v_add_nc_u32_e32 v17, v9, v17
	v_lshrrev_b32_e32 v17, s13, v17
	s_delay_alu instid0(VALU_DEP_1) | instskip(NEXT) | instid1(VALU_DEP_1)
	v_mul_lo_u32 v17, v17, s11
	v_sub_nc_u32_e32 v9, v9, v17
	s_delay_alu instid0(VALU_DEP_1) | instskip(NEXT) | instid1(VALU_DEP_1)
	v_mad_u64_u32 v[17:18], null, v9, s3, v[8:9]
	v_mov_b32_e32 v8, v17
.LBB71_229:
	v_and_b32_e64 v17, 0xff, s50
	s_delay_alu instid0(VALU_DEP_2) | instskip(NEXT) | instid1(VALU_DEP_1)
	v_add_co_u32 v8, s16, s4, v8
	v_add_co_ci_u32_e64 v9, null, s5, 0, s16
	s_delay_alu instid0(VALU_DEP_3)
	v_cmp_gt_i16_e32 vcc_lo, 11, v17
	s_mov_b32 s17, 0
	s_mov_b32 s18, -1
	s_mov_b32 s16, s55
	s_cbranch_vccnz .LBB71_236
; %bb.230:
	v_cmp_lt_i16_e32 vcc_lo, 25, v17
	s_cbranch_vccz .LBB71_276
; %bb.231:
	v_cmp_lt_i16_e32 vcc_lo, 28, v17
	s_cbranch_vccz .LBB71_277
	;; [unrolled: 3-line block ×4, first 2 shown]
; %bb.234:
	v_cmp_eq_u16_e32 vcc_lo, 46, v17
	s_mov_b32 s18, 0
	s_mov_b32 s16, -1
	s_cbranch_vccz .LBB71_316
; %bb.235:
	v_mov_b32_e32 v18, s51
	s_mov_b32 s17, -1
	s_mov_b32 s16, 0
	global_store_b32 v[8:9], v18, off
	s_branch .LBB71_316
.LBB71_236:
	s_and_b32 vcc_lo, exec_lo, s18
	s_cbranch_vccz .LBB71_361
; %bb.237:
	v_cmp_gt_i16_e32 vcc_lo, 5, v17
	s_mov_b32 s17, -1
	s_cbranch_vccnz .LBB71_258
; %bb.238:
	v_cmp_gt_i16_e32 vcc_lo, 8, v17
	s_cbranch_vccnz .LBB71_248
; %bb.239:
	v_cmp_gt_i16_e32 vcc_lo, 9, v17
	s_cbranch_vccnz .LBB71_245
; %bb.240:
	v_cmp_lt_i16_e32 vcc_lo, 9, v17
	s_cbranch_vccz .LBB71_242
; %bb.241:
	s_mov_b32 s17, 0
	global_store_b128 v[8:9], v[0:3], off
.LBB71_242:
	s_and_not1_b32 vcc_lo, exec_lo, s17
	s_cbranch_vccnz .LBB71_244
; %bb.243:
	v_dual_mov_b32 v18, s6 :: v_dual_mov_b32 v19, s7
	global_store_b64 v[8:9], v[18:19], off
.LBB71_244:
	s_mov_b32 s17, 0
.LBB71_245:
	s_delay_alu instid0(SALU_CYCLE_1)
	s_and_not1_b32 vcc_lo, exec_lo, s17
	s_cbranch_vccnz .LBB71_247
; %bb.246:
	global_store_b32 v[8:9], v13, off
.LBB71_247:
	s_mov_b32 s17, 0
.LBB71_248:
	s_delay_alu instid0(SALU_CYCLE_1)
	s_and_not1_b32 vcc_lo, exec_lo, s17
	s_cbranch_vccnz .LBB71_257
; %bb.249:
	v_cmp_gt_i16_e32 vcc_lo, 6, v17
	s_mov_b32 s17, -1
	s_cbranch_vccnz .LBB71_255
; %bb.250:
	v_cmp_lt_i16_e32 vcc_lo, 6, v17
	s_cbranch_vccz .LBB71_252
; %bb.251:
	s_mov_b32 s17, 0
	global_store_b64 v[8:9], v[0:1], off
.LBB71_252:
	s_and_not1_b32 vcc_lo, exec_lo, s17
	s_cbranch_vccnz .LBB71_254
; %bb.253:
	v_mov_b32_e32 v18, s6
	global_store_b32 v[8:9], v18, off
.LBB71_254:
	s_mov_b32 s17, 0
.LBB71_255:
	s_delay_alu instid0(SALU_CYCLE_1)
	s_and_not1_b32 vcc_lo, exec_lo, s17
	s_cbranch_vccnz .LBB71_257
; %bb.256:
	global_store_b16 v[8:9], v12, off
.LBB71_257:
	s_mov_b32 s17, 0
.LBB71_258:
	s_delay_alu instid0(SALU_CYCLE_1)
	s_and_not1_b32 vcc_lo, exec_lo, s17
	s_cbranch_vccnz .LBB71_274
; %bb.259:
	v_cmp_gt_i16_e32 vcc_lo, 2, v17
	s_mov_b32 s17, -1
	s_cbranch_vccnz .LBB71_269
; %bb.260:
	v_cmp_gt_i16_e32 vcc_lo, 3, v17
	s_cbranch_vccnz .LBB71_266
; %bb.261:
	v_cmp_lt_i16_e32 vcc_lo, 3, v17
	s_cbranch_vccz .LBB71_263
; %bb.262:
	s_mov_b32 s17, 0
	global_store_b64 v[8:9], v[4:5], off
.LBB71_263:
	s_and_not1_b32 vcc_lo, exec_lo, s17
	s_cbranch_vccnz .LBB71_265
; %bb.264:
	global_store_b32 v[8:9], v10, off
.LBB71_265:
	s_mov_b32 s17, 0
.LBB71_266:
	s_delay_alu instid0(SALU_CYCLE_1)
	s_and_not1_b32 vcc_lo, exec_lo, s17
	s_cbranch_vccnz .LBB71_268
; %bb.267:
	global_store_b16 v[8:9], v10, off
.LBB71_268:
	s_mov_b32 s17, 0
.LBB71_269:
	s_delay_alu instid0(SALU_CYCLE_1)
	s_and_not1_b32 vcc_lo, exec_lo, s17
	s_cbranch_vccnz .LBB71_274
; %bb.270:
	v_cmp_lt_i16_e32 vcc_lo, 0, v17
	s_mov_b32 s17, -1
	s_cbranch_vccz .LBB71_272
; %bb.271:
	s_mov_b32 s17, 0
	global_store_b8 v[8:9], v10, off
.LBB71_272:
	s_and_not1_b32 vcc_lo, exec_lo, s17
	s_cbranch_vccnz .LBB71_274
; %bb.273:
	global_store_b8 v[8:9], v4, off
.LBB71_274:
	s_branch .LBB71_362
.LBB71_275:
	s_mov_b32 s17, 0
                                        ; implicit-def: $vgpr11
	s_branch .LBB71_363
.LBB71_276:
	s_mov_b32 s16, s55
	s_branch .LBB71_338
.LBB71_277:
	s_mov_b32 s16, s55
	s_branch .LBB71_324
.LBB71_278:
	s_mov_b32 s5, 0
.LBB71_279:
	s_and_b32 vcc_lo, exec_lo, s10
	s_cbranch_vccz .LBB71_284
; %bb.280:
	v_cmp_eq_u16_e64 s5, s4, 44
	s_delay_alu instid0(VALU_DEP_1)
	s_and_b32 vcc_lo, exec_lo, s5
	s_mov_b32 s5, -1
	s_cbranch_vccz .LBB71_284
; %bb.281:
	v_mov_b32_e32 v5, 0xff
	s_bfe_u32 s5, s2, 0x80017
	s_delay_alu instid0(SALU_CYCLE_1)
	s_cmpk_eq_i32 s5, 0xff
	s_cbranch_scc1 .LBB71_283
; %bb.282:
	s_lshr_b32 s9, s2, 23
	s_bitcmp1_b32 s2, 22
	s_cselect_b32 s10, -1, 0
	s_and_b32 s11, s2, 0x3fffff
	s_delay_alu instid0(SALU_CYCLE_1) | instskip(NEXT) | instid1(SALU_CYCLE_1)
	s_or_b32 s5, s5, s11
	s_cmp_lg_u32 s5, 0
	s_cselect_b32 s5, -1, 0
	s_delay_alu instid0(SALU_CYCLE_1) | instskip(NEXT) | instid1(SALU_CYCLE_1)
	s_and_b32 s5, s10, s5
	v_cndmask_b32_e64 v5, 0, 1, s5
	s_delay_alu instid0(VALU_DEP_1)
	v_add_nc_u32_e32 v5, s9, v5
.LBB71_283:
	s_mov_b32 s5, 0
	s_mov_b32 s9, -1
	global_store_b8 v[3:4], v5, off
.LBB71_284:
	s_branch .LBB71_287
.LBB71_285:
	v_cmp_eq_u16_e64 s5, s4, 29
	s_delay_alu instid0(VALU_DEP_1)
	s_and_b32 vcc_lo, exec_lo, s5
	s_mov_b32 s5, -1
	s_cbranch_vccz .LBB71_287
; %bb.286:
	v_trunc_f32_e32 v5, s2
	s_mov_b32 s5, 0
	s_mov_b32 s9, -1
	s_mov_b32 s10, 0
	s_delay_alu instid0(VALU_DEP_1) | instskip(NEXT) | instid1(VALU_DEP_1)
	v_mul_f32_e32 v6, 0x2f800000, v5
	v_floor_f32_e32 v6, v6
	s_delay_alu instid0(VALU_DEP_1) | instskip(SKIP_1) | instid1(VALU_DEP_2)
	v_fmamk_f32 v5, v6, 0xcf800000, v5
	v_cvt_u32_f32_e32 v6, v6
	v_cvt_u32_f32_e32 v5, v5
	global_store_b64 v[3:4], v[5:6], off
	s_branch .LBB71_288
.LBB71_287:
	s_mov_b32 s10, 0
.LBB71_288:
	s_delay_alu instid0(SALU_CYCLE_1)
	s_and_b32 vcc_lo, exec_lo, s10
	s_cbranch_vccz .LBB71_307
; %bb.289:
	v_cmp_lt_i16_e64 s9, s4, 27
	s_delay_alu instid0(VALU_DEP_1)
	s_and_b32 vcc_lo, exec_lo, s9
	s_mov_b32 s9, -1
	s_cbranch_vccnz .LBB71_295
; %bb.290:
	v_cmp_gt_i16_e64 s9, s4, 27
	s_delay_alu instid0(VALU_DEP_1)
	s_and_b32 vcc_lo, exec_lo, s9
	s_mov_b32 s9, -1
	s_cbranch_vccz .LBB71_292
; %bb.291:
	v_cvt_u32_f32_e32 v5, s2
	s_mov_b32 s9, 0
	global_store_b32 v[3:4], v5, off
.LBB71_292:
	s_and_not1_b32 vcc_lo, exec_lo, s9
	s_cbranch_vccnz .LBB71_294
; %bb.293:
	v_cvt_u32_f32_e32 v5, s2
	global_store_b16 v[3:4], v5, off
.LBB71_294:
	s_mov_b32 s9, 0
.LBB71_295:
	s_delay_alu instid0(SALU_CYCLE_1)
	s_and_not1_b32 vcc_lo, exec_lo, s9
	s_cbranch_vccnz .LBB71_306
; %bb.296:
	v_mov_b32_e32 v6, 0x80
	s_and_b32 s9, s2, 0x7fffffff
	s_delay_alu instid0(SALU_CYCLE_1)
	s_cmp_gt_u32 s9, 0x437fffff
	s_cbranch_scc1 .LBB71_305
; %bb.297:
	s_cmp_gt_u32 s9, 0x3bffffff
	s_cbranch_scc0 .LBB71_300
; %bb.298:
	s_bfe_u32 s9, s2, 0x10014
	s_mov_b32 s10, 0
	s_add_i32 s9, s2, s9
	s_delay_alu instid0(SALU_CYCLE_1) | instskip(NEXT) | instid1(SALU_CYCLE_1)
	s_add_i32 s9, s9, 0x487ffff
	s_lshr_b32 s11, s9, 20
	s_mov_b32 s9, -1
	s_branch .LBB71_301
.LBB71_299:
	s_mov_b32 s16, s55
	s_branch .LBB71_320
.LBB71_300:
	s_mov_b32 s10, -1
	s_mov_b32 s9, 0
                                        ; implicit-def: $sgpr11
.LBB71_301:
	v_mov_b32_e32 v5, s11
	s_and_not1_b32 vcc_lo, exec_lo, s10
                                        ; implicit-def: $sgpr10
	s_cbranch_vccnz .LBB71_303
; %bb.302:
	v_add_f32_e64 v5, 0x46000000, |s2|
	s_mov_b32 s10, 0
	s_delay_alu instid0(VALU_DEP_1) | instskip(NEXT) | instid1(VALU_DEP_1)
	v_and_b32_e32 v5, 0xff, v5
	v_cmp_ne_u32_e64 s9, 0, v5
.LBB71_303:
	v_mov_b32_e32 v6, s10
	s_delay_alu instid0(VALU_DEP_2)
	s_and_not1_b32 vcc_lo, exec_lo, s9
	s_cbranch_vccnz .LBB71_305
; %bb.304:
	s_lshr_b32 s9, s2, 24
	s_delay_alu instid0(SALU_CYCLE_1) | instskip(NEXT) | instid1(SALU_CYCLE_1)
	s_and_b32 s9, s9, 0x80
	v_or_b32_e32 v6, s9, v5
.LBB71_305:
	global_store_b8 v[3:4], v6, off
.LBB71_306:
	s_mov_b32 s9, -1
.LBB71_307:
	s_mov_b32 s10, 0
.LBB71_308:
	s_delay_alu instid0(SALU_CYCLE_1)
	s_and_b32 vcc_lo, exec_lo, s10
	s_cbranch_vccz .LBB71_469
; %bb.309:
	v_cmp_gt_i16_e64 s8, s4, 22
	s_delay_alu instid0(VALU_DEP_1)
	s_and_b32 vcc_lo, exec_lo, s8
	s_mov_b32 s8, -1
	s_cbranch_vccz .LBB71_462
; %bb.310:
	v_cmp_lt_i16_e64 s8, s4, 24
	s_delay_alu instid0(VALU_DEP_1)
	s_and_b32 vcc_lo, exec_lo, s8
	s_mov_b32 s8, -1
	s_cbranch_vccnz .LBB71_449
; %bb.311:
	v_cmp_gt_i16_e64 s8, s4, 24
	s_delay_alu instid0(VALU_DEP_1)
	s_and_b32 vcc_lo, exec_lo, s8
	s_mov_b32 s8, -1
	s_cbranch_vccz .LBB71_436
; %bb.312:
	v_mov_b32_e32 v6, 0x80
	s_and_b32 s8, s2, 0x7fffffff
	s_delay_alu instid0(SALU_CYCLE_1)
	s_cmp_gt_u32 s8, 0x477fffff
	s_cbranch_scc1 .LBB71_435
; %bb.313:
	s_cmp_gt_u32 s8, 0x37ffffff
	s_cbranch_scc0 .LBB71_430
; %bb.314:
	s_bfe_u32 s8, s2, 0x10015
	s_mov_b32 s9, 0
	s_add_i32 s8, s2, s8
	s_delay_alu instid0(SALU_CYCLE_1) | instskip(NEXT) | instid1(SALU_CYCLE_1)
	s_add_i32 s8, s8, 0x88fffff
	s_lshr_b32 s10, s8, 21
	s_mov_b32 s8, -1
	s_branch .LBB71_431
.LBB71_315:
	s_mov_b32 s16, s55
.LBB71_316:
	s_and_b32 vcc_lo, exec_lo, s18
	s_cbranch_vccz .LBB71_319
; %bb.317:
	v_cmp_eq_u16_e32 vcc_lo, 44, v17
	s_mov_b32 s16, -1
	s_cbranch_vccz .LBB71_319
; %bb.318:
	v_cndmask_b32_e64 v18, v16, 0xff, s48
	s_mov_b32 s17, -1
	s_mov_b32 s16, 0
	global_store_b8 v[8:9], v18, off
.LBB71_319:
	s_mov_b32 s18, 0
.LBB71_320:
	s_delay_alu instid0(SALU_CYCLE_1)
	s_and_b32 vcc_lo, exec_lo, s18
	s_cbranch_vccz .LBB71_323
; %bb.321:
	v_cmp_eq_u16_e32 vcc_lo, 29, v17
	s_mov_b32 s16, -1
	s_cbranch_vccz .LBB71_323
; %bb.322:
	s_mov_b32 s17, -1
	s_mov_b32 s16, 0
	global_store_b64 v[8:9], v[6:7], off
.LBB71_323:
	s_mov_b32 s18, 0
.LBB71_324:
	s_delay_alu instid0(SALU_CYCLE_1)
	s_and_b32 vcc_lo, exec_lo, s18
	s_cbranch_vccz .LBB71_337
; %bb.325:
	v_cmp_gt_i16_e32 vcc_lo, 27, v17
	s_mov_b32 s17, -1
	s_cbranch_vccnz .LBB71_331
; %bb.326:
	v_cmp_lt_i16_e32 vcc_lo, 27, v17
	s_cbranch_vccz .LBB71_328
; %bb.327:
	s_mov_b32 s17, 0
	global_store_b32 v[8:9], v15, off
.LBB71_328:
	s_and_not1_b32 vcc_lo, exec_lo, s17
	s_cbranch_vccnz .LBB71_330
; %bb.329:
	global_store_b16 v[8:9], v15, off
.LBB71_330:
	s_mov_b32 s17, 0
.LBB71_331:
	s_delay_alu instid0(SALU_CYCLE_1)
	s_and_not1_b32 vcc_lo, exec_lo, s17
	s_cbranch_vccnz .LBB71_336
; %bb.332:
	s_and_not1_b32 vcc_lo, exec_lo, s45
	s_movk_i32 s17, 0x80
	s_cbranch_vccnz .LBB71_335
; %bb.333:
	s_or_b32 s17, s40, s47
	s_delay_alu instid0(SALU_CYCLE_1)
	s_and_not1_b32 vcc_lo, exec_lo, s17
	s_mov_b32 s17, 0
	s_cbranch_vccnz .LBB71_335
; %bb.334:
	s_and_b32 s17, s40, exec_lo
	s_cselect_b32 s17, s44, s41
	s_delay_alu instid0(SALU_CYCLE_1)
	s_or_b32 s17, s17, s25
.LBB71_335:
	s_delay_alu instid0(SALU_CYCLE_1)
	v_mov_b32_e32 v18, s17
	global_store_b8 v[8:9], v18, off
.LBB71_336:
	s_mov_b32 s17, -1
.LBB71_337:
	s_mov_b32 s18, 0
.LBB71_338:
	s_delay_alu instid0(SALU_CYCLE_1)
	s_and_b32 vcc_lo, exec_lo, s18
	s_cbranch_vccz .LBB71_360
; %bb.339:
	v_cmp_lt_i16_e32 vcc_lo, 22, v17
	s_mov_b32 s18, -1
	s_cbranch_vccz .LBB71_352
; %bb.340:
	v_cmp_gt_i16_e32 vcc_lo, 24, v17
	s_mov_b32 s17, -1
	s_cbranch_vccnz .LBB71_349
; %bb.341:
	v_cmp_lt_i16_e32 vcc_lo, 24, v17
	s_cbranch_vccz .LBB71_346
; %bb.342:
	s_and_not1_b32 vcc_lo, exec_lo, s38
	s_movk_i32 s17, 0x80
	s_cbranch_vccnz .LBB71_345
; %bb.343:
	s_or_b32 s17, s35, s43
	s_delay_alu instid0(SALU_CYCLE_1)
	s_and_not1_b32 vcc_lo, exec_lo, s17
	s_mov_b32 s17, 0
	s_cbranch_vccnz .LBB71_345
; %bb.344:
	s_and_b32 s17, s35, exec_lo
	s_cselect_b32 s17, s36, s33
	s_delay_alu instid0(SALU_CYCLE_1)
	s_or_b32 s17, s17, s25
.LBB71_345:
	s_delay_alu instid0(SALU_CYCLE_1)
	v_mov_b32_e32 v18, s17
	s_mov_b32 s17, 0
	global_store_b8 v[8:9], v18, off
.LBB71_346:
	s_and_b32 vcc_lo, exec_lo, s17
	s_cbranch_vccz .LBB71_348
; %bb.347:
	s_and_b32 s17, s31, exec_lo
	s_cselect_b32 s17, s39, s37
	s_and_b32 s18, s28, exec_lo
	s_cselect_b32 s17, s42, s17
	s_delay_alu instid0(SALU_CYCLE_1) | instskip(NEXT) | instid1(SALU_CYCLE_1)
	s_or_b32 s17, s17, s25
	v_mov_b32_e32 v18, s17
	global_store_b8 v[8:9], v18, off
.LBB71_348:
	s_mov_b32 s17, 0
.LBB71_349:
	s_delay_alu instid0(SALU_CYCLE_1)
	s_and_not1_b32 vcc_lo, exec_lo, s17
	s_cbranch_vccnz .LBB71_351
; %bb.350:
	s_and_b32 s17, s29, exec_lo
	s_cselect_b32 s17, s46, s30
	s_and_b32 s18, s26, exec_lo
	s_cselect_b32 s17, s34, s17
	s_delay_alu instid0(SALU_CYCLE_1) | instskip(NEXT) | instid1(SALU_CYCLE_1)
	s_or_b32 s17, s17, s25
	v_mov_b32_e32 v18, s17
	global_store_b8 v[8:9], v18, off
.LBB71_351:
	s_mov_b32 s18, 0
	s_mov_b32 s17, -1
.LBB71_352:
	s_and_not1_b32 vcc_lo, exec_lo, s18
	s_cbranch_vccnz .LBB71_360
; %bb.353:
	v_cmp_lt_i16_e32 vcc_lo, 14, v17
	s_mov_b32 s18, -1
	s_cbranch_vccz .LBB71_357
; %bb.354:
	v_cmp_eq_u16_e32 vcc_lo, 15, v17
	s_mov_b32 s16, -1
	s_cbranch_vccz .LBB71_356
; %bb.355:
	v_mov_b32_e32 v18, s27
	s_mov_b32 s17, -1
	s_mov_b32 s16, 0
	global_store_b16 v[8:9], v18, off
.LBB71_356:
	s_mov_b32 s18, 0
.LBB71_357:
	s_delay_alu instid0(SALU_CYCLE_1)
	s_and_b32 vcc_lo, exec_lo, s18
	s_cbranch_vccz .LBB71_360
; %bb.358:
	v_cmp_eq_u16_e32 vcc_lo, 11, v17
	s_mov_b32 s16, -1
	s_cbranch_vccz .LBB71_360
; %bb.359:
	s_mov_b32 s17, -1
	s_mov_b32 s16, 0
	global_store_b8 v[8:9], v14, off
.LBB71_360:
.LBB71_361:
	s_and_not1_b32 vcc_lo, exec_lo, s17
	s_cbranch_vccnz .LBB71_275
.LBB71_362:
	v_add_nc_u32_e32 v11, 0x80, v11
	s_mov_b32 s17, -1
.LBB71_363:
	s_and_not1_b32 s18, s55, exec_lo
	s_and_b32 s16, s16, exec_lo
	s_delay_alu instid0(SALU_CYCLE_1)
	s_or_b32 s57, s18, s16
	s_or_not1_b32 s18, s17, exec_lo
.LBB71_364:
	s_or_b32 exec_lo, exec_lo, s58
	s_mov_b32 s16, 0
	s_mov_b32 s17, 0
                                        ; implicit-def: $vgpr17
                                        ; implicit-def: $vgpr8_vgpr9
	s_and_saveexec_b32 s58, s18
	s_cbranch_execz .LBB71_681
; %bb.365:
	s_mov_b32 s60, -1
	s_mov_b32 s18, s57
	s_mov_b32 s59, exec_lo
	v_cmpx_gt_i32_e64 s52, v11
	s_cbranch_execz .LBB71_612
; %bb.366:
	s_and_not1_b32 vcc_lo, exec_lo, s23
	s_cbranch_vccnz .LBB71_371
; %bb.367:
	v_mov_b32_e32 v8, 0
	s_and_not1_b32 vcc_lo, exec_lo, s54
	s_cbranch_vccnz .LBB71_376
; %bb.368:
	s_add_i32 s61, s53, 1
	s_cmp_eq_u32 s21, 2
	s_mov_b32 s60, 0
	s_cbranch_scc1 .LBB71_372
; %bb.369:
	v_dual_mov_b32 v8, 0 :: v_dual_mov_b32 v9, v11
	s_and_b32 s60, s61, 28
	s_mov_b32 s62, 0
	s_mov_b64 s[16:17], s[0:1]
	s_mov_b64 s[18:19], s[14:15]
.LBB71_370:                             ; =>This Inner Loop Header: Depth=1
	s_clause 0x1
	s_load_b256 s[64:71], s[16:17], 0x4
	s_load_b128 s[72:75], s[16:17], 0x24
	s_load_b128 s[76:79], s[18:19], 0x0
	s_add_u32 s16, s16, 48
	s_addc_u32 s17, s17, 0
	s_add_i32 s62, s62, 4
	s_add_u32 s18, s18, 16
	s_addc_u32 s19, s19, 0
	s_cmp_eq_u32 s60, s62
	s_waitcnt lgkmcnt(0)
	v_mul_hi_u32 v17, s65, v9
	s_delay_alu instid0(VALU_DEP_1) | instskip(NEXT) | instid1(VALU_DEP_1)
	v_add_nc_u32_e32 v17, v9, v17
	v_lshrrev_b32_e32 v17, s66, v17
	s_delay_alu instid0(VALU_DEP_1) | instskip(SKIP_1) | instid1(VALU_DEP_2)
	v_mul_hi_u32 v18, s68, v17
	v_mul_lo_u32 v21, v17, s64
	v_add_nc_u32_e32 v18, v17, v18
	s_delay_alu instid0(VALU_DEP_2) | instskip(NEXT) | instid1(VALU_DEP_2)
	v_sub_nc_u32_e32 v21, v9, v21
	v_lshrrev_b32_e32 v18, s69, v18
	s_delay_alu instid0(VALU_DEP_2) | instskip(NEXT) | instid1(VALU_DEP_2)
	v_mul_lo_u32 v21, v21, s76
	v_mul_hi_u32 v19, s71, v18
	v_mul_lo_u32 v22, v18, s67
	s_delay_alu instid0(VALU_DEP_2) | instskip(NEXT) | instid1(VALU_DEP_2)
	v_add_nc_u32_e32 v19, v18, v19
	v_sub_nc_u32_e32 v17, v17, v22
	s_delay_alu instid0(VALU_DEP_2) | instskip(NEXT) | instid1(VALU_DEP_2)
	v_lshrrev_b32_e32 v19, s72, v19
	v_mul_lo_u32 v17, v17, s77
	s_delay_alu instid0(VALU_DEP_2) | instskip(NEXT) | instid1(VALU_DEP_2)
	v_mul_hi_u32 v20, s74, v19
	v_add3_u32 v8, v21, v8, v17
	s_delay_alu instid0(VALU_DEP_2) | instskip(NEXT) | instid1(VALU_DEP_1)
	v_add_nc_u32_e32 v20, v19, v20
	v_lshrrev_b32_e32 v9, s75, v20
	v_mul_lo_u32 v20, v19, s70
	s_delay_alu instid0(VALU_DEP_2) | instskip(NEXT) | instid1(VALU_DEP_2)
	v_mul_lo_u32 v23, v9, s73
	v_sub_nc_u32_e32 v18, v18, v20
	s_delay_alu instid0(VALU_DEP_2) | instskip(NEXT) | instid1(VALU_DEP_2)
	v_sub_nc_u32_e32 v19, v19, v23
	v_mul_lo_u32 v18, v18, s78
	s_delay_alu instid0(VALU_DEP_2) | instskip(NEXT) | instid1(VALU_DEP_1)
	v_mul_lo_u32 v19, v19, s79
	v_add3_u32 v8, v18, v8, v19
	s_cbranch_scc0 .LBB71_370
	s_branch .LBB71_373
.LBB71_371:
	s_mov_b32 s16, -1
                                        ; implicit-def: $vgpr8
	s_branch .LBB71_377
.LBB71_372:
	v_mov_b32_e32 v9, v11
.LBB71_373:
	s_and_b32 s61, s61, 3
	s_delay_alu instid0(SALU_CYCLE_1)
	s_cmp_eq_u32 s61, 0
	s_cbranch_scc1 .LBB71_376
; %bb.374:
	s_lshl_b32 s16, s60, 2
	s_mul_i32 s18, s60, 12
	s_add_u32 s16, s16, s0
	s_addc_u32 s17, s1, 0
	s_add_u32 s16, s16, 0xc4
	s_addc_u32 s17, s17, 0
	;; [unrolled: 2-line block ×3, first 2 shown]
	.p2align	6
.LBB71_375:                             ; =>This Inner Loop Header: Depth=1
	s_clause 0x1
	s_load_b64 s[62:63], s[18:19], 0x4
	s_load_b32 s60, s[18:19], 0xc
	s_add_u32 s18, s18, 12
	s_addc_u32 s19, s19, 0
	s_waitcnt lgkmcnt(0)
	v_mul_hi_u32 v17, s63, v9
	s_load_b32 s63, s[16:17], 0x0
	s_add_u32 s16, s16, 4
	s_addc_u32 s17, s17, 0
	s_add_i32 s61, s61, -1
	s_delay_alu instid0(SALU_CYCLE_1) | instskip(NEXT) | instid1(VALU_DEP_1)
	s_cmp_lg_u32 s61, 0
	v_add_nc_u32_e32 v17, v9, v17
	s_delay_alu instid0(VALU_DEP_1) | instskip(NEXT) | instid1(VALU_DEP_1)
	v_lshrrev_b32_e32 v19, s60, v17
	v_mul_lo_u32 v17, v19, s62
	s_delay_alu instid0(VALU_DEP_1) | instskip(SKIP_1) | instid1(VALU_DEP_1)
	v_sub_nc_u32_e32 v9, v9, v17
	s_waitcnt lgkmcnt(0)
	v_mad_u64_u32 v[17:18], null, v9, s63, v[8:9]
	s_delay_alu instid0(VALU_DEP_1)
	v_dual_mov_b32 v9, v19 :: v_dual_mov_b32 v8, v17
	s_cbranch_scc1 .LBB71_375
.LBB71_376:
	s_mov_b32 s16, 0
.LBB71_377:
	s_delay_alu instid0(SALU_CYCLE_1)
	s_and_not1_b32 vcc_lo, exec_lo, s16
	s_cbranch_vccnz .LBB71_380
; %bb.378:
	s_waitcnt lgkmcnt(0)
	v_mul_hi_u32 v8, s9, v11
	s_and_not1_b32 vcc_lo, exec_lo, s49
	s_delay_alu instid0(VALU_DEP_1) | instskip(NEXT) | instid1(VALU_DEP_1)
	v_add_nc_u32_e32 v8, v11, v8
	v_lshrrev_b32_e32 v9, s10, v8
	s_delay_alu instid0(VALU_DEP_1) | instskip(NEXT) | instid1(VALU_DEP_1)
	v_mul_lo_u32 v8, v9, s8
	v_sub_nc_u32_e32 v8, v11, v8
	s_delay_alu instid0(VALU_DEP_1)
	v_mul_lo_u32 v8, v8, s2
	s_cbranch_vccnz .LBB71_380
; %bb.379:
	v_mul_hi_u32 v17, s12, v9
	s_delay_alu instid0(VALU_DEP_1) | instskip(NEXT) | instid1(VALU_DEP_1)
	v_add_nc_u32_e32 v17, v9, v17
	v_lshrrev_b32_e32 v17, s13, v17
	s_delay_alu instid0(VALU_DEP_1) | instskip(NEXT) | instid1(VALU_DEP_1)
	v_mul_lo_u32 v17, v17, s11
	v_sub_nc_u32_e32 v9, v9, v17
	s_delay_alu instid0(VALU_DEP_1) | instskip(NEXT) | instid1(VALU_DEP_1)
	v_mad_u64_u32 v[17:18], null, v9, s3, v[8:9]
	v_mov_b32_e32 v8, v17
.LBB71_380:
	v_and_b32_e64 v17, 0xff, s50
	s_delay_alu instid0(VALU_DEP_2) | instskip(NEXT) | instid1(VALU_DEP_1)
	v_add_co_u32 v8, s16, s4, v8
	v_add_co_ci_u32_e64 v9, null, s5, 0, s16
	s_delay_alu instid0(VALU_DEP_3)
	v_cmp_gt_i16_e32 vcc_lo, 11, v17
	s_mov_b32 s17, 0
	s_mov_b32 s18, -1
	s_mov_b32 s16, s57
	s_cbranch_vccnz .LBB71_387
; %bb.381:
	v_cmp_lt_i16_e32 vcc_lo, 25, v17
	s_cbranch_vccz .LBB71_427
; %bb.382:
	v_cmp_lt_i16_e32 vcc_lo, 28, v17
	s_cbranch_vccz .LBB71_428
	;; [unrolled: 3-line block ×4, first 2 shown]
; %bb.385:
	v_cmp_eq_u16_e32 vcc_lo, 46, v17
	s_mov_b32 s18, 0
	s_mov_b32 s16, -1
	s_cbranch_vccz .LBB71_564
; %bb.386:
	v_mov_b32_e32 v18, s51
	s_mov_b32 s17, -1
	s_mov_b32 s16, 0
	global_store_b32 v[8:9], v18, off
	s_branch .LBB71_564
.LBB71_387:
	s_and_b32 vcc_lo, exec_lo, s18
	s_cbranch_vccz .LBB71_609
; %bb.388:
	v_cmp_gt_i16_e32 vcc_lo, 5, v17
	s_mov_b32 s17, -1
	s_cbranch_vccnz .LBB71_409
; %bb.389:
	v_cmp_gt_i16_e32 vcc_lo, 8, v17
	s_cbranch_vccnz .LBB71_399
; %bb.390:
	v_cmp_gt_i16_e32 vcc_lo, 9, v17
	s_cbranch_vccnz .LBB71_396
; %bb.391:
	v_cmp_lt_i16_e32 vcc_lo, 9, v17
	s_cbranch_vccz .LBB71_393
; %bb.392:
	s_mov_b32 s17, 0
	global_store_b128 v[8:9], v[0:3], off
.LBB71_393:
	s_and_not1_b32 vcc_lo, exec_lo, s17
	s_cbranch_vccnz .LBB71_395
; %bb.394:
	v_dual_mov_b32 v18, s6 :: v_dual_mov_b32 v19, s7
	global_store_b64 v[8:9], v[18:19], off
.LBB71_395:
	s_mov_b32 s17, 0
.LBB71_396:
	s_delay_alu instid0(SALU_CYCLE_1)
	s_and_not1_b32 vcc_lo, exec_lo, s17
	s_cbranch_vccnz .LBB71_398
; %bb.397:
	global_store_b32 v[8:9], v13, off
.LBB71_398:
	s_mov_b32 s17, 0
.LBB71_399:
	s_delay_alu instid0(SALU_CYCLE_1)
	s_and_not1_b32 vcc_lo, exec_lo, s17
	s_cbranch_vccnz .LBB71_408
; %bb.400:
	v_cmp_gt_i16_e32 vcc_lo, 6, v17
	s_mov_b32 s17, -1
	s_cbranch_vccnz .LBB71_406
; %bb.401:
	v_cmp_lt_i16_e32 vcc_lo, 6, v17
	s_cbranch_vccz .LBB71_403
; %bb.402:
	s_mov_b32 s17, 0
	global_store_b64 v[8:9], v[0:1], off
.LBB71_403:
	s_and_not1_b32 vcc_lo, exec_lo, s17
	s_cbranch_vccnz .LBB71_405
; %bb.404:
	v_mov_b32_e32 v18, s6
	global_store_b32 v[8:9], v18, off
.LBB71_405:
	s_mov_b32 s17, 0
.LBB71_406:
	s_delay_alu instid0(SALU_CYCLE_1)
	s_and_not1_b32 vcc_lo, exec_lo, s17
	s_cbranch_vccnz .LBB71_408
; %bb.407:
	global_store_b16 v[8:9], v12, off
.LBB71_408:
	s_mov_b32 s17, 0
.LBB71_409:
	s_delay_alu instid0(SALU_CYCLE_1)
	s_and_not1_b32 vcc_lo, exec_lo, s17
	s_cbranch_vccnz .LBB71_425
; %bb.410:
	v_cmp_gt_i16_e32 vcc_lo, 2, v17
	s_mov_b32 s17, -1
	s_cbranch_vccnz .LBB71_420
; %bb.411:
	v_cmp_gt_i16_e32 vcc_lo, 3, v17
	s_cbranch_vccnz .LBB71_417
; %bb.412:
	v_cmp_lt_i16_e32 vcc_lo, 3, v17
	s_cbranch_vccz .LBB71_414
; %bb.413:
	s_mov_b32 s17, 0
	global_store_b64 v[8:9], v[4:5], off
.LBB71_414:
	s_and_not1_b32 vcc_lo, exec_lo, s17
	s_cbranch_vccnz .LBB71_416
; %bb.415:
	global_store_b32 v[8:9], v10, off
.LBB71_416:
	s_mov_b32 s17, 0
.LBB71_417:
	s_delay_alu instid0(SALU_CYCLE_1)
	s_and_not1_b32 vcc_lo, exec_lo, s17
	s_cbranch_vccnz .LBB71_419
; %bb.418:
	global_store_b16 v[8:9], v10, off
.LBB71_419:
	s_mov_b32 s17, 0
.LBB71_420:
	s_delay_alu instid0(SALU_CYCLE_1)
	s_and_not1_b32 vcc_lo, exec_lo, s17
	s_cbranch_vccnz .LBB71_425
; %bb.421:
	v_cmp_lt_i16_e32 vcc_lo, 0, v17
	s_mov_b32 s17, -1
	s_cbranch_vccz .LBB71_423
; %bb.422:
	s_mov_b32 s17, 0
	global_store_b8 v[8:9], v10, off
.LBB71_423:
	s_and_not1_b32 vcc_lo, exec_lo, s17
	s_cbranch_vccnz .LBB71_425
; %bb.424:
	global_store_b8 v[8:9], v4, off
.LBB71_425:
	s_branch .LBB71_610
.LBB71_426:
	s_mov_b32 s17, 0
                                        ; implicit-def: $vgpr11
	s_branch .LBB71_611
.LBB71_427:
	s_mov_b32 s16, s57
	s_branch .LBB71_586
.LBB71_428:
	s_mov_b32 s16, s57
	s_branch .LBB71_572
.LBB71_429:
	s_mov_b32 s16, s57
	s_branch .LBB71_568
.LBB71_430:
	s_mov_b32 s9, -1
	s_mov_b32 s8, 0
                                        ; implicit-def: $sgpr10
.LBB71_431:
	v_mov_b32_e32 v5, s10
	s_and_not1_b32 vcc_lo, exec_lo, s9
                                        ; implicit-def: $sgpr9
	s_cbranch_vccnz .LBB71_433
; %bb.432:
	v_add_f32_e64 v5, 0x42800000, |s2|
	s_mov_b32 s9, 0
	s_delay_alu instid0(VALU_DEP_1) | instskip(NEXT) | instid1(VALU_DEP_1)
	v_and_b32_e32 v5, 0xff, v5
	v_cmp_ne_u32_e64 s8, 0, v5
.LBB71_433:
	v_mov_b32_e32 v6, s9
	s_delay_alu instid0(VALU_DEP_2)
	s_and_not1_b32 vcc_lo, exec_lo, s8
	s_cbranch_vccnz .LBB71_435
; %bb.434:
	s_lshr_b32 s8, s2, 24
	s_delay_alu instid0(SALU_CYCLE_1) | instskip(NEXT) | instid1(SALU_CYCLE_1)
	s_and_b32 s8, s8, 0x80
	v_or_b32_e32 v6, s8, v5
.LBB71_435:
	s_mov_b32 s8, 0
	global_store_b8 v[3:4], v6, off
.LBB71_436:
	s_and_b32 vcc_lo, exec_lo, s8
	s_cbranch_vccz .LBB71_448
; %bb.437:
	s_and_b32 s8, s2, 0x7fffffff
	s_delay_alu instid0(SALU_CYCLE_1)
	s_cmp_lt_u32 s8, 0x43f00000
	s_cbranch_scc0 .LBB71_440
; %bb.438:
	s_cmp_gt_u32 s8, 0x3c7fffff
	s_cbranch_scc0 .LBB71_441
; %bb.439:
	s_bfe_u32 s9, s2, 0x10014
	s_delay_alu instid0(SALU_CYCLE_1) | instskip(NEXT) | instid1(SALU_CYCLE_1)
	s_add_i32 s9, s2, s9
	s_add_i32 s9, s9, 0x407ffff
	s_delay_alu instid0(SALU_CYCLE_1)
	s_and_b32 s10, s9, 0xff00000
	s_lshr_b32 s9, s9, 20
	s_cmp_lg_u32 s10, 0x7f00000
	s_cselect_b32 s10, s9, 0x7e
	s_mov_b32 s9, 0
	s_branch .LBB71_442
.LBB71_440:
	s_mov_b32 s9, -1
                                        ; implicit-def: $vgpr5
	s_branch .LBB71_445
.LBB71_441:
	s_mov_b32 s9, -1
                                        ; implicit-def: $sgpr10
.LBB71_442:
	v_mov_b32_e32 v5, s10
	s_and_not1_b32 vcc_lo, exec_lo, s9
	s_cbranch_vccnz .LBB71_444
; %bb.443:
	v_add_f32_e64 v5, 0x46800000, |s2|
.LBB71_444:
	s_mov_b32 s9, 0
.LBB71_445:
	s_delay_alu instid0(SALU_CYCLE_1)
	s_and_not1_b32 vcc_lo, exec_lo, s9
	s_cbranch_vccnz .LBB71_447
; %bb.446:
	s_cmp_gt_u32 s8, 0x7f800000
	s_movk_i32 s8, 0x7f
	s_delay_alu instid0(SALU_CYCLE_1) | instskip(NEXT) | instid1(SALU_CYCLE_1)
	s_cselect_b32 s8, s8, 0x7e
	v_mov_b32_e32 v5, s8
.LBB71_447:
	s_lshr_b32 s8, s2, 24
	s_delay_alu instid0(SALU_CYCLE_1)
	s_and_b32 s8, s8, 0x80
	s_delay_alu instid0(VALU_DEP_1) | instid1(SALU_CYCLE_1)
	v_or_b32_e32 v5, s8, v5
	global_store_b8 v[3:4], v5, off
.LBB71_448:
	s_mov_b32 s8, 0
.LBB71_449:
	s_delay_alu instid0(SALU_CYCLE_1)
	s_and_not1_b32 vcc_lo, exec_lo, s8
	s_cbranch_vccnz .LBB71_461
; %bb.450:
	s_and_b32 s8, s2, 0x7fffffff
	s_delay_alu instid0(SALU_CYCLE_1)
	s_cmp_lt_u32 s8, 0x47800000
	s_cbranch_scc0 .LBB71_453
; %bb.451:
	s_cmp_gt_u32 s8, 0x387fffff
	s_cbranch_scc0 .LBB71_454
; %bb.452:
	s_bfe_u32 s9, s2, 0x10015
	s_delay_alu instid0(SALU_CYCLE_1) | instskip(NEXT) | instid1(SALU_CYCLE_1)
	s_add_i32 s9, s2, s9
	s_add_i32 s9, s9, 0x80fffff
	s_delay_alu instid0(SALU_CYCLE_1)
	s_lshr_b32 s10, s9, 21
	s_mov_b32 s9, 0
	s_branch .LBB71_455
.LBB71_453:
	s_mov_b32 s9, -1
                                        ; implicit-def: $vgpr5
	s_branch .LBB71_458
.LBB71_454:
	s_mov_b32 s9, -1
                                        ; implicit-def: $sgpr10
.LBB71_455:
	v_mov_b32_e32 v5, s10
	s_and_not1_b32 vcc_lo, exec_lo, s9
	s_cbranch_vccnz .LBB71_457
; %bb.456:
	v_add_f32_e64 v5, 0x43000000, |s2|
.LBB71_457:
	s_mov_b32 s9, 0
.LBB71_458:
	s_delay_alu instid0(SALU_CYCLE_1)
	s_and_not1_b32 vcc_lo, exec_lo, s9
	s_cbranch_vccnz .LBB71_460
; %bb.459:
	s_cmp_gt_u32 s8, 0x7f800000
	s_movk_i32 s8, 0x7f
	s_delay_alu instid0(SALU_CYCLE_1) | instskip(NEXT) | instid1(SALU_CYCLE_1)
	s_cselect_b32 s8, s8, 0x7c
	v_mov_b32_e32 v5, s8
.LBB71_460:
	s_lshr_b32 s8, s2, 24
	s_delay_alu instid0(SALU_CYCLE_1)
	s_and_b32 s8, s8, 0x80
	s_delay_alu instid0(VALU_DEP_1) | instid1(SALU_CYCLE_1)
	v_or_b32_e32 v5, s8, v5
	global_store_b8 v[3:4], v5, off
.LBB71_461:
	s_mov_b32 s8, 0
	s_mov_b32 s9, -1
.LBB71_462:
	s_and_not1_b32 vcc_lo, exec_lo, s8
	s_mov_b32 s8, 0
	s_cbranch_vccnz .LBB71_469
; %bb.463:
	v_cmp_gt_i16_e64 s8, s4, 14
	s_delay_alu instid0(VALU_DEP_1)
	s_and_b32 vcc_lo, exec_lo, s8
	s_mov_b32 s8, -1
	s_cbranch_vccz .LBB71_467
; %bb.464:
	v_cmp_eq_u16_e64 s5, s4, 15
	s_delay_alu instid0(VALU_DEP_1)
	s_and_b32 vcc_lo, exec_lo, s5
	s_mov_b32 s5, -1
	s_cbranch_vccz .LBB71_466
; %bb.465:
	s_bfe_u32 s5, s2, 0x10010
	v_cmp_o_f32_e64 s8, s2, s2
	s_add_i32 s5, s2, s5
	s_mov_b32 s9, -1
	s_addk_i32 s5, 0x7fff
	s_delay_alu instid0(SALU_CYCLE_1) | instskip(SKIP_2) | instid1(SALU_CYCLE_1)
	s_lshr_b32 s5, s5, 16
	s_and_b32 s8, s8, exec_lo
	s_cselect_b32 s5, s5, 0x7fc0
	v_mov_b32_e32 v5, s5
	s_mov_b32 s5, 0
	global_store_b16 v[3:4], v5, off
.LBB71_466:
	s_mov_b32 s8, 0
.LBB71_467:
	s_delay_alu instid0(SALU_CYCLE_1)
	s_and_b32 vcc_lo, exec_lo, s8
	s_mov_b32 s8, 0
	s_cbranch_vccz .LBB71_469
; %bb.468:
	v_cmp_ne_u16_e64 s5, s4, 11
	s_mov_b32 s8, -1
.LBB71_469:
	s_delay_alu instid0(VALU_DEP_1)
	s_and_b32 vcc_lo, exec_lo, s5
	s_mov_b32 s5, s6
	s_cbranch_vccnz .LBB71_522
; %bb.470:
	s_and_not1_b32 vcc_lo, exec_lo, s8
	s_cbranch_vccnz .LBB71_472
.LBB71_471:
	s_or_b32 s8, s2, s3
	s_mov_b32 s9, -1
	s_bitset0_b32 s8, 31
	s_delay_alu instid0(SALU_CYCLE_1) | instskip(SKIP_1) | instid1(SALU_CYCLE_1)
	s_cmp_lg_u32 s8, 0
	s_cselect_b32 s8, -1, 0
	v_cndmask_b32_e64 v5, 0, 1, s8
	global_store_b8 v[3:4], v5, off
.LBB71_472:
	s_mov_b32 s8, 0
.LBB71_473:
	s_delay_alu instid0(SALU_CYCLE_1)
	s_and_b32 vcc_lo, exec_lo, s8
	s_cbranch_vccz .LBB71_512
; %bb.474:
	v_cmp_lt_i16_e64 s8, s4, 5
	s_delay_alu instid0(VALU_DEP_1)
	s_and_b32 vcc_lo, exec_lo, s8
	s_mov_b32 s8, -1
	s_cbranch_vccnz .LBB71_495
; %bb.475:
	v_cmp_lt_i16_e64 s8, s4, 8
	s_delay_alu instid0(VALU_DEP_1)
	s_and_b32 vcc_lo, exec_lo, s8
	s_mov_b32 s8, -1
	s_cbranch_vccnz .LBB71_485
	;; [unrolled: 6-line block ×3, first 2 shown]
; %bb.477:
	v_cmp_gt_i16_e64 s8, s4, 9
	s_delay_alu instid0(VALU_DEP_1)
	s_and_b32 vcc_lo, exec_lo, s8
	s_mov_b32 s8, -1
	s_cbranch_vccz .LBB71_479
; %bb.478:
	v_cvt_f64_f32_e32 v[5:6], s2
	v_cvt_f64_f32_e32 v[7:8], s3
	s_mov_b32 s8, 0
	global_store_b128 v[3:4], v[5:8], off
.LBB71_479:
	s_and_not1_b32 vcc_lo, exec_lo, s8
	s_cbranch_vccnz .LBB71_481
; %bb.480:
	v_dual_mov_b32 v5, s2 :: v_dual_mov_b32 v6, s3
	global_store_b64 v[3:4], v[5:6], off
.LBB71_481:
	s_mov_b32 s8, 0
.LBB71_482:
	s_delay_alu instid0(SALU_CYCLE_1)
	s_and_not1_b32 vcc_lo, exec_lo, s8
	s_cbranch_vccnz .LBB71_484
; %bb.483:
	v_cvt_f16_f32_e32 v5, s3
	v_cvt_f16_f32_e32 v6, s2
	s_delay_alu instid0(VALU_DEP_2) | instskip(NEXT) | instid1(VALU_DEP_2)
	v_lshlrev_b32_e32 v5, 16, v5
	v_and_b32_e32 v6, 0xffff, v6
	s_delay_alu instid0(VALU_DEP_1)
	v_or_b32_e32 v5, v5, v6
	global_store_b32 v[3:4], v5, off
.LBB71_484:
	s_mov_b32 s8, 0
.LBB71_485:
	s_delay_alu instid0(SALU_CYCLE_1)
	s_and_not1_b32 vcc_lo, exec_lo, s8
	s_cbranch_vccnz .LBB71_494
; %bb.486:
	v_cmp_lt_i16_e64 s8, s4, 6
	s_delay_alu instid0(VALU_DEP_1)
	s_and_b32 vcc_lo, exec_lo, s8
	s_mov_b32 s8, -1
	s_cbranch_vccnz .LBB71_492
; %bb.487:
	v_cmp_gt_i16_e64 s8, s4, 6
	s_delay_alu instid0(VALU_DEP_1)
	s_and_b32 vcc_lo, exec_lo, s8
	s_mov_b32 s8, -1
	s_cbranch_vccz .LBB71_489
; %bb.488:
	v_cvt_f64_f32_e32 v[5:6], s2
	s_mov_b32 s8, 0
	global_store_b64 v[3:4], v[5:6], off
.LBB71_489:
	s_and_not1_b32 vcc_lo, exec_lo, s8
	s_cbranch_vccnz .LBB71_491
; %bb.490:
	v_mov_b32_e32 v5, s2
	global_store_b32 v[3:4], v5, off
.LBB71_491:
	s_mov_b32 s8, 0
.LBB71_492:
	s_delay_alu instid0(SALU_CYCLE_1)
	s_and_not1_b32 vcc_lo, exec_lo, s8
	s_cbranch_vccnz .LBB71_494
; %bb.493:
	v_cvt_f16_f32_e32 v5, s2
	global_store_b16 v[3:4], v5, off
.LBB71_494:
	s_mov_b32 s8, 0
.LBB71_495:
	s_delay_alu instid0(SALU_CYCLE_1)
	s_and_not1_b32 vcc_lo, exec_lo, s8
	s_cbranch_vccnz .LBB71_511
; %bb.496:
	v_cmp_lt_i16_e64 s8, s4, 2
	s_delay_alu instid0(VALU_DEP_1)
	s_and_b32 vcc_lo, exec_lo, s8
	s_mov_b32 s8, -1
	s_cbranch_vccnz .LBB71_506
; %bb.497:
	v_cmp_lt_i16_e64 s8, s4, 3
	s_delay_alu instid0(VALU_DEP_1)
	s_and_b32 vcc_lo, exec_lo, s8
	s_mov_b32 s8, -1
	s_cbranch_vccnz .LBB71_503
; %bb.498:
	v_cmp_gt_i16_e64 s8, s4, 3
	s_delay_alu instid0(VALU_DEP_1)
	s_and_b32 vcc_lo, exec_lo, s8
	s_mov_b32 s8, -1
	s_cbranch_vccz .LBB71_500
; %bb.499:
	v_trunc_f32_e32 v5, s2
	s_mov_b32 s8, 0
	s_delay_alu instid0(VALU_DEP_1) | instskip(SKIP_1) | instid1(VALU_DEP_2)
	v_mul_f32_e64 v6, 0x2f800000, |v5|
	v_ashrrev_i32_e32 v8, 31, v5
	v_floor_f32_e32 v6, v6
	s_delay_alu instid0(VALU_DEP_1) | instskip(SKIP_1) | instid1(VALU_DEP_2)
	v_fma_f32 v7, 0xcf800000, v6, |v5|
	v_cvt_u32_f32_e32 v6, v6
	v_cvt_u32_f32_e32 v5, v7
	s_delay_alu instid0(VALU_DEP_2) | instskip(NEXT) | instid1(VALU_DEP_2)
	v_xor_b32_e32 v6, v6, v8
	v_xor_b32_e32 v5, v5, v8
	s_delay_alu instid0(VALU_DEP_1) | instskip(NEXT) | instid1(VALU_DEP_3)
	v_sub_co_u32 v5, vcc_lo, v5, v8
	v_sub_co_ci_u32_e32 v6, vcc_lo, v6, v8, vcc_lo
	global_store_b64 v[3:4], v[5:6], off
.LBB71_500:
	s_and_not1_b32 vcc_lo, exec_lo, s8
	s_cbranch_vccnz .LBB71_502
; %bb.501:
	v_cvt_i32_f32_e32 v5, s2
	global_store_b32 v[3:4], v5, off
.LBB71_502:
	s_mov_b32 s8, 0
.LBB71_503:
	s_delay_alu instid0(SALU_CYCLE_1)
	s_and_not1_b32 vcc_lo, exec_lo, s8
	s_cbranch_vccnz .LBB71_505
; %bb.504:
	v_cvt_i32_f32_e32 v5, s2
	global_store_b16 v[3:4], v5, off
.LBB71_505:
	s_mov_b32 s8, 0
.LBB71_506:
	s_delay_alu instid0(SALU_CYCLE_1)
	s_and_not1_b32 vcc_lo, exec_lo, s8
	s_cbranch_vccnz .LBB71_511
; %bb.507:
	v_cmp_gt_i16_e64 s8, s4, 0
	s_delay_alu instid0(VALU_DEP_1)
	s_and_b32 vcc_lo, exec_lo, s8
	s_mov_b32 s8, -1
	s_cbranch_vccz .LBB71_509
; %bb.508:
	v_cvt_i32_f32_e32 v5, s2
	s_mov_b32 s8, 0
	global_store_b8 v[3:4], v5, off
.LBB71_509:
	s_and_not1_b32 vcc_lo, exec_lo, s8
	s_cbranch_vccnz .LBB71_511
; %bb.510:
	v_trunc_f32_e32 v5, s2
	s_delay_alu instid0(VALU_DEP_1) | instskip(NEXT) | instid1(VALU_DEP_1)
	v_mul_f32_e64 v6, 0x2f800000, |v5|
	v_floor_f32_e32 v6, v6
	s_delay_alu instid0(VALU_DEP_1) | instskip(SKIP_1) | instid1(VALU_DEP_2)
	v_fma_f32 v6, 0xcf800000, v6, |v5|
	v_ashrrev_i32_e32 v5, 31, v5
	v_cvt_u32_f32_e32 v6, v6
	s_delay_alu instid0(VALU_DEP_1) | instskip(NEXT) | instid1(VALU_DEP_1)
	v_xor_b32_e32 v6, v6, v5
	v_sub_nc_u32_e32 v5, v6, v5
	global_store_b8 v[3:4], v5, off
.LBB71_511:
	s_mov_b32 s9, -1
.LBB71_512:
	s_delay_alu instid0(SALU_CYCLE_1)
	s_and_not1_b32 vcc_lo, exec_lo, s9
	s_cbranch_vccnz .LBB71_910
; %bb.513:
	v_cmp_lt_i16_e64 s8, s4, 11
	v_add_co_u32 v2, s9, s0, v2
	s_delay_alu instid0(VALU_DEP_1) | instskip(SKIP_1) | instid1(VALU_DEP_3)
	v_add_co_ci_u32_e64 v3, null, s1, 0, s9
	s_mov_b32 s10, 0
	s_and_b32 vcc_lo, exec_lo, s8
	s_mov_b32 s8, -1
	s_cbranch_vccnz .LBB71_729
; %bb.514:
	v_cmp_gt_i16_e64 s8, s4, 25
	s_mov_b32 s11, -1
	s_mov_b32 s9, 0
	s_delay_alu instid0(VALU_DEP_1)
	s_and_b32 vcc_lo, exec_lo, s8
	s_mov_b32 s8, 0
	s_cbranch_vccz .LBB71_556
; %bb.515:
	v_cmp_gt_i16_e64 s8, s4, 28
	s_delay_alu instid0(VALU_DEP_1)
	s_and_b32 vcc_lo, exec_lo, s8
	s_cbranch_vccz .LBB71_520
; %bb.516:
	v_cmp_gt_i16_e64 s8, s4, 43
	s_delay_alu instid0(VALU_DEP_1)
	s_and_b32 vcc_lo, exec_lo, s8
	;; [unrolled: 5-line block ×3, first 2 shown]
	s_cbranch_vccz .LBB71_524
; %bb.518:
	v_cmp_eq_u16_e64 s10, s4, 46
	s_mov_b32 s8, -1
	s_mov_b32 s11, 0
	s_delay_alu instid0(VALU_DEP_1)
	s_and_b32 vcc_lo, exec_lo, s10
	s_mov_b32 s10, 0
	s_cbranch_vccz .LBB71_525
; %bb.519:
	s_bfe_u32 s8, s2, 0x10010
	s_bfe_u32 s10, s3, 0x10010
	s_add_i32 s8, s2, s8
	s_add_i32 s10, s3, s10
	v_cmp_o_f32_e64 s12, s3, s3
	v_cmp_o_f32_e64 s13, s2, s2
	s_addk_i32 s8, 0x7fff
	s_addk_i32 s10, 0x7fff
	s_lshr_b32 s8, s8, 16
	s_and_b32 s10, s10, 0xffff0000
	s_and_b32 s12, s12, exec_lo
	s_cselect_b32 s10, s10, 0x7fc00000
	s_and_b32 s12, s13, exec_lo
	s_cselect_b32 s8, s8, 0x7fc0
	s_delay_alu instid0(SALU_CYCLE_1)
	s_or_b32 s8, s10, s8
	s_mov_b32 s10, -1
	v_mov_b32_e32 v4, s8
	s_mov_b32 s8, 0
	global_store_b32 v[2:3], v4, off
	s_branch .LBB71_525
.LBB71_520:
	s_mov_b32 s8, 0
	s_branch .LBB71_535
.LBB71_521:
	s_mov_b32 s8, 0
	s_branch .LBB71_531
.LBB71_522:
	s_cbranch_execnz .LBB71_546
; %bb.523:
	s_or_b32 s5, s6, exec_lo
	s_cbranch_execz .LBB71_471
	s_branch .LBB71_472
.LBB71_524:
	s_mov_b32 s8, 0
.LBB71_525:
	s_and_b32 vcc_lo, exec_lo, s11
	s_cbranch_vccz .LBB71_530
; %bb.526:
	v_cmp_eq_u16_e64 s8, s4, 44
	s_delay_alu instid0(VALU_DEP_1)
	s_and_b32 vcc_lo, exec_lo, s8
	s_mov_b32 s8, -1
	s_cbranch_vccz .LBB71_530
; %bb.527:
	v_mov_b32_e32 v4, 0xff
	s_bfe_u32 s8, s2, 0x80017
	s_delay_alu instid0(SALU_CYCLE_1)
	s_cmpk_eq_i32 s8, 0xff
	s_cbranch_scc1 .LBB71_529
; %bb.528:
	s_lshr_b32 s10, s2, 23
	s_bitcmp1_b32 s2, 22
	s_cselect_b32 s11, -1, 0
	s_and_b32 s12, s2, 0x3fffff
	s_delay_alu instid0(SALU_CYCLE_1) | instskip(NEXT) | instid1(SALU_CYCLE_1)
	s_or_b32 s8, s8, s12
	s_cmp_lg_u32 s8, 0
	s_cselect_b32 s8, -1, 0
	s_delay_alu instid0(SALU_CYCLE_1) | instskip(NEXT) | instid1(SALU_CYCLE_1)
	s_and_b32 s8, s11, s8
	v_cndmask_b32_e64 v4, 0, 1, s8
	s_delay_alu instid0(VALU_DEP_1)
	v_add_nc_u32_e32 v4, s10, v4
.LBB71_529:
	s_mov_b32 s8, 0
	s_mov_b32 s10, -1
	global_store_b8 v[2:3], v4, off
.LBB71_530:
	s_mov_b32 s11, 0
.LBB71_531:
	s_delay_alu instid0(SALU_CYCLE_1)
	s_and_b32 vcc_lo, exec_lo, s11
	s_cbranch_vccz .LBB71_534
; %bb.532:
	v_cmp_eq_u16_e64 s8, s4, 29
	s_delay_alu instid0(VALU_DEP_1)
	s_and_b32 vcc_lo, exec_lo, s8
	s_mov_b32 s8, -1
	s_cbranch_vccz .LBB71_534
; %bb.533:
	v_trunc_f32_e32 v4, s2
	s_mov_b32 s8, 0
	s_mov_b32 s10, -1
	s_mov_b32 s11, 0
	s_delay_alu instid0(VALU_DEP_1) | instskip(NEXT) | instid1(VALU_DEP_1)
	v_mul_f32_e32 v5, 0x2f800000, v4
	v_floor_f32_e32 v5, v5
	s_delay_alu instid0(VALU_DEP_1) | instskip(SKIP_1) | instid1(VALU_DEP_2)
	v_fmamk_f32 v4, v5, 0xcf800000, v4
	v_cvt_u32_f32_e32 v5, v5
	v_cvt_u32_f32_e32 v4, v4
	global_store_b64 v[2:3], v[4:5], off
	s_branch .LBB71_535
.LBB71_534:
	s_mov_b32 s11, 0
.LBB71_535:
	s_delay_alu instid0(SALU_CYCLE_1)
	s_and_b32 vcc_lo, exec_lo, s11
	s_cbranch_vccz .LBB71_555
; %bb.536:
	v_cmp_lt_i16_e64 s10, s4, 27
	s_delay_alu instid0(VALU_DEP_1)
	s_and_b32 vcc_lo, exec_lo, s10
	s_mov_b32 s10, -1
	s_cbranch_vccnz .LBB71_542
; %bb.537:
	v_cmp_gt_i16_e64 s10, s4, 27
	s_delay_alu instid0(VALU_DEP_1)
	s_and_b32 vcc_lo, exec_lo, s10
	s_mov_b32 s10, -1
	s_cbranch_vccz .LBB71_539
; %bb.538:
	v_cvt_u32_f32_e32 v4, s2
	s_mov_b32 s10, 0
	global_store_b32 v[2:3], v4, off
.LBB71_539:
	s_and_not1_b32 vcc_lo, exec_lo, s10
	s_cbranch_vccnz .LBB71_541
; %bb.540:
	v_cvt_u32_f32_e32 v4, s2
	global_store_b16 v[2:3], v4, off
.LBB71_541:
	s_mov_b32 s10, 0
.LBB71_542:
	s_delay_alu instid0(SALU_CYCLE_1)
	s_and_not1_b32 vcc_lo, exec_lo, s10
	s_cbranch_vccnz .LBB71_554
; %bb.543:
	v_mov_b32_e32 v5, 0x80
	s_and_b32 s10, s2, 0x7fffffff
	s_delay_alu instid0(SALU_CYCLE_1)
	s_cmp_gt_u32 s10, 0x437fffff
	s_cbranch_scc1 .LBB71_553
; %bb.544:
	s_cmp_gt_u32 s10, 0x3bffffff
	s_cbranch_scc0 .LBB71_548
; %bb.545:
	s_bfe_u32 s10, s2, 0x10014
	s_mov_b32 s11, 0
	s_add_i32 s10, s2, s10
	s_delay_alu instid0(SALU_CYCLE_1) | instskip(NEXT) | instid1(SALU_CYCLE_1)
	s_add_i32 s10, s10, 0x487ffff
	s_lshr_b32 s12, s10, 20
	s_mov_b32 s10, -1
	s_branch .LBB71_549
.LBB71_546:
	s_trap 2
	s_sendmsg_rtn_b32 s0, sendmsg(MSG_RTN_GET_DOORBELL)
	s_mov_b32 ttmp2, m0
	s_waitcnt lgkmcnt(0)
	s_and_b32 s0, s0, 0x3ff
	s_delay_alu instid0(SALU_CYCLE_1) | instskip(NEXT) | instid1(SALU_CYCLE_1)
	s_bitset1_b32 s0, 10
	s_mov_b32 m0, s0
	s_sendmsg sendmsg(MSG_INTERRUPT)
	s_mov_b32 m0, ttmp2
.LBB71_547:                             ; =>This Inner Loop Header: Depth=1
	s_sethalt 5
	s_branch .LBB71_547
.LBB71_548:
	s_mov_b32 s11, -1
	s_mov_b32 s10, 0
                                        ; implicit-def: $sgpr12
.LBB71_549:
	v_mov_b32_e32 v4, s12
	s_and_not1_b32 vcc_lo, exec_lo, s11
                                        ; implicit-def: $sgpr11
	s_cbranch_vccnz .LBB71_551
; %bb.550:
	v_add_f32_e64 v4, 0x46000000, |s2|
	s_mov_b32 s11, 0
	s_delay_alu instid0(VALU_DEP_1) | instskip(NEXT) | instid1(VALU_DEP_1)
	v_and_b32_e32 v4, 0xff, v4
	v_cmp_ne_u32_e64 s10, 0, v4
.LBB71_551:
	v_mov_b32_e32 v5, s11
	s_delay_alu instid0(VALU_DEP_2)
	s_and_not1_b32 vcc_lo, exec_lo, s10
	s_cbranch_vccnz .LBB71_553
; %bb.552:
	s_lshr_b32 s10, s2, 24
	s_delay_alu instid0(SALU_CYCLE_1) | instskip(NEXT) | instid1(SALU_CYCLE_1)
	s_and_b32 s10, s10, 0x80
	v_or_b32_e32 v5, s10, v4
.LBB71_553:
	global_store_b8 v[2:3], v5, off
.LBB71_554:
	s_mov_b32 s10, -1
.LBB71_555:
	s_mov_b32 s11, 0
.LBB71_556:
	s_delay_alu instid0(SALU_CYCLE_1)
	s_and_b32 vcc_lo, exec_lo, s11
	s_cbranch_vccz .LBB71_725
; %bb.557:
	v_cmp_gt_i16_e64 s9, s4, 22
	s_delay_alu instid0(VALU_DEP_1)
	s_and_b32 vcc_lo, exec_lo, s9
	s_mov_b32 s9, -1
	s_cbranch_vccz .LBB71_718
; %bb.558:
	v_cmp_lt_i16_e64 s9, s4, 24
	s_delay_alu instid0(VALU_DEP_1)
	s_and_b32 vcc_lo, exec_lo, s9
	s_mov_b32 s9, -1
	s_cbranch_vccnz .LBB71_705
; %bb.559:
	v_cmp_gt_i16_e64 s9, s4, 24
	s_delay_alu instid0(VALU_DEP_1)
	s_and_b32 vcc_lo, exec_lo, s9
	s_mov_b32 s9, -1
	s_cbranch_vccz .LBB71_692
; %bb.560:
	v_mov_b32_e32 v5, 0x80
	s_and_b32 s9, s2, 0x7fffffff
	s_delay_alu instid0(SALU_CYCLE_1)
	s_cmp_gt_u32 s9, 0x477fffff
	s_cbranch_scc1 .LBB71_691
; %bb.561:
	s_cmp_gt_u32 s9, 0x37ffffff
	s_cbranch_scc0 .LBB71_686
; %bb.562:
	s_bfe_u32 s9, s2, 0x10015
	s_mov_b32 s10, 0
	s_add_i32 s9, s2, s9
	s_delay_alu instid0(SALU_CYCLE_1) | instskip(NEXT) | instid1(SALU_CYCLE_1)
	s_add_i32 s9, s9, 0x88fffff
	s_lshr_b32 s11, s9, 21
	s_mov_b32 s9, -1
	s_branch .LBB71_687
.LBB71_563:
	s_mov_b32 s16, s57
.LBB71_564:
	s_and_b32 vcc_lo, exec_lo, s18
	s_cbranch_vccz .LBB71_567
; %bb.565:
	v_cmp_eq_u16_e32 vcc_lo, 44, v17
	s_mov_b32 s16, -1
	s_cbranch_vccz .LBB71_567
; %bb.566:
	v_cndmask_b32_e64 v18, v16, 0xff, s48
	s_mov_b32 s17, -1
	s_mov_b32 s16, 0
	global_store_b8 v[8:9], v18, off
.LBB71_567:
	s_mov_b32 s18, 0
.LBB71_568:
	s_delay_alu instid0(SALU_CYCLE_1)
	s_and_b32 vcc_lo, exec_lo, s18
	s_cbranch_vccz .LBB71_571
; %bb.569:
	v_cmp_eq_u16_e32 vcc_lo, 29, v17
	s_mov_b32 s16, -1
	s_cbranch_vccz .LBB71_571
; %bb.570:
	s_mov_b32 s17, -1
	s_mov_b32 s16, 0
	global_store_b64 v[8:9], v[6:7], off
.LBB71_571:
	s_mov_b32 s18, 0
.LBB71_572:
	s_delay_alu instid0(SALU_CYCLE_1)
	s_and_b32 vcc_lo, exec_lo, s18
	s_cbranch_vccz .LBB71_585
; %bb.573:
	v_cmp_gt_i16_e32 vcc_lo, 27, v17
	s_mov_b32 s17, -1
	s_cbranch_vccnz .LBB71_579
; %bb.574:
	v_cmp_lt_i16_e32 vcc_lo, 27, v17
	s_cbranch_vccz .LBB71_576
; %bb.575:
	s_mov_b32 s17, 0
	global_store_b32 v[8:9], v15, off
.LBB71_576:
	s_and_not1_b32 vcc_lo, exec_lo, s17
	s_cbranch_vccnz .LBB71_578
; %bb.577:
	global_store_b16 v[8:9], v15, off
.LBB71_578:
	s_mov_b32 s17, 0
.LBB71_579:
	s_delay_alu instid0(SALU_CYCLE_1)
	s_and_not1_b32 vcc_lo, exec_lo, s17
	s_cbranch_vccnz .LBB71_584
; %bb.580:
	s_and_not1_b32 vcc_lo, exec_lo, s45
	s_movk_i32 s17, 0x80
	s_cbranch_vccnz .LBB71_583
; %bb.581:
	s_or_b32 s17, s40, s47
	s_delay_alu instid0(SALU_CYCLE_1)
	s_and_not1_b32 vcc_lo, exec_lo, s17
	s_mov_b32 s17, 0
	s_cbranch_vccnz .LBB71_583
; %bb.582:
	s_and_b32 s17, s40, exec_lo
	s_cselect_b32 s17, s44, s41
	s_delay_alu instid0(SALU_CYCLE_1)
	s_or_b32 s17, s17, s25
.LBB71_583:
	s_delay_alu instid0(SALU_CYCLE_1)
	v_mov_b32_e32 v18, s17
	global_store_b8 v[8:9], v18, off
.LBB71_584:
	s_mov_b32 s17, -1
.LBB71_585:
	s_mov_b32 s18, 0
.LBB71_586:
	s_delay_alu instid0(SALU_CYCLE_1)
	s_and_b32 vcc_lo, exec_lo, s18
	s_cbranch_vccz .LBB71_608
; %bb.587:
	v_cmp_lt_i16_e32 vcc_lo, 22, v17
	s_mov_b32 s18, -1
	s_cbranch_vccz .LBB71_600
; %bb.588:
	v_cmp_gt_i16_e32 vcc_lo, 24, v17
	s_mov_b32 s17, -1
	s_cbranch_vccnz .LBB71_597
; %bb.589:
	v_cmp_lt_i16_e32 vcc_lo, 24, v17
	s_cbranch_vccz .LBB71_594
; %bb.590:
	s_and_not1_b32 vcc_lo, exec_lo, s38
	s_movk_i32 s17, 0x80
	s_cbranch_vccnz .LBB71_593
; %bb.591:
	s_or_b32 s17, s35, s43
	s_delay_alu instid0(SALU_CYCLE_1)
	s_and_not1_b32 vcc_lo, exec_lo, s17
	s_mov_b32 s17, 0
	s_cbranch_vccnz .LBB71_593
; %bb.592:
	s_and_b32 s17, s35, exec_lo
	s_cselect_b32 s17, s36, s33
	s_delay_alu instid0(SALU_CYCLE_1)
	s_or_b32 s17, s17, s25
.LBB71_593:
	s_delay_alu instid0(SALU_CYCLE_1)
	v_mov_b32_e32 v18, s17
	s_mov_b32 s17, 0
	global_store_b8 v[8:9], v18, off
.LBB71_594:
	s_and_b32 vcc_lo, exec_lo, s17
	s_cbranch_vccz .LBB71_596
; %bb.595:
	s_and_b32 s17, s31, exec_lo
	s_cselect_b32 s17, s39, s37
	s_and_b32 s18, s28, exec_lo
	s_cselect_b32 s17, s42, s17
	s_delay_alu instid0(SALU_CYCLE_1) | instskip(NEXT) | instid1(SALU_CYCLE_1)
	s_or_b32 s17, s17, s25
	v_mov_b32_e32 v18, s17
	global_store_b8 v[8:9], v18, off
.LBB71_596:
	s_mov_b32 s17, 0
.LBB71_597:
	s_delay_alu instid0(SALU_CYCLE_1)
	s_and_not1_b32 vcc_lo, exec_lo, s17
	s_cbranch_vccnz .LBB71_599
; %bb.598:
	s_and_b32 s17, s29, exec_lo
	s_cselect_b32 s17, s46, s30
	s_and_b32 s18, s26, exec_lo
	s_cselect_b32 s17, s34, s17
	s_delay_alu instid0(SALU_CYCLE_1) | instskip(NEXT) | instid1(SALU_CYCLE_1)
	s_or_b32 s17, s17, s25
	v_mov_b32_e32 v18, s17
	global_store_b8 v[8:9], v18, off
.LBB71_599:
	s_mov_b32 s18, 0
	s_mov_b32 s17, -1
.LBB71_600:
	s_and_not1_b32 vcc_lo, exec_lo, s18
	s_cbranch_vccnz .LBB71_608
; %bb.601:
	v_cmp_lt_i16_e32 vcc_lo, 14, v17
	s_mov_b32 s18, -1
	s_cbranch_vccz .LBB71_605
; %bb.602:
	v_cmp_eq_u16_e32 vcc_lo, 15, v17
	s_mov_b32 s16, -1
	s_cbranch_vccz .LBB71_604
; %bb.603:
	v_mov_b32_e32 v18, s27
	s_mov_b32 s17, -1
	s_mov_b32 s16, 0
	global_store_b16 v[8:9], v18, off
.LBB71_604:
	s_mov_b32 s18, 0
.LBB71_605:
	s_delay_alu instid0(SALU_CYCLE_1)
	s_and_b32 vcc_lo, exec_lo, s18
	s_cbranch_vccz .LBB71_608
; %bb.606:
	v_cmp_eq_u16_e32 vcc_lo, 11, v17
	s_mov_b32 s16, -1
	s_cbranch_vccz .LBB71_608
; %bb.607:
	s_mov_b32 s17, -1
	s_mov_b32 s16, 0
	global_store_b8 v[8:9], v14, off
.LBB71_608:
.LBB71_609:
	s_and_not1_b32 vcc_lo, exec_lo, s17
	s_cbranch_vccnz .LBB71_426
.LBB71_610:
	v_add_nc_u32_e32 v11, 0x80, v11
	s_mov_b32 s17, -1
.LBB71_611:
	s_and_not1_b32 s18, s57, exec_lo
	s_and_b32 s16, s16, exec_lo
	s_or_not1_b32 s60, s17, exec_lo
	s_or_b32 s18, s18, s16
.LBB71_612:
	s_or_b32 exec_lo, exec_lo, s59
	s_mov_b32 s16, 0
	s_mov_b32 s17, 0
                                        ; implicit-def: $vgpr17
                                        ; implicit-def: $vgpr8_vgpr9
	s_and_saveexec_b32 s19, s60
	s_cbranch_execz .LBB71_680
; %bb.613:
	v_cmp_gt_i32_e32 vcc_lo, s52, v11
	s_mov_b32 s59, s18
                                        ; implicit-def: $vgpr17
                                        ; implicit-def: $vgpr8_vgpr9
	s_and_saveexec_b32 s52, vcc_lo
	s_cbranch_execz .LBB71_679
; %bb.614:
	s_and_not1_b32 vcc_lo, exec_lo, s23
	s_cbranch_vccnz .LBB71_619
; %bb.615:
	v_mov_b32_e32 v8, 0
	s_and_not1_b32 vcc_lo, exec_lo, s54
	s_cbranch_vccnz .LBB71_624
; %bb.616:
	s_add_i32 s54, s53, 1
	s_cmp_eq_u32 s21, 2
	s_mov_b32 s53, 0
	s_cbranch_scc1 .LBB71_620
; %bb.617:
	v_dual_mov_b32 v8, 0 :: v_dual_mov_b32 v9, v11
	s_and_b32 s53, s54, 28
	s_mov_b32 s59, 0
	s_mov_b64 s[16:17], s[0:1]
.LBB71_618:                             ; =>This Inner Loop Header: Depth=1
	s_clause 0x1
	s_load_b256 s[60:67], s[16:17], 0x4
	s_load_b128 s[68:71], s[16:17], 0x24
	s_load_b128 s[72:75], s[14:15], 0x0
	s_add_u32 s16, s16, 48
	s_addc_u32 s17, s17, 0
	s_add_i32 s59, s59, 4
	s_add_u32 s14, s14, 16
	s_addc_u32 s15, s15, 0
	s_cmp_eq_u32 s53, s59
	s_waitcnt lgkmcnt(0)
	v_mul_hi_u32 v17, s61, v9
	s_delay_alu instid0(VALU_DEP_1) | instskip(NEXT) | instid1(VALU_DEP_1)
	v_add_nc_u32_e32 v17, v9, v17
	v_lshrrev_b32_e32 v17, s62, v17
	s_delay_alu instid0(VALU_DEP_1) | instskip(SKIP_1) | instid1(VALU_DEP_2)
	v_mul_hi_u32 v18, s64, v17
	v_mul_lo_u32 v21, v17, s60
	v_add_nc_u32_e32 v18, v17, v18
	s_delay_alu instid0(VALU_DEP_2) | instskip(NEXT) | instid1(VALU_DEP_2)
	v_sub_nc_u32_e32 v21, v9, v21
	v_lshrrev_b32_e32 v18, s65, v18
	s_delay_alu instid0(VALU_DEP_2) | instskip(NEXT) | instid1(VALU_DEP_2)
	v_mul_lo_u32 v21, v21, s72
	v_mul_hi_u32 v19, s67, v18
	v_mul_lo_u32 v22, v18, s63
	s_delay_alu instid0(VALU_DEP_2) | instskip(NEXT) | instid1(VALU_DEP_2)
	v_add_nc_u32_e32 v19, v18, v19
	v_sub_nc_u32_e32 v17, v17, v22
	s_delay_alu instid0(VALU_DEP_2) | instskip(NEXT) | instid1(VALU_DEP_2)
	v_lshrrev_b32_e32 v19, s68, v19
	v_mul_lo_u32 v17, v17, s73
	s_delay_alu instid0(VALU_DEP_2) | instskip(NEXT) | instid1(VALU_DEP_2)
	v_mul_hi_u32 v20, s70, v19
	v_add3_u32 v8, v21, v8, v17
	s_delay_alu instid0(VALU_DEP_2) | instskip(NEXT) | instid1(VALU_DEP_1)
	v_add_nc_u32_e32 v20, v19, v20
	v_lshrrev_b32_e32 v9, s71, v20
	v_mul_lo_u32 v20, v19, s66
	s_delay_alu instid0(VALU_DEP_2) | instskip(NEXT) | instid1(VALU_DEP_2)
	v_mul_lo_u32 v23, v9, s69
	v_sub_nc_u32_e32 v18, v18, v20
	s_delay_alu instid0(VALU_DEP_2) | instskip(NEXT) | instid1(VALU_DEP_2)
	v_sub_nc_u32_e32 v19, v19, v23
	v_mul_lo_u32 v18, v18, s74
	s_delay_alu instid0(VALU_DEP_2) | instskip(NEXT) | instid1(VALU_DEP_1)
	v_mul_lo_u32 v19, v19, s75
	v_add3_u32 v8, v18, v8, v19
	s_cbranch_scc0 .LBB71_618
	s_branch .LBB71_621
.LBB71_619:
	s_mov_b32 s14, -1
                                        ; implicit-def: $vgpr8
	s_branch .LBB71_625
.LBB71_620:
	v_mov_b32_e32 v9, v11
.LBB71_621:
	s_and_b32 s54, s54, 3
	s_delay_alu instid0(SALU_CYCLE_1)
	s_cmp_eq_u32 s54, 0
	s_cbranch_scc1 .LBB71_624
; %bb.622:
	s_lshl_b32 s14, s53, 2
	s_mul_i32 s16, s53, 12
	s_add_u32 s14, s14, s0
	s_addc_u32 s15, s1, 0
	s_add_u32 s14, s14, 0xc4
	s_addc_u32 s15, s15, 0
	;; [unrolled: 2-line block ×3, first 2 shown]
.LBB71_623:                             ; =>This Inner Loop Header: Depth=1
	s_clause 0x1
	s_load_b64 s[60:61], s[16:17], 0x4
	s_load_b32 s53, s[16:17], 0xc
	s_load_b32 s59, s[14:15], 0x0
	s_add_u32 s16, s16, 12
	s_addc_u32 s17, s17, 0
	s_add_u32 s14, s14, 4
	s_addc_u32 s15, s15, 0
	s_add_i32 s54, s54, -1
	s_delay_alu instid0(SALU_CYCLE_1) | instskip(SKIP_2) | instid1(VALU_DEP_1)
	s_cmp_lg_u32 s54, 0
	s_waitcnt lgkmcnt(0)
	v_mul_hi_u32 v17, s61, v9
	v_add_nc_u32_e32 v17, v9, v17
	s_delay_alu instid0(VALU_DEP_1) | instskip(NEXT) | instid1(VALU_DEP_1)
	v_lshrrev_b32_e32 v19, s53, v17
	v_mul_lo_u32 v17, v19, s60
	s_delay_alu instid0(VALU_DEP_1) | instskip(NEXT) | instid1(VALU_DEP_1)
	v_sub_nc_u32_e32 v9, v9, v17
	v_mad_u64_u32 v[17:18], null, v9, s59, v[8:9]
	s_delay_alu instid0(VALU_DEP_1)
	v_dual_mov_b32 v9, v19 :: v_dual_mov_b32 v8, v17
	s_cbranch_scc1 .LBB71_623
.LBB71_624:
	s_mov_b32 s14, 0
.LBB71_625:
	s_delay_alu instid0(SALU_CYCLE_1)
	s_and_not1_b32 vcc_lo, exec_lo, s14
	s_cbranch_vccnz .LBB71_628
; %bb.626:
	s_waitcnt lgkmcnt(0)
	v_mul_hi_u32 v8, s9, v11
	s_and_not1_b32 vcc_lo, exec_lo, s49
	s_delay_alu instid0(VALU_DEP_1) | instskip(NEXT) | instid1(VALU_DEP_1)
	v_add_nc_u32_e32 v8, v11, v8
	v_lshrrev_b32_e32 v9, s10, v8
	s_delay_alu instid0(VALU_DEP_1) | instskip(NEXT) | instid1(VALU_DEP_1)
	v_mul_lo_u32 v8, v9, s8
	v_sub_nc_u32_e32 v8, v11, v8
	s_delay_alu instid0(VALU_DEP_1)
	v_mul_lo_u32 v8, v8, s2
	s_cbranch_vccnz .LBB71_628
; %bb.627:
	v_mul_hi_u32 v11, s12, v9
	s_delay_alu instid0(VALU_DEP_1) | instskip(NEXT) | instid1(VALU_DEP_1)
	v_add_nc_u32_e32 v11, v9, v11
	v_lshrrev_b32_e32 v11, s13, v11
	s_delay_alu instid0(VALU_DEP_1) | instskip(NEXT) | instid1(VALU_DEP_1)
	v_mul_lo_u32 v11, v11, s11
	v_sub_nc_u32_e32 v9, v9, v11
	s_delay_alu instid0(VALU_DEP_1) | instskip(NEXT) | instid1(VALU_DEP_1)
	v_mad_u64_u32 v[17:18], null, v9, s3, v[8:9]
	v_mov_b32_e32 v8, v17
.LBB71_628:
	v_and_b32_e64 v17, 0xff, s50
	s_waitcnt lgkmcnt(0)
	s_delay_alu instid0(VALU_DEP_2) | instskip(NEXT) | instid1(VALU_DEP_1)
	v_add_co_u32 v8, s2, s4, v8
	v_add_co_ci_u32_e64 v9, null, s5, 0, s2
	s_delay_alu instid0(VALU_DEP_3)
	v_cmp_gt_i16_e32 vcc_lo, 11, v17
	s_mov_b32 s8, 0
	s_mov_b32 s3, -1
	s_mov_b32 s2, s18
	s_cbranch_vccnz .LBB71_678
; %bb.629:
	v_cmp_lt_i16_e32 vcc_lo, 25, v17
	s_mov_b32 s2, s18
	s_cbranch_vccz .LBB71_657
; %bb.630:
	v_cmp_lt_i16_e32 vcc_lo, 28, v17
	s_mov_b32 s2, s18
	s_cbranch_vccz .LBB71_644
; %bb.631:
	v_cmp_lt_i16_e32 vcc_lo, 43, v17
	s_mov_b32 s2, s18
	s_cbranch_vccz .LBB71_640
; %bb.632:
	v_cmp_lt_i16_e32 vcc_lo, 45, v17
	s_mov_b32 s2, s18
	s_cbranch_vccz .LBB71_636
; %bb.633:
	v_cmp_eq_u16_e32 vcc_lo, 46, v17
	s_mov_b32 s2, -1
	s_cbranch_vccz .LBB71_635
; %bb.634:
	v_mov_b32_e32 v11, s51
	s_mov_b32 s2, 0
	global_store_b32 v[8:9], v11, off
.LBB71_635:
	s_mov_b32 s3, 0
.LBB71_636:
	s_delay_alu instid0(SALU_CYCLE_1)
	s_and_b32 vcc_lo, exec_lo, s3
	s_cbranch_vccz .LBB71_639
; %bb.637:
	v_cmp_eq_u16_e32 vcc_lo, 44, v17
	s_mov_b32 s2, -1
	s_cbranch_vccz .LBB71_639
; %bb.638:
	v_cndmask_b32_e64 v11, v16, 0xff, s48
	s_mov_b32 s2, 0
	global_store_b8 v[8:9], v11, off
.LBB71_639:
	s_mov_b32 s3, 0
.LBB71_640:
	s_delay_alu instid0(SALU_CYCLE_1)
	s_and_b32 vcc_lo, exec_lo, s3
	s_cbranch_vccz .LBB71_643
; %bb.641:
	v_cmp_eq_u16_e32 vcc_lo, 29, v17
	s_mov_b32 s2, -1
	s_cbranch_vccz .LBB71_643
; %bb.642:
	s_mov_b32 s2, 0
	global_store_b64 v[8:9], v[6:7], off
.LBB71_643:
	s_mov_b32 s3, 0
.LBB71_644:
	s_delay_alu instid0(SALU_CYCLE_1)
	s_and_b32 vcc_lo, exec_lo, s3
	s_cbranch_vccz .LBB71_656
; %bb.645:
	v_cmp_gt_i16_e32 vcc_lo, 27, v17
	s_mov_b32 s3, -1
	s_cbranch_vccnz .LBB71_651
; %bb.646:
	v_cmp_lt_i16_e32 vcc_lo, 27, v17
	s_cbranch_vccz .LBB71_648
; %bb.647:
	s_mov_b32 s3, 0
	global_store_b32 v[8:9], v15, off
.LBB71_648:
	s_and_not1_b32 vcc_lo, exec_lo, s3
	s_cbranch_vccnz .LBB71_650
; %bb.649:
	global_store_b16 v[8:9], v15, off
.LBB71_650:
	s_mov_b32 s3, 0
.LBB71_651:
	s_delay_alu instid0(SALU_CYCLE_1)
	s_and_not1_b32 vcc_lo, exec_lo, s3
	s_cbranch_vccnz .LBB71_656
; %bb.652:
	s_and_not1_b32 vcc_lo, exec_lo, s45
	s_movk_i32 s3, 0x80
	s_cbranch_vccnz .LBB71_655
; %bb.653:
	s_or_b32 s3, s40, s47
	s_delay_alu instid0(SALU_CYCLE_1)
	s_and_not1_b32 vcc_lo, exec_lo, s3
	s_mov_b32 s3, 0
	s_cbranch_vccnz .LBB71_655
; %bb.654:
	s_and_b32 s3, s40, exec_lo
	s_cselect_b32 s3, s44, s41
	s_delay_alu instid0(SALU_CYCLE_1)
	s_or_b32 s3, s3, s25
.LBB71_655:
	s_delay_alu instid0(SALU_CYCLE_1)
	v_mov_b32_e32 v6, s3
	global_store_b8 v[8:9], v6, off
.LBB71_656:
	s_mov_b32 s3, 0
.LBB71_657:
	s_delay_alu instid0(SALU_CYCLE_1)
	s_and_b32 vcc_lo, exec_lo, s3
	s_mov_b32 s3, 0
	s_cbranch_vccz .LBB71_678
; %bb.658:
	v_cmp_lt_i16_e32 vcc_lo, 22, v17
	s_mov_b32 s4, -1
	s_cbranch_vccz .LBB71_671
; %bb.659:
	v_cmp_gt_i16_e32 vcc_lo, 24, v17
	s_cbranch_vccnz .LBB71_668
; %bb.660:
	v_cmp_lt_i16_e32 vcc_lo, 24, v17
	s_cbranch_vccz .LBB71_665
; %bb.661:
	s_and_not1_b32 vcc_lo, exec_lo, s38
	s_movk_i32 s4, 0x80
	s_cbranch_vccnz .LBB71_664
; %bb.662:
	s_or_b32 s4, s35, s43
	s_delay_alu instid0(SALU_CYCLE_1)
	s_and_not1_b32 vcc_lo, exec_lo, s4
	s_mov_b32 s4, 0
	s_cbranch_vccnz .LBB71_664
; %bb.663:
	s_and_b32 s4, s35, exec_lo
	s_cselect_b32 s4, s36, s33
	s_delay_alu instid0(SALU_CYCLE_1)
	s_or_b32 s4, s4, s25
.LBB71_664:
	s_delay_alu instid0(SALU_CYCLE_1)
	v_mov_b32_e32 v6, s4
	s_mov_b32 s4, 0
	global_store_b8 v[8:9], v6, off
.LBB71_665:
	s_and_b32 vcc_lo, exec_lo, s4
	s_cbranch_vccz .LBB71_667
; %bb.666:
	s_and_b32 s4, s31, exec_lo
	s_cselect_b32 s4, s39, s37
	s_and_b32 s5, s28, exec_lo
	s_cselect_b32 s4, s42, s4
	s_delay_alu instid0(SALU_CYCLE_1) | instskip(NEXT) | instid1(SALU_CYCLE_1)
	s_or_b32 s4, s4, s25
	v_mov_b32_e32 v6, s4
	global_store_b8 v[8:9], v6, off
.LBB71_667:
	s_mov_b32 s4, 0
.LBB71_668:
	s_delay_alu instid0(SALU_CYCLE_1)
	s_and_not1_b32 vcc_lo, exec_lo, s4
	s_cbranch_vccnz .LBB71_670
; %bb.669:
	s_and_b32 s4, s29, exec_lo
	s_cselect_b32 s4, s46, s30
	s_and_b32 s5, s26, exec_lo
	s_cselect_b32 s4, s34, s4
	s_delay_alu instid0(SALU_CYCLE_1) | instskip(NEXT) | instid1(SALU_CYCLE_1)
	s_or_b32 s4, s4, s25
	v_mov_b32_e32 v6, s4
	global_store_b8 v[8:9], v6, off
.LBB71_670:
	s_mov_b32 s4, 0
.LBB71_671:
	s_delay_alu instid0(SALU_CYCLE_1)
	s_and_not1_b32 vcc_lo, exec_lo, s4
	s_cbranch_vccnz .LBB71_678
; %bb.672:
	v_cmp_lt_i16_e32 vcc_lo, 14, v17
	s_mov_b32 s4, -1
	s_cbranch_vccz .LBB71_676
; %bb.673:
	v_cmp_eq_u16_e32 vcc_lo, 15, v17
	s_mov_b32 s2, -1
	s_cbranch_vccz .LBB71_675
; %bb.674:
	v_mov_b32_e32 v6, s27
	s_mov_b32 s2, 0
	global_store_b16 v[8:9], v6, off
.LBB71_675:
	s_mov_b32 s4, 0
.LBB71_676:
	s_delay_alu instid0(SALU_CYCLE_1)
	s_and_b32 vcc_lo, exec_lo, s4
	s_cbranch_vccz .LBB71_678
; %bb.677:
	v_cmp_ne_u16_e32 vcc_lo, 11, v17
	s_and_not1_b32 s2, s2, exec_lo
	s_mov_b32 s8, -1
	s_and_b32 s4, vcc_lo, exec_lo
	s_delay_alu instid0(SALU_CYCLE_1)
	s_or_b32 s2, s2, s4
.LBB71_678:
	s_and_b32 s17, s3, exec_lo
	s_and_not1_b32 s3, s18, exec_lo
	s_and_b32 s2, s2, exec_lo
	s_and_b32 s16, s8, exec_lo
	s_or_b32 s59, s3, s2
.LBB71_679:
	s_or_b32 exec_lo, exec_lo, s52
	s_waitcnt lgkmcnt(0)
	s_and_not1_b32 s2, s18, exec_lo
	s_and_b32 s3, s59, exec_lo
	s_and_b32 s17, s17, exec_lo
	;; [unrolled: 1-line block ×3, first 2 shown]
	s_or_b32 s18, s2, s3
.LBB71_680:
	s_or_b32 exec_lo, exec_lo, s19
	s_waitcnt lgkmcnt(0)
	s_and_not1_b32 s2, s57, exec_lo
	s_and_b32 s3, s18, exec_lo
	s_and_b32 s17, s17, exec_lo
	;; [unrolled: 1-line block ×3, first 2 shown]
	s_or_b32 s57, s2, s3
.LBB71_681:
	s_or_b32 exec_lo, exec_lo, s58
	s_waitcnt lgkmcnt(0)
	s_and_not1_b32 s2, s55, exec_lo
	s_and_b32 s3, s57, exec_lo
	s_and_b32 s17, s17, exec_lo
	;; [unrolled: 1-line block ×3, first 2 shown]
	s_or_b32 s55, s2, s3
	s_or_b32 exec_lo, exec_lo, s56
	s_mov_b32 s2, 0
	s_and_saveexec_b32 s3, s55
	s_cbranch_execz .LBB71_118
.LBB71_682:
	s_cbranch_execnz .LBB71_684
; %bb.683:
	s_mov_b32 s2, exec_lo
	s_and_not1_b32 s57, s57, exec_lo
	s_or_b32 exec_lo, exec_lo, s3
	s_and_saveexec_b32 s3, s57
	s_delay_alu instid0(SALU_CYCLE_1)
	s_xor_b32 s3, exec_lo, s3
	s_cbranch_execnz .LBB71_119
	s_branch .LBB71_120
.LBB71_684:
	s_trap 2
	s_sendmsg_rtn_b32 s0, sendmsg(MSG_RTN_GET_DOORBELL)
	s_mov_b32 ttmp2, m0
	s_waitcnt lgkmcnt(0)
	s_and_b32 s0, s0, 0x3ff
	s_delay_alu instid0(SALU_CYCLE_1) | instskip(NEXT) | instid1(SALU_CYCLE_1)
	s_bitset1_b32 s0, 10
	s_mov_b32 m0, s0
	s_sendmsg sendmsg(MSG_INTERRUPT)
	s_mov_b32 m0, ttmp2
.LBB71_685:                             ; =>This Inner Loop Header: Depth=1
	s_sethalt 5
	s_branch .LBB71_685
.LBB71_686:
	s_mov_b32 s10, -1
	s_mov_b32 s9, 0
                                        ; implicit-def: $sgpr11
.LBB71_687:
	v_mov_b32_e32 v4, s11
	s_and_not1_b32 vcc_lo, exec_lo, s10
                                        ; implicit-def: $sgpr10
	s_cbranch_vccnz .LBB71_689
; %bb.688:
	v_add_f32_e64 v4, 0x42800000, |s2|
	s_mov_b32 s10, 0
	s_delay_alu instid0(VALU_DEP_1) | instskip(NEXT) | instid1(VALU_DEP_1)
	v_and_b32_e32 v4, 0xff, v4
	v_cmp_ne_u32_e64 s9, 0, v4
.LBB71_689:
	v_mov_b32_e32 v5, s10
	s_delay_alu instid0(VALU_DEP_2)
	s_and_not1_b32 vcc_lo, exec_lo, s9
	s_cbranch_vccnz .LBB71_691
; %bb.690:
	s_lshr_b32 s9, s2, 24
	s_delay_alu instid0(SALU_CYCLE_1) | instskip(NEXT) | instid1(SALU_CYCLE_1)
	s_and_b32 s9, s9, 0x80
	v_or_b32_e32 v5, s9, v4
.LBB71_691:
	s_mov_b32 s9, 0
	global_store_b8 v[2:3], v5, off
.LBB71_692:
	s_and_b32 vcc_lo, exec_lo, s9
	s_cbranch_vccz .LBB71_704
; %bb.693:
	s_and_b32 s9, s2, 0x7fffffff
	s_delay_alu instid0(SALU_CYCLE_1)
	s_cmp_lt_u32 s9, 0x43f00000
	s_cbranch_scc0 .LBB71_696
; %bb.694:
	s_cmp_gt_u32 s9, 0x3c7fffff
	s_cbranch_scc0 .LBB71_697
; %bb.695:
	s_bfe_u32 s10, s2, 0x10014
	s_delay_alu instid0(SALU_CYCLE_1) | instskip(NEXT) | instid1(SALU_CYCLE_1)
	s_add_i32 s10, s2, s10
	s_add_i32 s10, s10, 0x407ffff
	s_delay_alu instid0(SALU_CYCLE_1)
	s_and_b32 s11, s10, 0xff00000
	s_lshr_b32 s10, s10, 20
	s_cmp_lg_u32 s11, 0x7f00000
	s_cselect_b32 s11, s10, 0x7e
	s_mov_b32 s10, 0
	s_branch .LBB71_698
.LBB71_696:
	s_mov_b32 s10, -1
                                        ; implicit-def: $vgpr4
	s_branch .LBB71_701
.LBB71_697:
	s_mov_b32 s10, -1
                                        ; implicit-def: $sgpr11
.LBB71_698:
	v_mov_b32_e32 v4, s11
	s_and_not1_b32 vcc_lo, exec_lo, s10
	s_cbranch_vccnz .LBB71_700
; %bb.699:
	v_add_f32_e64 v4, 0x46800000, |s2|
.LBB71_700:
	s_mov_b32 s10, 0
.LBB71_701:
	s_delay_alu instid0(SALU_CYCLE_1)
	s_and_not1_b32 vcc_lo, exec_lo, s10
	s_cbranch_vccnz .LBB71_703
; %bb.702:
	s_cmp_gt_u32 s9, 0x7f800000
	s_movk_i32 s9, 0x7f
	s_delay_alu instid0(SALU_CYCLE_1) | instskip(NEXT) | instid1(SALU_CYCLE_1)
	s_cselect_b32 s9, s9, 0x7e
	v_mov_b32_e32 v4, s9
.LBB71_703:
	s_lshr_b32 s9, s2, 24
	s_delay_alu instid0(SALU_CYCLE_1)
	s_and_b32 s9, s9, 0x80
	s_delay_alu instid0(VALU_DEP_1) | instid1(SALU_CYCLE_1)
	v_or_b32_e32 v4, s9, v4
	global_store_b8 v[2:3], v4, off
.LBB71_704:
	s_mov_b32 s9, 0
.LBB71_705:
	s_delay_alu instid0(SALU_CYCLE_1)
	s_and_not1_b32 vcc_lo, exec_lo, s9
	s_cbranch_vccnz .LBB71_717
; %bb.706:
	s_and_b32 s9, s2, 0x7fffffff
	s_delay_alu instid0(SALU_CYCLE_1)
	s_cmp_lt_u32 s9, 0x47800000
	s_cbranch_scc0 .LBB71_709
; %bb.707:
	s_cmp_gt_u32 s9, 0x387fffff
	s_cbranch_scc0 .LBB71_710
; %bb.708:
	s_bfe_u32 s10, s2, 0x10015
	s_delay_alu instid0(SALU_CYCLE_1) | instskip(NEXT) | instid1(SALU_CYCLE_1)
	s_add_i32 s10, s2, s10
	s_add_i32 s10, s10, 0x80fffff
	s_delay_alu instid0(SALU_CYCLE_1)
	s_lshr_b32 s11, s10, 21
	s_mov_b32 s10, 0
	s_branch .LBB71_711
.LBB71_709:
	s_mov_b32 s10, -1
                                        ; implicit-def: $vgpr4
	s_branch .LBB71_714
.LBB71_710:
	s_mov_b32 s10, -1
                                        ; implicit-def: $sgpr11
.LBB71_711:
	v_mov_b32_e32 v4, s11
	s_and_not1_b32 vcc_lo, exec_lo, s10
	s_cbranch_vccnz .LBB71_713
; %bb.712:
	v_add_f32_e64 v4, 0x43000000, |s2|
.LBB71_713:
	s_mov_b32 s10, 0
.LBB71_714:
	s_delay_alu instid0(SALU_CYCLE_1)
	s_and_not1_b32 vcc_lo, exec_lo, s10
	s_cbranch_vccnz .LBB71_716
; %bb.715:
	s_cmp_gt_u32 s9, 0x7f800000
	s_movk_i32 s9, 0x7f
	s_delay_alu instid0(SALU_CYCLE_1) | instskip(NEXT) | instid1(SALU_CYCLE_1)
	s_cselect_b32 s9, s9, 0x7c
	v_mov_b32_e32 v4, s9
.LBB71_716:
	s_lshr_b32 s9, s2, 24
	s_delay_alu instid0(SALU_CYCLE_1)
	s_and_b32 s9, s9, 0x80
	s_delay_alu instid0(VALU_DEP_1) | instid1(SALU_CYCLE_1)
	v_or_b32_e32 v4, s9, v4
	global_store_b8 v[2:3], v4, off
.LBB71_717:
	s_mov_b32 s9, 0
	s_mov_b32 s10, -1
.LBB71_718:
	s_and_not1_b32 vcc_lo, exec_lo, s9
	s_mov_b32 s9, 0
	s_cbranch_vccnz .LBB71_725
; %bb.719:
	v_cmp_gt_i16_e64 s9, s4, 14
	s_delay_alu instid0(VALU_DEP_1)
	s_and_b32 vcc_lo, exec_lo, s9
	s_mov_b32 s9, -1
	s_cbranch_vccz .LBB71_723
; %bb.720:
	v_cmp_eq_u16_e64 s8, s4, 15
	s_delay_alu instid0(VALU_DEP_1)
	s_and_b32 vcc_lo, exec_lo, s8
	s_mov_b32 s8, -1
	s_cbranch_vccz .LBB71_722
; %bb.721:
	s_bfe_u32 s8, s2, 0x10010
	v_cmp_o_f32_e64 s9, s2, s2
	s_add_i32 s8, s2, s8
	s_mov_b32 s10, -1
	s_addk_i32 s8, 0x7fff
	s_delay_alu instid0(SALU_CYCLE_1) | instskip(SKIP_2) | instid1(SALU_CYCLE_1)
	s_lshr_b32 s8, s8, 16
	s_and_b32 s9, s9, exec_lo
	s_cselect_b32 s8, s8, 0x7fc0
	v_mov_b32_e32 v4, s8
	s_mov_b32 s8, 0
	global_store_b16 v[2:3], v4, off
.LBB71_722:
	s_mov_b32 s9, 0
.LBB71_723:
	s_delay_alu instid0(SALU_CYCLE_1)
	s_and_b32 vcc_lo, exec_lo, s9
	s_mov_b32 s9, 0
	s_cbranch_vccz .LBB71_725
; %bb.724:
	v_cmp_ne_u16_e64 s8, s4, 11
	s_mov_b32 s9, -1
.LBB71_725:
	s_delay_alu instid0(VALU_DEP_1)
	s_and_b32 vcc_lo, exec_lo, s8
	s_cbranch_vccnz .LBB71_778
; %bb.726:
	s_and_not1_b32 vcc_lo, exec_lo, s9
	s_cbranch_vccnz .LBB71_728
.LBB71_727:
	s_or_b32 s8, s2, s3
	s_mov_b32 s10, -1
	s_bitset0_b32 s8, 31
	s_delay_alu instid0(SALU_CYCLE_1) | instskip(SKIP_1) | instid1(SALU_CYCLE_1)
	s_cmp_lg_u32 s8, 0
	s_cselect_b32 s8, -1, 0
	v_cndmask_b32_e64 v4, 0, 1, s8
	global_store_b8 v[2:3], v4, off
.LBB71_728:
	s_mov_b32 s8, 0
.LBB71_729:
	s_delay_alu instid0(SALU_CYCLE_1)
	s_and_b32 vcc_lo, exec_lo, s8
	s_cbranch_vccz .LBB71_768
; %bb.730:
	v_cmp_lt_i16_e64 s8, s4, 5
	s_delay_alu instid0(VALU_DEP_1)
	s_and_b32 vcc_lo, exec_lo, s8
	s_mov_b32 s8, -1
	s_cbranch_vccnz .LBB71_751
; %bb.731:
	v_cmp_lt_i16_e64 s8, s4, 8
	s_delay_alu instid0(VALU_DEP_1)
	s_and_b32 vcc_lo, exec_lo, s8
	s_mov_b32 s8, -1
	s_cbranch_vccnz .LBB71_741
	;; [unrolled: 6-line block ×3, first 2 shown]
; %bb.733:
	v_cmp_gt_i16_e64 s8, s4, 9
	s_delay_alu instid0(VALU_DEP_1)
	s_and_b32 vcc_lo, exec_lo, s8
	s_mov_b32 s8, -1
	s_cbranch_vccz .LBB71_735
; %bb.734:
	v_cvt_f64_f32_e32 v[4:5], s2
	v_cvt_f64_f32_e32 v[6:7], s3
	s_mov_b32 s8, 0
	global_store_b128 v[2:3], v[4:7], off
.LBB71_735:
	s_and_not1_b32 vcc_lo, exec_lo, s8
	s_cbranch_vccnz .LBB71_737
; %bb.736:
	v_dual_mov_b32 v4, s2 :: v_dual_mov_b32 v5, s3
	global_store_b64 v[2:3], v[4:5], off
.LBB71_737:
	s_mov_b32 s8, 0
.LBB71_738:
	s_delay_alu instid0(SALU_CYCLE_1)
	s_and_not1_b32 vcc_lo, exec_lo, s8
	s_cbranch_vccnz .LBB71_740
; %bb.739:
	v_cvt_f16_f32_e32 v4, s3
	v_cvt_f16_f32_e32 v5, s2
	s_delay_alu instid0(VALU_DEP_2) | instskip(NEXT) | instid1(VALU_DEP_2)
	v_lshlrev_b32_e32 v4, 16, v4
	v_and_b32_e32 v5, 0xffff, v5
	s_delay_alu instid0(VALU_DEP_1)
	v_or_b32_e32 v4, v4, v5
	global_store_b32 v[2:3], v4, off
.LBB71_740:
	s_mov_b32 s8, 0
.LBB71_741:
	s_delay_alu instid0(SALU_CYCLE_1)
	s_and_not1_b32 vcc_lo, exec_lo, s8
	s_cbranch_vccnz .LBB71_750
; %bb.742:
	v_cmp_lt_i16_e64 s8, s4, 6
	s_delay_alu instid0(VALU_DEP_1)
	s_and_b32 vcc_lo, exec_lo, s8
	s_mov_b32 s8, -1
	s_cbranch_vccnz .LBB71_748
; %bb.743:
	v_cmp_gt_i16_e64 s8, s4, 6
	s_delay_alu instid0(VALU_DEP_1)
	s_and_b32 vcc_lo, exec_lo, s8
	s_mov_b32 s8, -1
	s_cbranch_vccz .LBB71_745
; %bb.744:
	v_cvt_f64_f32_e32 v[4:5], s2
	s_mov_b32 s8, 0
	global_store_b64 v[2:3], v[4:5], off
.LBB71_745:
	s_and_not1_b32 vcc_lo, exec_lo, s8
	s_cbranch_vccnz .LBB71_747
; %bb.746:
	v_mov_b32_e32 v4, s2
	global_store_b32 v[2:3], v4, off
.LBB71_747:
	s_mov_b32 s8, 0
.LBB71_748:
	s_delay_alu instid0(SALU_CYCLE_1)
	s_and_not1_b32 vcc_lo, exec_lo, s8
	s_cbranch_vccnz .LBB71_750
; %bb.749:
	v_cvt_f16_f32_e32 v4, s2
	global_store_b16 v[2:3], v4, off
.LBB71_750:
	s_mov_b32 s8, 0
.LBB71_751:
	s_delay_alu instid0(SALU_CYCLE_1)
	s_and_not1_b32 vcc_lo, exec_lo, s8
	s_cbranch_vccnz .LBB71_767
; %bb.752:
	v_cmp_lt_i16_e64 s8, s4, 2
	s_delay_alu instid0(VALU_DEP_1)
	s_and_b32 vcc_lo, exec_lo, s8
	s_mov_b32 s8, -1
	s_cbranch_vccnz .LBB71_762
; %bb.753:
	v_cmp_lt_i16_e64 s8, s4, 3
	s_delay_alu instid0(VALU_DEP_1)
	s_and_b32 vcc_lo, exec_lo, s8
	s_mov_b32 s8, -1
	s_cbranch_vccnz .LBB71_759
; %bb.754:
	v_cmp_gt_i16_e64 s8, s4, 3
	s_delay_alu instid0(VALU_DEP_1)
	s_and_b32 vcc_lo, exec_lo, s8
	s_mov_b32 s8, -1
	s_cbranch_vccz .LBB71_756
; %bb.755:
	v_trunc_f32_e32 v4, s2
	s_mov_b32 s8, 0
	s_delay_alu instid0(VALU_DEP_1) | instskip(SKIP_1) | instid1(VALU_DEP_2)
	v_mul_f32_e64 v5, 0x2f800000, |v4|
	v_ashrrev_i32_e32 v7, 31, v4
	v_floor_f32_e32 v5, v5
	s_delay_alu instid0(VALU_DEP_1) | instskip(SKIP_1) | instid1(VALU_DEP_2)
	v_fma_f32 v6, 0xcf800000, v5, |v4|
	v_cvt_u32_f32_e32 v5, v5
	v_cvt_u32_f32_e32 v4, v6
	s_delay_alu instid0(VALU_DEP_2) | instskip(NEXT) | instid1(VALU_DEP_2)
	v_xor_b32_e32 v5, v5, v7
	v_xor_b32_e32 v4, v4, v7
	s_delay_alu instid0(VALU_DEP_1) | instskip(NEXT) | instid1(VALU_DEP_3)
	v_sub_co_u32 v4, vcc_lo, v4, v7
	v_sub_co_ci_u32_e32 v5, vcc_lo, v5, v7, vcc_lo
	global_store_b64 v[2:3], v[4:5], off
.LBB71_756:
	s_and_not1_b32 vcc_lo, exec_lo, s8
	s_cbranch_vccnz .LBB71_758
; %bb.757:
	v_cvt_i32_f32_e32 v4, s2
	global_store_b32 v[2:3], v4, off
.LBB71_758:
	s_mov_b32 s8, 0
.LBB71_759:
	s_delay_alu instid0(SALU_CYCLE_1)
	s_and_not1_b32 vcc_lo, exec_lo, s8
	s_cbranch_vccnz .LBB71_761
; %bb.760:
	v_cvt_i32_f32_e32 v4, s2
	global_store_b16 v[2:3], v4, off
.LBB71_761:
	s_mov_b32 s8, 0
.LBB71_762:
	s_delay_alu instid0(SALU_CYCLE_1)
	s_and_not1_b32 vcc_lo, exec_lo, s8
	s_cbranch_vccnz .LBB71_767
; %bb.763:
	v_cmp_gt_i16_e64 s8, s4, 0
	s_delay_alu instid0(VALU_DEP_1)
	s_and_b32 vcc_lo, exec_lo, s8
	s_mov_b32 s8, -1
	s_cbranch_vccz .LBB71_765
; %bb.764:
	v_cvt_i32_f32_e32 v4, s2
	s_mov_b32 s8, 0
	global_store_b8 v[2:3], v4, off
.LBB71_765:
	s_and_not1_b32 vcc_lo, exec_lo, s8
	s_cbranch_vccnz .LBB71_767
; %bb.766:
	v_trunc_f32_e32 v4, s2
	s_delay_alu instid0(VALU_DEP_1) | instskip(NEXT) | instid1(VALU_DEP_1)
	v_mul_f32_e64 v5, 0x2f800000, |v4|
	v_floor_f32_e32 v5, v5
	s_delay_alu instid0(VALU_DEP_1) | instskip(SKIP_1) | instid1(VALU_DEP_2)
	v_fma_f32 v5, 0xcf800000, v5, |v4|
	v_ashrrev_i32_e32 v4, 31, v4
	v_cvt_u32_f32_e32 v5, v5
	s_delay_alu instid0(VALU_DEP_1) | instskip(NEXT) | instid1(VALU_DEP_1)
	v_xor_b32_e32 v5, v5, v4
	v_sub_nc_u32_e32 v4, v5, v4
	global_store_b8 v[2:3], v4, off
.LBB71_767:
	s_mov_b32 s10, -1
.LBB71_768:
	s_delay_alu instid0(SALU_CYCLE_1)
	s_and_not1_b32 vcc_lo, exec_lo, s10
	s_cbranch_vccnz .LBB71_910
; %bb.769:
	v_cmp_lt_i16_e64 s8, s4, 11
	v_add_co_u32 v1, s9, s0, v1
	s_delay_alu instid0(VALU_DEP_1) | instskip(SKIP_1) | instid1(VALU_DEP_3)
	v_add_co_ci_u32_e64 v2, null, s1, 0, s9
	s_mov_b32 s10, 0
	s_and_b32 vcc_lo, exec_lo, s8
	s_mov_b32 s8, -1
	s_cbranch_vccnz .LBB71_862
; %bb.770:
	v_cmp_gt_i16_e64 s8, s4, 25
	s_mov_b32 s11, -1
	s_mov_b32 s9, 0
	s_delay_alu instid0(VALU_DEP_1)
	s_and_b32 vcc_lo, exec_lo, s8
	s_mov_b32 s8, 0
	s_cbranch_vccz .LBB71_812
; %bb.771:
	v_cmp_gt_i16_e64 s8, s4, 28
	s_delay_alu instid0(VALU_DEP_1)
	s_and_b32 vcc_lo, exec_lo, s8
	s_cbranch_vccz .LBB71_776
; %bb.772:
	v_cmp_gt_i16_e64 s8, s4, 43
	s_delay_alu instid0(VALU_DEP_1)
	s_and_b32 vcc_lo, exec_lo, s8
	s_cbranch_vccz .LBB71_777
; %bb.773:
	v_cmp_gt_i16_e64 s8, s4, 45
	s_delay_alu instid0(VALU_DEP_1)
	s_and_b32 vcc_lo, exec_lo, s8
	s_cbranch_vccz .LBB71_780
; %bb.774:
	v_cmp_eq_u16_e64 s10, s4, 46
	s_mov_b32 s8, -1
	s_mov_b32 s11, 0
	s_delay_alu instid0(VALU_DEP_1)
	s_and_b32 vcc_lo, exec_lo, s10
	s_mov_b32 s10, 0
	s_cbranch_vccz .LBB71_781
; %bb.775:
	s_bfe_u32 s8, s2, 0x10010
	s_bfe_u32 s10, s3, 0x10010
	s_add_i32 s8, s2, s8
	s_add_i32 s10, s3, s10
	v_cmp_o_f32_e64 s12, s3, s3
	v_cmp_o_f32_e64 s13, s2, s2
	s_addk_i32 s8, 0x7fff
	s_addk_i32 s10, 0x7fff
	s_lshr_b32 s8, s8, 16
	s_and_b32 s10, s10, 0xffff0000
	s_and_b32 s12, s12, exec_lo
	s_cselect_b32 s10, s10, 0x7fc00000
	s_and_b32 s12, s13, exec_lo
	s_cselect_b32 s8, s8, 0x7fc0
	s_delay_alu instid0(SALU_CYCLE_1)
	s_or_b32 s8, s10, s8
	s_mov_b32 s10, -1
	v_mov_b32_e32 v3, s8
	s_mov_b32 s8, 0
	global_store_b32 v[1:2], v3, off
	s_branch .LBB71_781
.LBB71_776:
	s_mov_b32 s8, 0
	s_branch .LBB71_791
.LBB71_777:
	s_mov_b32 s8, 0
	s_branch .LBB71_787
.LBB71_778:
	s_cbranch_execnz .LBB71_802
; %bb.779:
	s_or_b32 s5, s5, exec_lo
	s_cbranch_execz .LBB71_727
	s_branch .LBB71_728
.LBB71_780:
	s_mov_b32 s8, 0
.LBB71_781:
	s_and_b32 vcc_lo, exec_lo, s11
	s_cbranch_vccz .LBB71_786
; %bb.782:
	v_cmp_eq_u16_e64 s8, s4, 44
	s_delay_alu instid0(VALU_DEP_1)
	s_and_b32 vcc_lo, exec_lo, s8
	s_mov_b32 s8, -1
	s_cbranch_vccz .LBB71_786
; %bb.783:
	v_mov_b32_e32 v3, 0xff
	s_bfe_u32 s8, s2, 0x80017
	s_delay_alu instid0(SALU_CYCLE_1)
	s_cmpk_eq_i32 s8, 0xff
	s_cbranch_scc1 .LBB71_785
; %bb.784:
	s_lshr_b32 s10, s2, 23
	s_bitcmp1_b32 s2, 22
	s_cselect_b32 s11, -1, 0
	s_and_b32 s12, s2, 0x3fffff
	s_delay_alu instid0(SALU_CYCLE_1) | instskip(NEXT) | instid1(SALU_CYCLE_1)
	s_or_b32 s8, s8, s12
	s_cmp_lg_u32 s8, 0
	s_cselect_b32 s8, -1, 0
	s_delay_alu instid0(SALU_CYCLE_1) | instskip(NEXT) | instid1(SALU_CYCLE_1)
	s_and_b32 s8, s11, s8
	v_cndmask_b32_e64 v3, 0, 1, s8
	s_delay_alu instid0(VALU_DEP_1)
	v_add_nc_u32_e32 v3, s10, v3
.LBB71_785:
	s_mov_b32 s8, 0
	s_mov_b32 s10, -1
	global_store_b8 v[1:2], v3, off
.LBB71_786:
	s_mov_b32 s11, 0
.LBB71_787:
	s_delay_alu instid0(SALU_CYCLE_1)
	s_and_b32 vcc_lo, exec_lo, s11
	s_cbranch_vccz .LBB71_790
; %bb.788:
	v_cmp_eq_u16_e64 s8, s4, 29
	s_delay_alu instid0(VALU_DEP_1)
	s_and_b32 vcc_lo, exec_lo, s8
	s_mov_b32 s8, -1
	s_cbranch_vccz .LBB71_790
; %bb.789:
	v_trunc_f32_e32 v3, s2
	s_mov_b32 s8, 0
	s_mov_b32 s10, -1
	s_mov_b32 s11, 0
	s_delay_alu instid0(VALU_DEP_1) | instskip(NEXT) | instid1(VALU_DEP_1)
	v_mul_f32_e32 v4, 0x2f800000, v3
	v_floor_f32_e32 v4, v4
	s_delay_alu instid0(VALU_DEP_1) | instskip(SKIP_1) | instid1(VALU_DEP_2)
	v_fmamk_f32 v3, v4, 0xcf800000, v3
	v_cvt_u32_f32_e32 v4, v4
	v_cvt_u32_f32_e32 v3, v3
	global_store_b64 v[1:2], v[3:4], off
	s_branch .LBB71_791
.LBB71_790:
	s_mov_b32 s11, 0
.LBB71_791:
	s_delay_alu instid0(SALU_CYCLE_1)
	s_and_b32 vcc_lo, exec_lo, s11
	s_cbranch_vccz .LBB71_811
; %bb.792:
	v_cmp_lt_i16_e64 s10, s4, 27
	s_delay_alu instid0(VALU_DEP_1)
	s_and_b32 vcc_lo, exec_lo, s10
	s_mov_b32 s10, -1
	s_cbranch_vccnz .LBB71_798
; %bb.793:
	v_cmp_gt_i16_e64 s10, s4, 27
	s_delay_alu instid0(VALU_DEP_1)
	s_and_b32 vcc_lo, exec_lo, s10
	s_mov_b32 s10, -1
	s_cbranch_vccz .LBB71_795
; %bb.794:
	v_cvt_u32_f32_e32 v3, s2
	s_mov_b32 s10, 0
	global_store_b32 v[1:2], v3, off
.LBB71_795:
	s_and_not1_b32 vcc_lo, exec_lo, s10
	s_cbranch_vccnz .LBB71_797
; %bb.796:
	v_cvt_u32_f32_e32 v3, s2
	global_store_b16 v[1:2], v3, off
.LBB71_797:
	s_mov_b32 s10, 0
.LBB71_798:
	s_delay_alu instid0(SALU_CYCLE_1)
	s_and_not1_b32 vcc_lo, exec_lo, s10
	s_cbranch_vccnz .LBB71_810
; %bb.799:
	v_mov_b32_e32 v4, 0x80
	s_and_b32 s10, s2, 0x7fffffff
	s_delay_alu instid0(SALU_CYCLE_1)
	s_cmp_gt_u32 s10, 0x437fffff
	s_cbranch_scc1 .LBB71_809
; %bb.800:
	s_cmp_gt_u32 s10, 0x3bffffff
	s_cbranch_scc0 .LBB71_804
; %bb.801:
	s_bfe_u32 s10, s2, 0x10014
	s_mov_b32 s11, 0
	s_add_i32 s10, s2, s10
	s_delay_alu instid0(SALU_CYCLE_1) | instskip(NEXT) | instid1(SALU_CYCLE_1)
	s_add_i32 s10, s10, 0x487ffff
	s_lshr_b32 s12, s10, 20
	s_mov_b32 s10, -1
	s_branch .LBB71_805
.LBB71_802:
	s_trap 2
	s_sendmsg_rtn_b32 s0, sendmsg(MSG_RTN_GET_DOORBELL)
	s_mov_b32 ttmp2, m0
	s_waitcnt lgkmcnt(0)
	s_and_b32 s0, s0, 0x3ff
	s_delay_alu instid0(SALU_CYCLE_1) | instskip(NEXT) | instid1(SALU_CYCLE_1)
	s_bitset1_b32 s0, 10
	s_mov_b32 m0, s0
	s_sendmsg sendmsg(MSG_INTERRUPT)
	s_mov_b32 m0, ttmp2
.LBB71_803:                             ; =>This Inner Loop Header: Depth=1
	s_sethalt 5
	s_branch .LBB71_803
.LBB71_804:
	s_mov_b32 s11, -1
	s_mov_b32 s10, 0
                                        ; implicit-def: $sgpr12
.LBB71_805:
	v_mov_b32_e32 v3, s12
	s_and_not1_b32 vcc_lo, exec_lo, s11
                                        ; implicit-def: $sgpr11
	s_cbranch_vccnz .LBB71_807
; %bb.806:
	v_add_f32_e64 v3, 0x46000000, |s2|
	s_mov_b32 s11, 0
	s_delay_alu instid0(VALU_DEP_1) | instskip(NEXT) | instid1(VALU_DEP_1)
	v_and_b32_e32 v3, 0xff, v3
	v_cmp_ne_u32_e64 s10, 0, v3
.LBB71_807:
	v_mov_b32_e32 v4, s11
	s_delay_alu instid0(VALU_DEP_2)
	s_and_not1_b32 vcc_lo, exec_lo, s10
	s_cbranch_vccnz .LBB71_809
; %bb.808:
	s_lshr_b32 s10, s2, 24
	s_delay_alu instid0(SALU_CYCLE_1) | instskip(NEXT) | instid1(SALU_CYCLE_1)
	s_and_b32 s10, s10, 0x80
	v_or_b32_e32 v4, s10, v3
.LBB71_809:
	global_store_b8 v[1:2], v4, off
.LBB71_810:
	s_mov_b32 s10, -1
.LBB71_811:
	s_mov_b32 s11, 0
.LBB71_812:
	s_delay_alu instid0(SALU_CYCLE_1)
	s_and_b32 vcc_lo, exec_lo, s11
	s_cbranch_vccz .LBB71_858
; %bb.813:
	v_cmp_gt_i16_e64 s9, s4, 22
	s_delay_alu instid0(VALU_DEP_1)
	s_and_b32 vcc_lo, exec_lo, s9
	s_mov_b32 s9, -1
	s_cbranch_vccz .LBB71_851
; %bb.814:
	v_cmp_lt_i16_e64 s9, s4, 24
	s_delay_alu instid0(VALU_DEP_1)
	s_and_b32 vcc_lo, exec_lo, s9
	s_mov_b32 s9, -1
	s_cbranch_vccnz .LBB71_838
; %bb.815:
	v_cmp_gt_i16_e64 s9, s4, 24
	s_delay_alu instid0(VALU_DEP_1)
	s_and_b32 vcc_lo, exec_lo, s9
	s_mov_b32 s9, -1
	s_cbranch_vccz .LBB71_825
; %bb.816:
	v_mov_b32_e32 v4, 0x80
	s_and_b32 s9, s2, 0x7fffffff
	s_delay_alu instid0(SALU_CYCLE_1)
	s_cmp_gt_u32 s9, 0x477fffff
	s_cbranch_scc1 .LBB71_824
; %bb.817:
	s_cmp_gt_u32 s9, 0x37ffffff
	s_cbranch_scc0 .LBB71_819
; %bb.818:
	s_bfe_u32 s9, s2, 0x10015
	s_mov_b32 s10, 0
	s_add_i32 s9, s2, s9
	s_delay_alu instid0(SALU_CYCLE_1) | instskip(NEXT) | instid1(SALU_CYCLE_1)
	s_add_i32 s9, s9, 0x88fffff
	s_lshr_b32 s11, s9, 21
	s_mov_b32 s9, -1
	s_branch .LBB71_820
.LBB71_819:
	s_mov_b32 s10, -1
	s_mov_b32 s9, 0
                                        ; implicit-def: $sgpr11
.LBB71_820:
	v_mov_b32_e32 v3, s11
	s_and_not1_b32 vcc_lo, exec_lo, s10
                                        ; implicit-def: $sgpr10
	s_cbranch_vccnz .LBB71_822
; %bb.821:
	v_add_f32_e64 v3, 0x42800000, |s2|
	s_mov_b32 s10, 0
	s_delay_alu instid0(VALU_DEP_1) | instskip(NEXT) | instid1(VALU_DEP_1)
	v_and_b32_e32 v3, 0xff, v3
	v_cmp_ne_u32_e64 s9, 0, v3
.LBB71_822:
	v_mov_b32_e32 v4, s10
	s_delay_alu instid0(VALU_DEP_2)
	s_and_not1_b32 vcc_lo, exec_lo, s9
	s_cbranch_vccnz .LBB71_824
; %bb.823:
	s_lshr_b32 s9, s2, 24
	s_delay_alu instid0(SALU_CYCLE_1) | instskip(NEXT) | instid1(SALU_CYCLE_1)
	s_and_b32 s9, s9, 0x80
	v_or_b32_e32 v4, s9, v3
.LBB71_824:
	s_mov_b32 s9, 0
	global_store_b8 v[1:2], v4, off
.LBB71_825:
	s_and_b32 vcc_lo, exec_lo, s9
	s_cbranch_vccz .LBB71_837
; %bb.826:
	s_and_b32 s9, s2, 0x7fffffff
	s_delay_alu instid0(SALU_CYCLE_1)
	s_cmp_lt_u32 s9, 0x43f00000
	s_cbranch_scc0 .LBB71_829
; %bb.827:
	s_cmp_gt_u32 s9, 0x3c7fffff
	s_cbranch_scc0 .LBB71_830
; %bb.828:
	s_bfe_u32 s10, s2, 0x10014
	s_delay_alu instid0(SALU_CYCLE_1) | instskip(NEXT) | instid1(SALU_CYCLE_1)
	s_add_i32 s10, s2, s10
	s_add_i32 s10, s10, 0x407ffff
	s_delay_alu instid0(SALU_CYCLE_1)
	s_and_b32 s11, s10, 0xff00000
	s_lshr_b32 s10, s10, 20
	s_cmp_lg_u32 s11, 0x7f00000
	s_cselect_b32 s11, s10, 0x7e
	s_mov_b32 s10, 0
	s_branch .LBB71_831
.LBB71_829:
	s_mov_b32 s10, -1
                                        ; implicit-def: $vgpr3
	s_branch .LBB71_834
.LBB71_830:
	s_mov_b32 s10, -1
                                        ; implicit-def: $sgpr11
.LBB71_831:
	v_mov_b32_e32 v3, s11
	s_and_not1_b32 vcc_lo, exec_lo, s10
	s_cbranch_vccnz .LBB71_833
; %bb.832:
	v_add_f32_e64 v3, 0x46800000, |s2|
.LBB71_833:
	s_mov_b32 s10, 0
.LBB71_834:
	s_delay_alu instid0(SALU_CYCLE_1)
	s_and_not1_b32 vcc_lo, exec_lo, s10
	s_cbranch_vccnz .LBB71_836
; %bb.835:
	s_cmp_gt_u32 s9, 0x7f800000
	s_movk_i32 s9, 0x7f
	s_delay_alu instid0(SALU_CYCLE_1) | instskip(NEXT) | instid1(SALU_CYCLE_1)
	s_cselect_b32 s9, s9, 0x7e
	v_mov_b32_e32 v3, s9
.LBB71_836:
	s_lshr_b32 s9, s2, 24
	s_delay_alu instid0(SALU_CYCLE_1)
	s_and_b32 s9, s9, 0x80
	s_delay_alu instid0(VALU_DEP_1) | instid1(SALU_CYCLE_1)
	v_or_b32_e32 v3, s9, v3
	global_store_b8 v[1:2], v3, off
.LBB71_837:
	s_mov_b32 s9, 0
.LBB71_838:
	s_delay_alu instid0(SALU_CYCLE_1)
	s_and_not1_b32 vcc_lo, exec_lo, s9
	s_cbranch_vccnz .LBB71_850
; %bb.839:
	s_and_b32 s9, s2, 0x7fffffff
	s_delay_alu instid0(SALU_CYCLE_1)
	s_cmp_lt_u32 s9, 0x47800000
	s_cbranch_scc0 .LBB71_842
; %bb.840:
	s_cmp_gt_u32 s9, 0x387fffff
	s_cbranch_scc0 .LBB71_843
; %bb.841:
	s_bfe_u32 s10, s2, 0x10015
	s_delay_alu instid0(SALU_CYCLE_1) | instskip(NEXT) | instid1(SALU_CYCLE_1)
	s_add_i32 s10, s2, s10
	s_add_i32 s10, s10, 0x80fffff
	s_delay_alu instid0(SALU_CYCLE_1)
	s_lshr_b32 s11, s10, 21
	s_mov_b32 s10, 0
	s_branch .LBB71_844
.LBB71_842:
	s_mov_b32 s10, -1
                                        ; implicit-def: $vgpr3
	s_branch .LBB71_847
.LBB71_843:
	s_mov_b32 s10, -1
                                        ; implicit-def: $sgpr11
.LBB71_844:
	v_mov_b32_e32 v3, s11
	s_and_not1_b32 vcc_lo, exec_lo, s10
	s_cbranch_vccnz .LBB71_846
; %bb.845:
	v_add_f32_e64 v3, 0x43000000, |s2|
.LBB71_846:
	s_mov_b32 s10, 0
.LBB71_847:
	s_delay_alu instid0(SALU_CYCLE_1)
	s_and_not1_b32 vcc_lo, exec_lo, s10
	s_cbranch_vccnz .LBB71_849
; %bb.848:
	s_cmp_gt_u32 s9, 0x7f800000
	s_movk_i32 s9, 0x7f
	s_delay_alu instid0(SALU_CYCLE_1) | instskip(NEXT) | instid1(SALU_CYCLE_1)
	s_cselect_b32 s9, s9, 0x7c
	v_mov_b32_e32 v3, s9
.LBB71_849:
	s_lshr_b32 s9, s2, 24
	s_delay_alu instid0(SALU_CYCLE_1)
	s_and_b32 s9, s9, 0x80
	s_delay_alu instid0(VALU_DEP_1) | instid1(SALU_CYCLE_1)
	v_or_b32_e32 v3, s9, v3
	global_store_b8 v[1:2], v3, off
.LBB71_850:
	s_mov_b32 s9, 0
	s_mov_b32 s10, -1
.LBB71_851:
	s_and_not1_b32 vcc_lo, exec_lo, s9
	s_mov_b32 s9, 0
	s_cbranch_vccnz .LBB71_858
; %bb.852:
	v_cmp_gt_i16_e64 s9, s4, 14
	s_delay_alu instid0(VALU_DEP_1)
	s_and_b32 vcc_lo, exec_lo, s9
	s_mov_b32 s9, -1
	s_cbranch_vccz .LBB71_856
; %bb.853:
	v_cmp_eq_u16_e64 s8, s4, 15
	s_delay_alu instid0(VALU_DEP_1)
	s_and_b32 vcc_lo, exec_lo, s8
	s_mov_b32 s8, -1
	s_cbranch_vccz .LBB71_855
; %bb.854:
	s_bfe_u32 s8, s2, 0x10010
	v_cmp_o_f32_e64 s9, s2, s2
	s_add_i32 s8, s2, s8
	s_mov_b32 s10, -1
	s_addk_i32 s8, 0x7fff
	s_delay_alu instid0(SALU_CYCLE_1) | instskip(SKIP_2) | instid1(SALU_CYCLE_1)
	s_lshr_b32 s8, s8, 16
	s_and_b32 s9, s9, exec_lo
	s_cselect_b32 s8, s8, 0x7fc0
	v_mov_b32_e32 v3, s8
	s_mov_b32 s8, 0
	global_store_b16 v[1:2], v3, off
.LBB71_855:
	s_mov_b32 s9, 0
.LBB71_856:
	s_delay_alu instid0(SALU_CYCLE_1)
	s_and_b32 vcc_lo, exec_lo, s9
	s_mov_b32 s9, 0
	s_cbranch_vccz .LBB71_858
; %bb.857:
	v_cmp_ne_u16_e64 s8, s4, 11
	s_mov_b32 s9, -1
.LBB71_858:
	s_delay_alu instid0(VALU_DEP_1)
	s_and_b32 vcc_lo, exec_lo, s8
	s_cbranch_vccnz .LBB71_957
; %bb.859:
	s_and_not1_b32 vcc_lo, exec_lo, s9
	s_cbranch_vccnz .LBB71_861
.LBB71_860:
	s_or_b32 s8, s2, s3
	s_mov_b32 s10, -1
	s_bitset0_b32 s8, 31
	s_delay_alu instid0(SALU_CYCLE_1) | instskip(SKIP_1) | instid1(SALU_CYCLE_1)
	s_cmp_lg_u32 s8, 0
	s_cselect_b32 s8, -1, 0
	v_cndmask_b32_e64 v3, 0, 1, s8
	global_store_b8 v[1:2], v3, off
.LBB71_861:
	s_mov_b32 s8, 0
.LBB71_862:
	s_delay_alu instid0(SALU_CYCLE_1)
	s_and_b32 vcc_lo, exec_lo, s8
	s_cbranch_vccz .LBB71_901
; %bb.863:
	v_cmp_lt_i16_e64 s8, s4, 5
	s_delay_alu instid0(VALU_DEP_1)
	s_and_b32 vcc_lo, exec_lo, s8
	s_mov_b32 s8, -1
	s_cbranch_vccnz .LBB71_884
; %bb.864:
	v_cmp_lt_i16_e64 s8, s4, 8
	s_delay_alu instid0(VALU_DEP_1)
	s_and_b32 vcc_lo, exec_lo, s8
	s_mov_b32 s8, -1
	s_cbranch_vccnz .LBB71_874
	;; [unrolled: 6-line block ×3, first 2 shown]
; %bb.866:
	v_cmp_gt_i16_e64 s8, s4, 9
	s_delay_alu instid0(VALU_DEP_1)
	s_and_b32 vcc_lo, exec_lo, s8
	s_mov_b32 s8, -1
	s_cbranch_vccz .LBB71_868
; %bb.867:
	v_cvt_f64_f32_e32 v[3:4], s2
	v_cvt_f64_f32_e32 v[5:6], s3
	s_mov_b32 s8, 0
	global_store_b128 v[1:2], v[3:6], off
.LBB71_868:
	s_and_not1_b32 vcc_lo, exec_lo, s8
	s_cbranch_vccnz .LBB71_870
; %bb.869:
	v_dual_mov_b32 v3, s2 :: v_dual_mov_b32 v4, s3
	global_store_b64 v[1:2], v[3:4], off
.LBB71_870:
	s_mov_b32 s8, 0
.LBB71_871:
	s_delay_alu instid0(SALU_CYCLE_1)
	s_and_not1_b32 vcc_lo, exec_lo, s8
	s_cbranch_vccnz .LBB71_873
; %bb.872:
	v_cvt_f16_f32_e32 v3, s3
	v_cvt_f16_f32_e32 v4, s2
	s_delay_alu instid0(VALU_DEP_2) | instskip(NEXT) | instid1(VALU_DEP_2)
	v_lshlrev_b32_e32 v3, 16, v3
	v_and_b32_e32 v4, 0xffff, v4
	s_delay_alu instid0(VALU_DEP_1)
	v_or_b32_e32 v3, v3, v4
	global_store_b32 v[1:2], v3, off
.LBB71_873:
	s_mov_b32 s8, 0
.LBB71_874:
	s_delay_alu instid0(SALU_CYCLE_1)
	s_and_not1_b32 vcc_lo, exec_lo, s8
	s_cbranch_vccnz .LBB71_883
; %bb.875:
	v_cmp_lt_i16_e64 s8, s4, 6
	s_delay_alu instid0(VALU_DEP_1)
	s_and_b32 vcc_lo, exec_lo, s8
	s_mov_b32 s8, -1
	s_cbranch_vccnz .LBB71_881
; %bb.876:
	v_cmp_gt_i16_e64 s8, s4, 6
	s_delay_alu instid0(VALU_DEP_1)
	s_and_b32 vcc_lo, exec_lo, s8
	s_mov_b32 s8, -1
	s_cbranch_vccz .LBB71_878
; %bb.877:
	v_cvt_f64_f32_e32 v[3:4], s2
	s_mov_b32 s8, 0
	global_store_b64 v[1:2], v[3:4], off
.LBB71_878:
	s_and_not1_b32 vcc_lo, exec_lo, s8
	s_cbranch_vccnz .LBB71_880
; %bb.879:
	v_mov_b32_e32 v3, s2
	global_store_b32 v[1:2], v3, off
.LBB71_880:
	s_mov_b32 s8, 0
.LBB71_881:
	s_delay_alu instid0(SALU_CYCLE_1)
	s_and_not1_b32 vcc_lo, exec_lo, s8
	s_cbranch_vccnz .LBB71_883
; %bb.882:
	v_cvt_f16_f32_e32 v3, s2
	global_store_b16 v[1:2], v3, off
.LBB71_883:
	s_mov_b32 s8, 0
.LBB71_884:
	s_delay_alu instid0(SALU_CYCLE_1)
	s_and_not1_b32 vcc_lo, exec_lo, s8
	s_cbranch_vccnz .LBB71_900
; %bb.885:
	v_cmp_lt_i16_e64 s8, s4, 2
	s_delay_alu instid0(VALU_DEP_1)
	s_and_b32 vcc_lo, exec_lo, s8
	s_mov_b32 s8, -1
	s_cbranch_vccnz .LBB71_895
; %bb.886:
	v_cmp_lt_i16_e64 s8, s4, 3
	s_delay_alu instid0(VALU_DEP_1)
	s_and_b32 vcc_lo, exec_lo, s8
	s_mov_b32 s8, -1
	s_cbranch_vccnz .LBB71_892
; %bb.887:
	v_cmp_gt_i16_e64 s8, s4, 3
	s_delay_alu instid0(VALU_DEP_1)
	s_and_b32 vcc_lo, exec_lo, s8
	s_mov_b32 s8, -1
	s_cbranch_vccz .LBB71_889
; %bb.888:
	v_trunc_f32_e32 v3, s2
	s_mov_b32 s8, 0
	s_delay_alu instid0(VALU_DEP_1) | instskip(SKIP_1) | instid1(VALU_DEP_2)
	v_mul_f32_e64 v4, 0x2f800000, |v3|
	v_ashrrev_i32_e32 v6, 31, v3
	v_floor_f32_e32 v4, v4
	s_delay_alu instid0(VALU_DEP_1) | instskip(SKIP_1) | instid1(VALU_DEP_2)
	v_fma_f32 v5, 0xcf800000, v4, |v3|
	v_cvt_u32_f32_e32 v4, v4
	v_cvt_u32_f32_e32 v3, v5
	s_delay_alu instid0(VALU_DEP_2) | instskip(NEXT) | instid1(VALU_DEP_2)
	v_xor_b32_e32 v4, v4, v6
	v_xor_b32_e32 v3, v3, v6
	s_delay_alu instid0(VALU_DEP_1) | instskip(NEXT) | instid1(VALU_DEP_3)
	v_sub_co_u32 v3, vcc_lo, v3, v6
	v_sub_co_ci_u32_e32 v4, vcc_lo, v4, v6, vcc_lo
	global_store_b64 v[1:2], v[3:4], off
.LBB71_889:
	s_and_not1_b32 vcc_lo, exec_lo, s8
	s_cbranch_vccnz .LBB71_891
; %bb.890:
	v_cvt_i32_f32_e32 v3, s2
	global_store_b32 v[1:2], v3, off
.LBB71_891:
	s_mov_b32 s8, 0
.LBB71_892:
	s_delay_alu instid0(SALU_CYCLE_1)
	s_and_not1_b32 vcc_lo, exec_lo, s8
	s_cbranch_vccnz .LBB71_894
; %bb.893:
	v_cvt_i32_f32_e32 v3, s2
	global_store_b16 v[1:2], v3, off
.LBB71_894:
	s_mov_b32 s8, 0
.LBB71_895:
	s_delay_alu instid0(SALU_CYCLE_1)
	s_and_not1_b32 vcc_lo, exec_lo, s8
	s_cbranch_vccnz .LBB71_900
; %bb.896:
	v_cmp_gt_i16_e64 s8, s4, 0
	s_delay_alu instid0(VALU_DEP_1)
	s_and_b32 vcc_lo, exec_lo, s8
	s_mov_b32 s8, -1
	s_cbranch_vccz .LBB71_898
; %bb.897:
	v_cvt_i32_f32_e32 v3, s2
	s_mov_b32 s8, 0
	global_store_b8 v[1:2], v3, off
.LBB71_898:
	s_and_not1_b32 vcc_lo, exec_lo, s8
	s_cbranch_vccnz .LBB71_900
; %bb.899:
	v_trunc_f32_e32 v3, s2
	s_delay_alu instid0(VALU_DEP_1) | instskip(NEXT) | instid1(VALU_DEP_1)
	v_mul_f32_e64 v4, 0x2f800000, |v3|
	v_floor_f32_e32 v4, v4
	s_delay_alu instid0(VALU_DEP_1) | instskip(SKIP_1) | instid1(VALU_DEP_2)
	v_fma_f32 v4, 0xcf800000, v4, |v3|
	v_ashrrev_i32_e32 v3, 31, v3
	v_cvt_u32_f32_e32 v4, v4
	s_delay_alu instid0(VALU_DEP_1) | instskip(NEXT) | instid1(VALU_DEP_1)
	v_xor_b32_e32 v4, v4, v3
	v_sub_nc_u32_e32 v3, v4, v3
	global_store_b8 v[1:2], v3, off
.LBB71_900:
	s_mov_b32 s10, -1
.LBB71_901:
	s_delay_alu instid0(SALU_CYCLE_1)
	s_and_not1_b32 vcc_lo, exec_lo, s10
	s_cbranch_vccnz .LBB71_910
; %bb.902:
	v_cmp_lt_i16_e64 s9, s4, 11
	v_add_co_u32 v0, s0, s0, v0
	s_delay_alu instid0(VALU_DEP_1) | instskip(SKIP_1) | instid1(VALU_DEP_3)
	v_add_co_ci_u32_e64 v1, null, s1, 0, s0
	s_mov_b32 s8, 0
	s_and_b32 vcc_lo, exec_lo, s9
	s_mov_b32 s0, -1
	s_cbranch_vccnz .LBB71_911
; %bb.903:
	v_cmp_gt_i16_e64 s0, s4, 25
	s_mov_b32 s1, -1
	s_delay_alu instid0(VALU_DEP_1)
	s_and_b32 vcc_lo, exec_lo, s0
	s_mov_b32 s0, 0
	s_cbranch_vccz .LBB71_990
; %bb.904:
	v_cmp_gt_i16_e64 s0, s4, 28
	s_delay_alu instid0(VALU_DEP_1)
	s_and_b32 vcc_lo, exec_lo, s0
	s_cbranch_vccz .LBB71_955
; %bb.905:
	v_cmp_gt_i16_e64 s0, s4, 43
	s_delay_alu instid0(VALU_DEP_1)
	s_and_b32 vcc_lo, exec_lo, s0
	;; [unrolled: 5-line block ×3, first 2 shown]
	s_cbranch_vccz .LBB71_959
; %bb.907:
	v_cmp_eq_u16_e64 s0, s4, 46
	s_delay_alu instid0(VALU_DEP_1)
	s_and_b32 vcc_lo, exec_lo, s0
	s_mov_b32 s0, -1
	s_cbranch_vccz .LBB71_909
; %bb.908:
	s_bfe_u32 s0, s2, 0x10010
	s_bfe_u32 s1, s3, 0x10010
	s_add_i32 s0, s2, s0
	s_add_i32 s1, s3, s1
	v_cmp_o_f32_e64 s9, s3, s3
	v_cmp_o_f32_e64 s10, s2, s2
	s_addk_i32 s0, 0x7fff
	s_addk_i32 s1, 0x7fff
	s_lshr_b32 s0, s0, 16
	s_and_b32 s1, s1, 0xffff0000
	s_and_b32 s9, s9, exec_lo
	s_cselect_b32 s1, s1, 0x7fc00000
	s_and_b32 s9, s10, exec_lo
	s_cselect_b32 s0, s0, 0x7fc0
	s_delay_alu instid0(SALU_CYCLE_1) | instskip(NEXT) | instid1(SALU_CYCLE_1)
	s_or_b32 s0, s1, s0
	v_mov_b32_e32 v2, s0
	s_mov_b32 s0, 0
	global_store_b32 v[0:1], v2, off
.LBB71_909:
	s_mov_b32 s1, 0
	s_branch .LBB71_960
.LBB71_910:
	s_mov_b32 s0, 0
	s_mov_b32 s8, 0
                                        ; implicit-def: $sgpr4
                                        ; implicit-def: $vgpr0_vgpr1
.LBB71_911:
	s_and_b32 s9, s0, exec_lo
	s_and_not1_b32 s0, s6, exec_lo
	s_and_b32 s1, s5, exec_lo
	s_and_b32 s22, s8, exec_lo
	s_or_b32 s6, s0, s1
.LBB71_912:
	s_or_b32 exec_lo, exec_lo, s7
	s_and_saveexec_b32 s0, s6
	s_cbranch_execz .LBB71_915
; %bb.913:
	; divergent unreachable
	s_or_b32 exec_lo, exec_lo, s0
	s_and_saveexec_b32 s0, s22
	s_delay_alu instid0(SALU_CYCLE_1)
	s_xor_b32 s0, exec_lo, s0
	s_cbranch_execnz .LBB71_916
.LBB71_914:
	s_or_b32 exec_lo, exec_lo, s0
	s_and_saveexec_b32 s0, s9
	s_cbranch_execnz .LBB71_917
	s_branch .LBB71_954
.LBB71_915:
	s_or_b32 exec_lo, exec_lo, s0
	s_and_saveexec_b32 s0, s22
	s_delay_alu instid0(SALU_CYCLE_1)
	s_xor_b32 s0, exec_lo, s0
	s_cbranch_execz .LBB71_914
.LBB71_916:
	s_or_b32 s1, s2, s3
	s_delay_alu instid0(SALU_CYCLE_1) | instskip(NEXT) | instid1(SALU_CYCLE_1)
	s_bitset0_b32 s1, 31
	s_cmp_lg_u32 s1, 0
	s_cselect_b32 s1, -1, 0
	s_delay_alu instid0(SALU_CYCLE_1)
	v_cndmask_b32_e64 v2, 0, 1, s1
	global_store_b8 v[0:1], v2, off
	s_or_b32 exec_lo, exec_lo, s0
	s_and_saveexec_b32 s0, s9
	s_cbranch_execz .LBB71_954
.LBB71_917:
	v_cmp_lt_i16_e64 s0, s4, 5
	s_delay_alu instid0(VALU_DEP_1)
	s_and_b32 vcc_lo, exec_lo, s0
	s_mov_b32 s0, -1
	s_cbranch_vccnz .LBB71_938
; %bb.918:
	v_cmp_lt_i16_e64 s0, s4, 8
	s_delay_alu instid0(VALU_DEP_1)
	s_and_b32 vcc_lo, exec_lo, s0
	s_mov_b32 s0, -1
	s_cbranch_vccnz .LBB71_928
; %bb.919:
	;; [unrolled: 6-line block ×3, first 2 shown]
	v_cmp_gt_i16_e64 s0, s4, 9
	s_delay_alu instid0(VALU_DEP_1)
	s_and_b32 vcc_lo, exec_lo, s0
	s_mov_b32 s0, -1
	s_cbranch_vccz .LBB71_922
; %bb.921:
	v_cvt_f64_f32_e32 v[2:3], s2
	v_cvt_f64_f32_e32 v[4:5], s3
	s_mov_b32 s0, 0
	global_store_b128 v[0:1], v[2:5], off
.LBB71_922:
	s_and_not1_b32 vcc_lo, exec_lo, s0
	s_cbranch_vccnz .LBB71_924
; %bb.923:
	v_dual_mov_b32 v2, s2 :: v_dual_mov_b32 v3, s3
	global_store_b64 v[0:1], v[2:3], off
.LBB71_924:
	s_mov_b32 s0, 0
.LBB71_925:
	s_delay_alu instid0(SALU_CYCLE_1)
	s_and_not1_b32 vcc_lo, exec_lo, s0
	s_cbranch_vccnz .LBB71_927
; %bb.926:
	v_cvt_f16_f32_e32 v2, s3
	v_cvt_f16_f32_e32 v3, s2
	s_delay_alu instid0(VALU_DEP_2) | instskip(NEXT) | instid1(VALU_DEP_2)
	v_lshlrev_b32_e32 v2, 16, v2
	v_and_b32_e32 v3, 0xffff, v3
	s_delay_alu instid0(VALU_DEP_1)
	v_or_b32_e32 v2, v2, v3
	global_store_b32 v[0:1], v2, off
.LBB71_927:
	s_mov_b32 s0, 0
.LBB71_928:
	s_delay_alu instid0(SALU_CYCLE_1)
	s_and_not1_b32 vcc_lo, exec_lo, s0
	s_cbranch_vccnz .LBB71_937
; %bb.929:
	v_cmp_lt_i16_e64 s0, s4, 6
	s_delay_alu instid0(VALU_DEP_1)
	s_and_b32 vcc_lo, exec_lo, s0
	s_mov_b32 s0, -1
	s_cbranch_vccnz .LBB71_935
; %bb.930:
	v_cmp_gt_i16_e64 s0, s4, 6
	s_delay_alu instid0(VALU_DEP_1)
	s_and_b32 vcc_lo, exec_lo, s0
	s_mov_b32 s0, -1
	s_cbranch_vccz .LBB71_932
; %bb.931:
	v_cvt_f64_f32_e32 v[2:3], s2
	s_mov_b32 s0, 0
	global_store_b64 v[0:1], v[2:3], off
.LBB71_932:
	s_and_not1_b32 vcc_lo, exec_lo, s0
	s_cbranch_vccnz .LBB71_934
; %bb.933:
	v_mov_b32_e32 v2, s2
	global_store_b32 v[0:1], v2, off
.LBB71_934:
	s_mov_b32 s0, 0
.LBB71_935:
	s_delay_alu instid0(SALU_CYCLE_1)
	s_and_not1_b32 vcc_lo, exec_lo, s0
	s_cbranch_vccnz .LBB71_937
; %bb.936:
	v_cvt_f16_f32_e32 v2, s2
	global_store_b16 v[0:1], v2, off
.LBB71_937:
	s_mov_b32 s0, 0
.LBB71_938:
	s_delay_alu instid0(SALU_CYCLE_1)
	s_and_not1_b32 vcc_lo, exec_lo, s0
	s_cbranch_vccnz .LBB71_954
; %bb.939:
	v_cmp_lt_i16_e64 s0, s4, 2
	s_delay_alu instid0(VALU_DEP_1)
	s_and_b32 vcc_lo, exec_lo, s0
	s_mov_b32 s0, -1
	s_cbranch_vccnz .LBB71_949
; %bb.940:
	v_cmp_lt_i16_e64 s0, s4, 3
	s_delay_alu instid0(VALU_DEP_1)
	s_and_b32 vcc_lo, exec_lo, s0
	s_mov_b32 s0, -1
	s_cbranch_vccnz .LBB71_946
; %bb.941:
	v_cmp_gt_i16_e64 s0, s4, 3
	s_delay_alu instid0(VALU_DEP_1)
	s_and_b32 vcc_lo, exec_lo, s0
	s_mov_b32 s0, -1
	s_cbranch_vccz .LBB71_943
; %bb.942:
	v_trunc_f32_e32 v2, s2
	s_mov_b32 s0, 0
	s_delay_alu instid0(VALU_DEP_1) | instskip(SKIP_1) | instid1(VALU_DEP_2)
	v_mul_f32_e64 v3, 0x2f800000, |v2|
	v_ashrrev_i32_e32 v5, 31, v2
	v_floor_f32_e32 v3, v3
	s_delay_alu instid0(VALU_DEP_1) | instskip(SKIP_1) | instid1(VALU_DEP_2)
	v_fma_f32 v4, 0xcf800000, v3, |v2|
	v_cvt_u32_f32_e32 v3, v3
	v_cvt_u32_f32_e32 v2, v4
	s_delay_alu instid0(VALU_DEP_2) | instskip(NEXT) | instid1(VALU_DEP_2)
	v_xor_b32_e32 v3, v3, v5
	v_xor_b32_e32 v2, v2, v5
	s_delay_alu instid0(VALU_DEP_1) | instskip(NEXT) | instid1(VALU_DEP_3)
	v_sub_co_u32 v2, vcc_lo, v2, v5
	v_sub_co_ci_u32_e32 v3, vcc_lo, v3, v5, vcc_lo
	global_store_b64 v[0:1], v[2:3], off
.LBB71_943:
	s_and_not1_b32 vcc_lo, exec_lo, s0
	s_cbranch_vccnz .LBB71_945
; %bb.944:
	v_cvt_i32_f32_e32 v2, s2
	global_store_b32 v[0:1], v2, off
.LBB71_945:
	s_mov_b32 s0, 0
.LBB71_946:
	s_delay_alu instid0(SALU_CYCLE_1)
	s_and_not1_b32 vcc_lo, exec_lo, s0
	s_cbranch_vccnz .LBB71_948
; %bb.947:
	v_cvt_i32_f32_e32 v2, s2
	global_store_b16 v[0:1], v2, off
.LBB71_948:
	s_mov_b32 s0, 0
.LBB71_949:
	s_delay_alu instid0(SALU_CYCLE_1)
	s_and_not1_b32 vcc_lo, exec_lo, s0
	s_cbranch_vccnz .LBB71_954
; %bb.950:
	v_cmp_gt_i16_e64 s0, s4, 0
	s_delay_alu instid0(VALU_DEP_1)
	s_and_b32 vcc_lo, exec_lo, s0
	s_mov_b32 s0, -1
	s_cbranch_vccz .LBB71_952
; %bb.951:
	v_cvt_i32_f32_e32 v2, s2
	s_mov_b32 s0, 0
	global_store_b8 v[0:1], v2, off
.LBB71_952:
	s_and_not1_b32 vcc_lo, exec_lo, s0
	s_cbranch_vccnz .LBB71_954
; %bb.953:
	v_trunc_f32_e32 v2, s2
	s_delay_alu instid0(VALU_DEP_1) | instskip(NEXT) | instid1(VALU_DEP_1)
	v_mul_f32_e64 v3, 0x2f800000, |v2|
	v_floor_f32_e32 v3, v3
	s_delay_alu instid0(VALU_DEP_1) | instskip(SKIP_1) | instid1(VALU_DEP_2)
	v_fma_f32 v3, 0xcf800000, v3, |v2|
	v_ashrrev_i32_e32 v2, 31, v2
	v_cvt_u32_f32_e32 v3, v3
	s_delay_alu instid0(VALU_DEP_1) | instskip(NEXT) | instid1(VALU_DEP_1)
	v_xor_b32_e32 v3, v3, v2
	v_sub_nc_u32_e32 v2, v3, v2
	global_store_b8 v[0:1], v2, off
	s_nop 0
	s_sendmsg sendmsg(MSG_DEALLOC_VGPRS)
	s_endpgm
.LBB71_954:
	s_nop 0
	s_sendmsg sendmsg(MSG_DEALLOC_VGPRS)
	s_endpgm
.LBB71_955:
	s_mov_b32 s0, 0
	s_branch .LBB71_970
.LBB71_956:
	s_mov_b32 s0, 0
	s_branch .LBB71_966
.LBB71_957:
	s_cbranch_execnz .LBB71_981
; %bb.958:
	s_or_b32 s5, s5, exec_lo
	s_cbranch_execz .LBB71_860
	s_branch .LBB71_861
.LBB71_959:
	s_mov_b32 s0, 0
.LBB71_960:
	s_and_b32 vcc_lo, exec_lo, s1
	s_cbranch_vccz .LBB71_965
; %bb.961:
	v_cmp_eq_u16_e64 s0, s4, 44
	s_delay_alu instid0(VALU_DEP_1)
	s_and_b32 vcc_lo, exec_lo, s0
	s_mov_b32 s0, -1
	s_cbranch_vccz .LBB71_965
; %bb.962:
	v_mov_b32_e32 v2, 0xff
	s_bfe_u32 s0, s2, 0x80017
	s_delay_alu instid0(SALU_CYCLE_1)
	s_cmpk_eq_i32 s0, 0xff
	s_cbranch_scc1 .LBB71_964
; %bb.963:
	s_lshr_b32 s1, s2, 23
	s_bitcmp1_b32 s2, 22
	s_cselect_b32 s9, -1, 0
	s_and_b32 s10, s2, 0x3fffff
	s_delay_alu instid0(SALU_CYCLE_1) | instskip(NEXT) | instid1(SALU_CYCLE_1)
	s_or_b32 s0, s0, s10
	s_cmp_lg_u32 s0, 0
	s_cselect_b32 s0, -1, 0
	s_delay_alu instid0(SALU_CYCLE_1) | instskip(NEXT) | instid1(SALU_CYCLE_1)
	s_and_b32 s0, s9, s0
	v_cndmask_b32_e64 v2, 0, 1, s0
	s_delay_alu instid0(VALU_DEP_1)
	v_add_nc_u32_e32 v2, s1, v2
.LBB71_964:
	s_mov_b32 s0, 0
	global_store_b8 v[0:1], v2, off
.LBB71_965:
	s_mov_b32 s1, 0
.LBB71_966:
	s_delay_alu instid0(SALU_CYCLE_1)
	s_and_b32 vcc_lo, exec_lo, s1
	s_cbranch_vccz .LBB71_969
; %bb.967:
	v_cmp_eq_u16_e64 s0, s4, 29
	s_delay_alu instid0(VALU_DEP_1)
	s_and_b32 vcc_lo, exec_lo, s0
	s_mov_b32 s0, -1
	s_cbranch_vccz .LBB71_969
; %bb.968:
	v_trunc_f32_e32 v2, s2
	s_mov_b32 s0, 0
	s_delay_alu instid0(VALU_DEP_1) | instskip(NEXT) | instid1(VALU_DEP_1)
	v_mul_f32_e32 v3, 0x2f800000, v2
	v_floor_f32_e32 v3, v3
	s_delay_alu instid0(VALU_DEP_1) | instskip(SKIP_1) | instid1(VALU_DEP_2)
	v_fmamk_f32 v2, v3, 0xcf800000, v2
	v_cvt_u32_f32_e32 v3, v3
	v_cvt_u32_f32_e32 v2, v2
	global_store_b64 v[0:1], v[2:3], off
.LBB71_969:
	s_mov_b32 s1, 0
.LBB71_970:
	s_delay_alu instid0(SALU_CYCLE_1)
	s_and_b32 vcc_lo, exec_lo, s1
	s_cbranch_vccz .LBB71_989
; %bb.971:
	v_cmp_lt_i16_e64 s1, s4, 27
	s_delay_alu instid0(VALU_DEP_1)
	s_and_b32 vcc_lo, exec_lo, s1
	s_mov_b32 s1, -1
	s_cbranch_vccnz .LBB71_977
; %bb.972:
	v_cmp_gt_i16_e64 s1, s4, 27
	v_cvt_u32_f32_e32 v2, s2
	s_delay_alu instid0(VALU_DEP_2)
	s_and_b32 vcc_lo, exec_lo, s1
	s_mov_b32 s1, -1
	s_cbranch_vccz .LBB71_974
; %bb.973:
	s_mov_b32 s1, 0
	global_store_b32 v[0:1], v2, off
.LBB71_974:
	s_and_not1_b32 vcc_lo, exec_lo, s1
	s_cbranch_vccnz .LBB71_976
; %bb.975:
	global_store_b16 v[0:1], v2, off
.LBB71_976:
	s_mov_b32 s1, 0
.LBB71_977:
	s_delay_alu instid0(SALU_CYCLE_1)
	s_and_not1_b32 vcc_lo, exec_lo, s1
	s_cbranch_vccnz .LBB71_989
; %bb.978:
	v_mov_b32_e32 v3, 0x80
	s_and_b32 s1, s2, 0x7fffffff
	s_delay_alu instid0(SALU_CYCLE_1)
	s_cmp_gt_u32 s1, 0x437fffff
	s_cbranch_scc1 .LBB71_988
; %bb.979:
	s_cmp_gt_u32 s1, 0x3bffffff
	s_cbranch_scc0 .LBB71_983
; %bb.980:
	s_bfe_u32 s1, s2, 0x10014
	s_mov_b32 s9, 0
	s_add_i32 s1, s2, s1
	s_delay_alu instid0(SALU_CYCLE_1) | instskip(NEXT) | instid1(SALU_CYCLE_1)
	s_add_i32 s1, s1, 0x487ffff
	s_lshr_b32 s10, s1, 20
	s_mov_b32 s1, -1
	s_branch .LBB71_984
.LBB71_981:
	s_trap 2
	s_sendmsg_rtn_b32 s0, sendmsg(MSG_RTN_GET_DOORBELL)
	s_mov_b32 ttmp2, m0
	s_waitcnt lgkmcnt(0)
	s_and_b32 s0, s0, 0x3ff
	s_delay_alu instid0(SALU_CYCLE_1) | instskip(NEXT) | instid1(SALU_CYCLE_1)
	s_bitset1_b32 s0, 10
	s_mov_b32 m0, s0
	s_sendmsg sendmsg(MSG_INTERRUPT)
	s_mov_b32 m0, ttmp2
.LBB71_982:                             ; =>This Inner Loop Header: Depth=1
	s_sethalt 5
	s_branch .LBB71_982
.LBB71_983:
	s_mov_b32 s9, -1
	s_mov_b32 s1, 0
                                        ; implicit-def: $sgpr10
.LBB71_984:
	v_mov_b32_e32 v2, s10
	s_and_not1_b32 vcc_lo, exec_lo, s9
                                        ; implicit-def: $sgpr9
	s_cbranch_vccnz .LBB71_986
; %bb.985:
	v_add_f32_e64 v2, 0x46000000, |s2|
	s_mov_b32 s9, 0
	s_delay_alu instid0(VALU_DEP_1) | instskip(NEXT) | instid1(VALU_DEP_1)
	v_and_b32_e32 v2, 0xff, v2
	v_cmp_ne_u32_e64 s1, 0, v2
.LBB71_986:
	v_mov_b32_e32 v3, s9
	s_delay_alu instid0(VALU_DEP_2)
	s_and_not1_b32 vcc_lo, exec_lo, s1
	s_cbranch_vccnz .LBB71_988
; %bb.987:
	s_lshr_b32 s1, s2, 24
	s_delay_alu instid0(SALU_CYCLE_1) | instskip(NEXT) | instid1(SALU_CYCLE_1)
	s_and_b32 s1, s1, 0x80
	v_or_b32_e32 v3, s1, v2
.LBB71_988:
	global_store_b8 v[0:1], v3, off
.LBB71_989:
	s_mov_b32 s1, 0
.LBB71_990:
	s_delay_alu instid0(SALU_CYCLE_1)
	s_and_b32 vcc_lo, exec_lo, s1
	s_cbranch_vccz .LBB71_1036
; %bb.991:
	v_cmp_gt_i16_e64 s1, s4, 22
	s_delay_alu instid0(VALU_DEP_1)
	s_and_b32 vcc_lo, exec_lo, s1
	s_mov_b32 s1, -1
	s_cbranch_vccz .LBB71_1029
; %bb.992:
	v_cmp_lt_i16_e64 s1, s4, 24
	s_delay_alu instid0(VALU_DEP_1)
	s_and_b32 vcc_lo, exec_lo, s1
	s_mov_b32 s1, -1
	s_cbranch_vccnz .LBB71_1016
; %bb.993:
	v_cmp_gt_i16_e64 s1, s4, 24
	s_delay_alu instid0(VALU_DEP_1)
	s_and_b32 vcc_lo, exec_lo, s1
	s_mov_b32 s1, -1
	s_cbranch_vccz .LBB71_1003
; %bb.994:
	v_mov_b32_e32 v3, 0x80
	s_and_b32 s1, s2, 0x7fffffff
	s_delay_alu instid0(SALU_CYCLE_1)
	s_cmp_gt_u32 s1, 0x477fffff
	s_cbranch_scc1 .LBB71_1002
; %bb.995:
	s_cmp_gt_u32 s1, 0x37ffffff
	s_cbranch_scc0 .LBB71_997
; %bb.996:
	s_bfe_u32 s1, s2, 0x10015
	s_delay_alu instid0(SALU_CYCLE_1) | instskip(NEXT) | instid1(SALU_CYCLE_1)
	s_add_i32 s1, s2, s1
	s_add_i32 s1, s1, 0x88fffff
	s_delay_alu instid0(SALU_CYCLE_1)
	s_lshr_b32 s9, s1, 21
	s_mov_b32 s1, -1
	s_branch .LBB71_998
.LBB71_997:
	s_mov_b32 s8, -1
	s_mov_b32 s1, 0
                                        ; implicit-def: $sgpr9
.LBB71_998:
	v_mov_b32_e32 v2, s9
	s_and_not1_b32 vcc_lo, exec_lo, s8
                                        ; implicit-def: $sgpr8
	s_cbranch_vccnz .LBB71_1000
; %bb.999:
	v_add_f32_e64 v2, 0x42800000, |s2|
	s_mov_b32 s8, 0
	s_delay_alu instid0(VALU_DEP_1) | instskip(NEXT) | instid1(VALU_DEP_1)
	v_and_b32_e32 v2, 0xff, v2
	v_cmp_ne_u32_e64 s1, 0, v2
.LBB71_1000:
	v_mov_b32_e32 v3, s8
	s_delay_alu instid0(VALU_DEP_2)
	s_and_not1_b32 vcc_lo, exec_lo, s1
	s_cbranch_vccnz .LBB71_1002
; %bb.1001:
	s_lshr_b32 s1, s2, 24
	s_delay_alu instid0(SALU_CYCLE_1) | instskip(NEXT) | instid1(SALU_CYCLE_1)
	s_and_b32 s1, s1, 0x80
	v_or_b32_e32 v3, s1, v2
.LBB71_1002:
	s_mov_b32 s1, 0
	global_store_b8 v[0:1], v3, off
.LBB71_1003:
	s_and_b32 vcc_lo, exec_lo, s1
	s_cbranch_vccz .LBB71_1015
; %bb.1004:
	s_and_b32 s1, s2, 0x7fffffff
	s_delay_alu instid0(SALU_CYCLE_1)
	s_cmp_lt_u32 s1, 0x43f00000
	s_cbranch_scc0 .LBB71_1007
; %bb.1005:
	s_cmp_gt_u32 s1, 0x3c7fffff
	s_cbranch_scc0 .LBB71_1008
; %bb.1006:
	s_bfe_u32 s8, s2, 0x10014
	s_delay_alu instid0(SALU_CYCLE_1) | instskip(NEXT) | instid1(SALU_CYCLE_1)
	s_add_i32 s8, s2, s8
	s_add_i32 s8, s8, 0x407ffff
	s_delay_alu instid0(SALU_CYCLE_1)
	s_and_b32 s9, s8, 0xff00000
	s_lshr_b32 s8, s8, 20
	s_cmp_lg_u32 s9, 0x7f00000
	s_cselect_b32 s9, s8, 0x7e
	s_mov_b32 s8, 0
	s_branch .LBB71_1009
.LBB71_1007:
	s_mov_b32 s8, -1
                                        ; implicit-def: $vgpr2
	s_branch .LBB71_1012
.LBB71_1008:
	s_mov_b32 s8, -1
                                        ; implicit-def: $sgpr9
.LBB71_1009:
	v_mov_b32_e32 v2, s9
	s_and_not1_b32 vcc_lo, exec_lo, s8
	s_cbranch_vccnz .LBB71_1011
; %bb.1010:
	v_add_f32_e64 v2, 0x46800000, |s2|
.LBB71_1011:
	s_mov_b32 s8, 0
.LBB71_1012:
	s_delay_alu instid0(SALU_CYCLE_1)
	s_and_not1_b32 vcc_lo, exec_lo, s8
	s_cbranch_vccnz .LBB71_1014
; %bb.1013:
	s_cmp_gt_u32 s1, 0x7f800000
	s_movk_i32 s1, 0x7f
	s_delay_alu instid0(SALU_CYCLE_1) | instskip(NEXT) | instid1(SALU_CYCLE_1)
	s_cselect_b32 s1, s1, 0x7e
	v_mov_b32_e32 v2, s1
.LBB71_1014:
	s_lshr_b32 s1, s2, 24
	s_delay_alu instid0(SALU_CYCLE_1)
	s_and_b32 s1, s1, 0x80
	s_delay_alu instid0(VALU_DEP_1) | instid1(SALU_CYCLE_1)
	v_or_b32_e32 v2, s1, v2
	global_store_b8 v[0:1], v2, off
.LBB71_1015:
	s_mov_b32 s1, 0
.LBB71_1016:
	s_delay_alu instid0(SALU_CYCLE_1)
	s_and_not1_b32 vcc_lo, exec_lo, s1
	s_cbranch_vccnz .LBB71_1028
; %bb.1017:
	s_and_b32 s1, s2, 0x7fffffff
	s_delay_alu instid0(SALU_CYCLE_1)
	s_cmp_lt_u32 s1, 0x47800000
	s_cbranch_scc0 .LBB71_1020
; %bb.1018:
	s_cmp_gt_u32 s1, 0x387fffff
	s_cbranch_scc0 .LBB71_1021
; %bb.1019:
	s_bfe_u32 s8, s2, 0x10015
	s_delay_alu instid0(SALU_CYCLE_1) | instskip(NEXT) | instid1(SALU_CYCLE_1)
	s_add_i32 s8, s2, s8
	s_add_i32 s8, s8, 0x80fffff
	s_delay_alu instid0(SALU_CYCLE_1)
	s_lshr_b32 s9, s8, 21
	s_mov_b32 s8, 0
	s_branch .LBB71_1022
.LBB71_1020:
	s_mov_b32 s8, -1
                                        ; implicit-def: $vgpr2
	s_branch .LBB71_1025
.LBB71_1021:
	s_mov_b32 s8, -1
                                        ; implicit-def: $sgpr9
.LBB71_1022:
	v_mov_b32_e32 v2, s9
	s_and_not1_b32 vcc_lo, exec_lo, s8
	s_cbranch_vccnz .LBB71_1024
; %bb.1023:
	v_add_f32_e64 v2, 0x43000000, |s2|
.LBB71_1024:
	s_mov_b32 s8, 0
.LBB71_1025:
	s_delay_alu instid0(SALU_CYCLE_1)
	s_and_not1_b32 vcc_lo, exec_lo, s8
	s_cbranch_vccnz .LBB71_1027
; %bb.1026:
	s_cmp_gt_u32 s1, 0x7f800000
	s_movk_i32 s1, 0x7f
	s_delay_alu instid0(SALU_CYCLE_1) | instskip(NEXT) | instid1(SALU_CYCLE_1)
	s_cselect_b32 s1, s1, 0x7c
	v_mov_b32_e32 v2, s1
.LBB71_1027:
	s_lshr_b32 s1, s2, 24
	s_delay_alu instid0(SALU_CYCLE_1)
	s_and_b32 s1, s1, 0x80
	s_delay_alu instid0(VALU_DEP_1) | instid1(SALU_CYCLE_1)
	v_or_b32_e32 v2, s1, v2
	global_store_b8 v[0:1], v2, off
.LBB71_1028:
	s_mov_b32 s1, 0
.LBB71_1029:
	s_delay_alu instid0(SALU_CYCLE_1)
	s_and_not1_b32 vcc_lo, exec_lo, s1
	s_mov_b32 s8, 0
	s_cbranch_vccnz .LBB71_1036
; %bb.1030:
	v_cmp_gt_i16_e64 s1, s4, 14
	s_delay_alu instid0(VALU_DEP_1)
	s_and_b32 vcc_lo, exec_lo, s1
	s_mov_b32 s1, -1
	s_cbranch_vccz .LBB71_1034
; %bb.1031:
	v_cmp_eq_u16_e64 s0, s4, 15
	s_delay_alu instid0(VALU_DEP_1)
	s_and_b32 vcc_lo, exec_lo, s0
	s_mov_b32 s0, -1
	s_cbranch_vccz .LBB71_1033
; %bb.1032:
	s_bfe_u32 s0, s2, 0x10010
	v_cmp_o_f32_e64 s1, s2, s2
	s_add_i32 s0, s2, s0
	s_delay_alu instid0(SALU_CYCLE_1) | instskip(NEXT) | instid1(SALU_CYCLE_1)
	s_addk_i32 s0, 0x7fff
	s_lshr_b32 s0, s0, 16
	s_delay_alu instid0(VALU_DEP_1) | instskip(SKIP_1) | instid1(SALU_CYCLE_1)
	s_and_b32 s1, s1, exec_lo
	s_cselect_b32 s0, s0, 0x7fc0
	v_mov_b32_e32 v2, s0
	s_mov_b32 s0, 0
	global_store_b16 v[0:1], v2, off
.LBB71_1033:
	s_mov_b32 s1, 0
.LBB71_1034:
	s_delay_alu instid0(SALU_CYCLE_1)
	s_and_b32 vcc_lo, exec_lo, s1
	s_cbranch_vccz .LBB71_1036
; %bb.1035:
	v_cmp_ne_u16_e64 s0, s4, 11
	s_mov_b32 s8, -1
.LBB71_1036:
	s_delay_alu instid0(VALU_DEP_1)
	s_and_b32 vcc_lo, exec_lo, s0
	s_cbranch_vccnz .LBB71_1038
.LBB71_1037:
	s_mov_b32 s0, 0
	s_branch .LBB71_911
.LBB71_1038:
	s_cbranch_execnz .LBB71_1040
; %bb.1039:
	s_mov_b32 s8, 0
	s_or_b32 s5, s5, exec_lo
	s_branch .LBB71_1037
.LBB71_1040:
	s_trap 2
	s_sendmsg_rtn_b32 s0, sendmsg(MSG_RTN_GET_DOORBELL)
	s_mov_b32 ttmp2, m0
	s_waitcnt lgkmcnt(0)
	s_and_b32 s0, s0, 0x3ff
	s_delay_alu instid0(SALU_CYCLE_1) | instskip(NEXT) | instid1(SALU_CYCLE_1)
	s_bitset1_b32 s0, 10
	s_mov_b32 m0, s0
	s_sendmsg sendmsg(MSG_INTERRUPT)
	s_mov_b32 m0, ttmp2
.LBB71_1041:                            ; =>This Inner Loop Header: Depth=1
	s_sethalt 5
	s_branch .LBB71_1041
	.section	.rodata,"a",@progbits
	.p2align	6, 0x0
	.amdhsa_kernel _ZN2at6native32elementwise_kernel_manual_unrollILi128ELi4EZNS0_15gpu_kernel_implINS0_11FillFunctorIN3c107complexIfEEEEEEvRNS_18TensorIteratorBaseERKT_EUlibE0_EEviT1_
		.amdhsa_group_segment_fixed_size 0
		.amdhsa_private_segment_fixed_size 0
		.amdhsa_kernarg_size 296
		.amdhsa_user_sgpr_count 15
		.amdhsa_user_sgpr_dispatch_ptr 0
		.amdhsa_user_sgpr_queue_ptr 0
		.amdhsa_user_sgpr_kernarg_segment_ptr 1
		.amdhsa_user_sgpr_dispatch_id 0
		.amdhsa_user_sgpr_private_segment_size 0
		.amdhsa_wavefront_size32 1
		.amdhsa_uses_dynamic_stack 0
		.amdhsa_enable_private_segment 0
		.amdhsa_system_sgpr_workgroup_id_x 1
		.amdhsa_system_sgpr_workgroup_id_y 0
		.amdhsa_system_sgpr_workgroup_id_z 0
		.amdhsa_system_sgpr_workgroup_info 0
		.amdhsa_system_vgpr_workitem_id 0
		.amdhsa_next_free_vgpr 24
		.amdhsa_next_free_sgpr 80
		.amdhsa_reserve_vcc 1
		.amdhsa_float_round_mode_32 0
		.amdhsa_float_round_mode_16_64 0
		.amdhsa_float_denorm_mode_32 3
		.amdhsa_float_denorm_mode_16_64 3
		.amdhsa_dx10_clamp 1
		.amdhsa_ieee_mode 1
		.amdhsa_fp16_overflow 0
		.amdhsa_workgroup_processor_mode 1
		.amdhsa_memory_ordered 1
		.amdhsa_forward_progress 0
		.amdhsa_shared_vgpr_count 0
		.amdhsa_exception_fp_ieee_invalid_op 0
		.amdhsa_exception_fp_denorm_src 0
		.amdhsa_exception_fp_ieee_div_zero 0
		.amdhsa_exception_fp_ieee_overflow 0
		.amdhsa_exception_fp_ieee_underflow 0
		.amdhsa_exception_fp_ieee_inexact 0
		.amdhsa_exception_int_div_zero 0
	.end_amdhsa_kernel
	.section	.text._ZN2at6native32elementwise_kernel_manual_unrollILi128ELi4EZNS0_15gpu_kernel_implINS0_11FillFunctorIN3c107complexIfEEEEEEvRNS_18TensorIteratorBaseERKT_EUlibE0_EEviT1_,"axG",@progbits,_ZN2at6native32elementwise_kernel_manual_unrollILi128ELi4EZNS0_15gpu_kernel_implINS0_11FillFunctorIN3c107complexIfEEEEEEvRNS_18TensorIteratorBaseERKT_EUlibE0_EEviT1_,comdat
.Lfunc_end71:
	.size	_ZN2at6native32elementwise_kernel_manual_unrollILi128ELi4EZNS0_15gpu_kernel_implINS0_11FillFunctorIN3c107complexIfEEEEEEvRNS_18TensorIteratorBaseERKT_EUlibE0_EEviT1_, .Lfunc_end71-_ZN2at6native32elementwise_kernel_manual_unrollILi128ELi4EZNS0_15gpu_kernel_implINS0_11FillFunctorIN3c107complexIfEEEEEEvRNS_18TensorIteratorBaseERKT_EUlibE0_EEviT1_
                                        ; -- End function
	.section	.AMDGPU.csdata,"",@progbits
; Kernel info:
; codeLenInByte = 21324
; NumSgprs: 82
; NumVgprs: 24
; ScratchSize: 0
; MemoryBound: 0
; FloatMode: 240
; IeeeMode: 1
; LDSByteSize: 0 bytes/workgroup (compile time only)
; SGPRBlocks: 10
; VGPRBlocks: 2
; NumSGPRsForWavesPerEU: 82
; NumVGPRsForWavesPerEU: 24
; Occupancy: 16
; WaveLimiterHint : 1
; COMPUTE_PGM_RSRC2:SCRATCH_EN: 0
; COMPUTE_PGM_RSRC2:USER_SGPR: 15
; COMPUTE_PGM_RSRC2:TRAP_HANDLER: 0
; COMPUTE_PGM_RSRC2:TGID_X_EN: 1
; COMPUTE_PGM_RSRC2:TGID_Y_EN: 0
; COMPUTE_PGM_RSRC2:TGID_Z_EN: 0
; COMPUTE_PGM_RSRC2:TIDIG_COMP_CNT: 0
	.section	.text._ZN2at6native29vectorized_elementwise_kernelILi16ENS0_11FillFunctorIN3c107complexINS3_4HalfEEEEESt5arrayIPcLm1EEEEviT0_T1_,"axG",@progbits,_ZN2at6native29vectorized_elementwise_kernelILi16ENS0_11FillFunctorIN3c107complexINS3_4HalfEEEEESt5arrayIPcLm1EEEEviT0_T1_,comdat
	.protected	_ZN2at6native29vectorized_elementwise_kernelILi16ENS0_11FillFunctorIN3c107complexINS3_4HalfEEEEESt5arrayIPcLm1EEEEviT0_T1_ ; -- Begin function _ZN2at6native29vectorized_elementwise_kernelILi16ENS0_11FillFunctorIN3c107complexINS3_4HalfEEEEESt5arrayIPcLm1EEEEviT0_T1_
	.globl	_ZN2at6native29vectorized_elementwise_kernelILi16ENS0_11FillFunctorIN3c107complexINS3_4HalfEEEEESt5arrayIPcLm1EEEEviT0_T1_
	.p2align	8
	.type	_ZN2at6native29vectorized_elementwise_kernelILi16ENS0_11FillFunctorIN3c107complexINS3_4HalfEEEEESt5arrayIPcLm1EEEEviT0_T1_,@function
_ZN2at6native29vectorized_elementwise_kernelILi16ENS0_11FillFunctorIN3c107complexINS3_4HalfEEEEESt5arrayIPcLm1EEEEviT0_T1_: ; @_ZN2at6native29vectorized_elementwise_kernelILi16ENS0_11FillFunctorIN3c107complexINS3_4HalfEEEEESt5arrayIPcLm1EEEEviT0_T1_
; %bb.0:
	s_load_b128 s[0:3], s[0:1], 0x0
	s_lshl_b32 s4, s15, 10
	s_waitcnt lgkmcnt(0)
	s_sub_i32 s6, s0, s4
	s_delay_alu instid0(SALU_CYCLE_1)
	s_cmpk_gt_i32 s6, 0x3ff
	s_cbranch_scc0 .LBB72_4
; %bb.1:
	s_ashr_i32 s5, s4, 31
	v_dual_mov_b32 v3, s1 :: v_dual_lshlrev_b32 v6, 4, v0
	s_lshl_b64 s[8:9], s[4:5], 2
	v_dual_mov_b32 v4, s1 :: v_dual_mov_b32 v5, s1
	s_add_u32 s8, s2, s8
	s_addc_u32 s9, s3, s9
	v_add_co_u32 v1, s0, s8, v6
	s_delay_alu instid0(VALU_DEP_1) | instskip(NEXT) | instid1(VALU_DEP_2)
	v_add_co_ci_u32_e64 v2, null, s9, 0, s0
	v_add_co_u32 v1, vcc_lo, v1, 12
	s_delay_alu instid0(VALU_DEP_2)
	v_add_co_ci_u32_e32 v2, vcc_lo, 0, v2, vcc_lo
	s_mov_b32 s0, -1
	global_store_b96 v6, v[3:5], s[8:9]
	s_cbranch_execz .LBB72_5
; %bb.2:
	s_and_saveexec_b32 s2, s0
	s_cbranch_execz .LBB72_12
.LBB72_3:
	v_mov_b32_e32 v0, s1
	global_store_b32 v[1:2], v0, off
	s_nop 0
	s_sendmsg sendmsg(MSG_DEALLOC_VGPRS)
	s_endpgm
.LBB72_4:
	s_mov_b32 s0, 0
                                        ; implicit-def: $vgpr1_vgpr2
.LBB72_5:
	s_mov_b32 s5, exec_lo
	v_cmpx_gt_i32_e64 s6, v0
	s_cbranch_execz .LBB72_13
; %bb.6:
	v_or_b32_e32 v1, s4, v0
	v_dual_mov_b32 v2, 0 :: v_dual_mov_b32 v3, s1
	v_or_b32_e32 v0, 0x100, v0
	s_delay_alu instid0(VALU_DEP_2) | instskip(NEXT) | instid1(VALU_DEP_1)
	v_lshlrev_b64 v[1:2], 2, v[1:2]
	v_add_co_u32 v1, vcc_lo, s2, v1
	s_delay_alu instid0(VALU_DEP_2) | instskip(SKIP_2) | instid1(SALU_CYCLE_1)
	v_add_co_ci_u32_e32 v2, vcc_lo, s3, v2, vcc_lo
	global_store_b32 v[1:2], v3, off
	s_or_b32 exec_lo, exec_lo, s5
	s_mov_b32 s5, exec_lo
	v_cmpx_gt_i32_e64 s6, v0
	s_cbranch_execnz .LBB72_14
.LBB72_7:
	s_or_b32 exec_lo, exec_lo, s5
	s_delay_alu instid0(SALU_CYCLE_1)
	s_mov_b32 s5, exec_lo
	v_cmpx_gt_i32_e64 s6, v0
	s_cbranch_execz .LBB72_9
.LBB72_8:
	v_dual_mov_b32 v2, 0 :: v_dual_add_nc_u32 v1, s4, v0
	v_dual_mov_b32 v3, s1 :: v_dual_add_nc_u32 v0, 0x100, v0
	s_delay_alu instid0(VALU_DEP_2) | instskip(NEXT) | instid1(VALU_DEP_1)
	v_lshlrev_b64 v[1:2], 2, v[1:2]
	v_add_co_u32 v1, vcc_lo, s2, v1
	s_delay_alu instid0(VALU_DEP_2)
	v_add_co_ci_u32_e32 v2, vcc_lo, s3, v2, vcc_lo
	global_store_b32 v[1:2], v3, off
.LBB72_9:
	s_or_b32 exec_lo, exec_lo, s5
	s_delay_alu instid0(SALU_CYCLE_1)
	s_mov_b32 s5, exec_lo
                                        ; implicit-def: $vgpr1_vgpr2
	v_cmpx_gt_i32_e64 s6, v0
; %bb.10:
	v_dual_mov_b32 v1, 0 :: v_dual_add_nc_u32 v0, s4, v0
	s_or_b32 s0, s0, exec_lo
	s_delay_alu instid0(VALU_DEP_1) | instskip(NEXT) | instid1(VALU_DEP_1)
	v_lshlrev_b64 v[1:2], 2, v[0:1]
	v_add_co_u32 v1, vcc_lo, s2, v1
	s_delay_alu instid0(VALU_DEP_2)
	v_add_co_ci_u32_e32 v2, vcc_lo, s3, v2, vcc_lo
; %bb.11:
	s_or_b32 exec_lo, exec_lo, s5
	s_and_saveexec_b32 s2, s0
	s_cbranch_execnz .LBB72_3
.LBB72_12:
	s_nop 0
	s_sendmsg sendmsg(MSG_DEALLOC_VGPRS)
	s_endpgm
.LBB72_13:
	s_or_b32 exec_lo, exec_lo, s5
	s_delay_alu instid0(SALU_CYCLE_1)
	s_mov_b32 s5, exec_lo
	v_cmpx_gt_i32_e64 s6, v0
	s_cbranch_execz .LBB72_7
.LBB72_14:
	v_dual_mov_b32 v2, 0 :: v_dual_add_nc_u32 v1, s4, v0
	v_dual_mov_b32 v3, s1 :: v_dual_add_nc_u32 v0, 0x100, v0
	s_delay_alu instid0(VALU_DEP_2) | instskip(NEXT) | instid1(VALU_DEP_1)
	v_lshlrev_b64 v[1:2], 2, v[1:2]
	v_add_co_u32 v1, vcc_lo, s2, v1
	s_delay_alu instid0(VALU_DEP_2) | instskip(SKIP_2) | instid1(SALU_CYCLE_1)
	v_add_co_ci_u32_e32 v2, vcc_lo, s3, v2, vcc_lo
	global_store_b32 v[1:2], v3, off
	s_or_b32 exec_lo, exec_lo, s5
	s_mov_b32 s5, exec_lo
	v_cmpx_gt_i32_e64 s6, v0
	s_cbranch_execz .LBB72_9
	s_branch .LBB72_8
	.section	.rodata,"a",@progbits
	.p2align	6, 0x0
	.amdhsa_kernel _ZN2at6native29vectorized_elementwise_kernelILi16ENS0_11FillFunctorIN3c107complexINS3_4HalfEEEEESt5arrayIPcLm1EEEEviT0_T1_
		.amdhsa_group_segment_fixed_size 0
		.amdhsa_private_segment_fixed_size 0
		.amdhsa_kernarg_size 16
		.amdhsa_user_sgpr_count 15
		.amdhsa_user_sgpr_dispatch_ptr 0
		.amdhsa_user_sgpr_queue_ptr 0
		.amdhsa_user_sgpr_kernarg_segment_ptr 1
		.amdhsa_user_sgpr_dispatch_id 0
		.amdhsa_user_sgpr_private_segment_size 0
		.amdhsa_wavefront_size32 1
		.amdhsa_uses_dynamic_stack 0
		.amdhsa_enable_private_segment 0
		.amdhsa_system_sgpr_workgroup_id_x 1
		.amdhsa_system_sgpr_workgroup_id_y 0
		.amdhsa_system_sgpr_workgroup_id_z 0
		.amdhsa_system_sgpr_workgroup_info 0
		.amdhsa_system_vgpr_workitem_id 0
		.amdhsa_next_free_vgpr 7
		.amdhsa_next_free_sgpr 16
		.amdhsa_reserve_vcc 1
		.amdhsa_float_round_mode_32 0
		.amdhsa_float_round_mode_16_64 0
		.amdhsa_float_denorm_mode_32 3
		.amdhsa_float_denorm_mode_16_64 3
		.amdhsa_dx10_clamp 1
		.amdhsa_ieee_mode 1
		.amdhsa_fp16_overflow 0
		.amdhsa_workgroup_processor_mode 1
		.amdhsa_memory_ordered 1
		.amdhsa_forward_progress 0
		.amdhsa_shared_vgpr_count 0
		.amdhsa_exception_fp_ieee_invalid_op 0
		.amdhsa_exception_fp_denorm_src 0
		.amdhsa_exception_fp_ieee_div_zero 0
		.amdhsa_exception_fp_ieee_overflow 0
		.amdhsa_exception_fp_ieee_underflow 0
		.amdhsa_exception_fp_ieee_inexact 0
		.amdhsa_exception_int_div_zero 0
	.end_amdhsa_kernel
	.section	.text._ZN2at6native29vectorized_elementwise_kernelILi16ENS0_11FillFunctorIN3c107complexINS3_4HalfEEEEESt5arrayIPcLm1EEEEviT0_T1_,"axG",@progbits,_ZN2at6native29vectorized_elementwise_kernelILi16ENS0_11FillFunctorIN3c107complexINS3_4HalfEEEEESt5arrayIPcLm1EEEEviT0_T1_,comdat
.Lfunc_end72:
	.size	_ZN2at6native29vectorized_elementwise_kernelILi16ENS0_11FillFunctorIN3c107complexINS3_4HalfEEEEESt5arrayIPcLm1EEEEviT0_T1_, .Lfunc_end72-_ZN2at6native29vectorized_elementwise_kernelILi16ENS0_11FillFunctorIN3c107complexINS3_4HalfEEEEESt5arrayIPcLm1EEEEviT0_T1_
                                        ; -- End function
	.section	.AMDGPU.csdata,"",@progbits
; Kernel info:
; codeLenInByte = 512
; NumSgprs: 18
; NumVgprs: 7
; ScratchSize: 0
; MemoryBound: 0
; FloatMode: 240
; IeeeMode: 1
; LDSByteSize: 0 bytes/workgroup (compile time only)
; SGPRBlocks: 2
; VGPRBlocks: 0
; NumSGPRsForWavesPerEU: 18
; NumVGPRsForWavesPerEU: 7
; Occupancy: 16
; WaveLimiterHint : 0
; COMPUTE_PGM_RSRC2:SCRATCH_EN: 0
; COMPUTE_PGM_RSRC2:USER_SGPR: 15
; COMPUTE_PGM_RSRC2:TRAP_HANDLER: 0
; COMPUTE_PGM_RSRC2:TGID_X_EN: 1
; COMPUTE_PGM_RSRC2:TGID_Y_EN: 0
; COMPUTE_PGM_RSRC2:TGID_Z_EN: 0
; COMPUTE_PGM_RSRC2:TIDIG_COMP_CNT: 0
	.section	.text._ZN2at6native29vectorized_elementwise_kernelILi8ENS0_11FillFunctorIN3c107complexINS3_4HalfEEEEESt5arrayIPcLm1EEEEviT0_T1_,"axG",@progbits,_ZN2at6native29vectorized_elementwise_kernelILi8ENS0_11FillFunctorIN3c107complexINS3_4HalfEEEEESt5arrayIPcLm1EEEEviT0_T1_,comdat
	.protected	_ZN2at6native29vectorized_elementwise_kernelILi8ENS0_11FillFunctorIN3c107complexINS3_4HalfEEEEESt5arrayIPcLm1EEEEviT0_T1_ ; -- Begin function _ZN2at6native29vectorized_elementwise_kernelILi8ENS0_11FillFunctorIN3c107complexINS3_4HalfEEEEESt5arrayIPcLm1EEEEviT0_T1_
	.globl	_ZN2at6native29vectorized_elementwise_kernelILi8ENS0_11FillFunctorIN3c107complexINS3_4HalfEEEEESt5arrayIPcLm1EEEEviT0_T1_
	.p2align	8
	.type	_ZN2at6native29vectorized_elementwise_kernelILi8ENS0_11FillFunctorIN3c107complexINS3_4HalfEEEEESt5arrayIPcLm1EEEEviT0_T1_,@function
_ZN2at6native29vectorized_elementwise_kernelILi8ENS0_11FillFunctorIN3c107complexINS3_4HalfEEEEESt5arrayIPcLm1EEEEviT0_T1_: ; @_ZN2at6native29vectorized_elementwise_kernelILi8ENS0_11FillFunctorIN3c107complexINS3_4HalfEEEEESt5arrayIPcLm1EEEEviT0_T1_
; %bb.0:
	s_load_b128 s[0:3], s[0:1], 0x0
	s_lshl_b32 s4, s15, 10
	s_waitcnt lgkmcnt(0)
	s_sub_i32 s6, s0, s4
	s_delay_alu instid0(SALU_CYCLE_1)
	s_cmpk_gt_i32 s6, 0x3ff
	s_cbranch_scc0 .LBB73_4
; %bb.1:
	s_ashr_i32 s5, s4, 31
	v_dual_mov_b32 v3, s1 :: v_dual_lshlrev_b32 v6, 4, v0
	s_lshl_b64 s[8:9], s[4:5], 2
	v_dual_mov_b32 v4, s1 :: v_dual_mov_b32 v5, s1
	s_add_u32 s8, s2, s8
	s_addc_u32 s9, s3, s9
	v_add_co_u32 v1, s0, s8, v6
	s_delay_alu instid0(VALU_DEP_1) | instskip(NEXT) | instid1(VALU_DEP_2)
	v_add_co_ci_u32_e64 v2, null, s9, 0, s0
	v_add_co_u32 v1, vcc_lo, v1, 12
	s_delay_alu instid0(VALU_DEP_2)
	v_add_co_ci_u32_e32 v2, vcc_lo, 0, v2, vcc_lo
	s_mov_b32 s0, -1
	global_store_b96 v6, v[3:5], s[8:9]
	s_cbranch_execz .LBB73_5
; %bb.2:
	s_and_saveexec_b32 s2, s0
	s_cbranch_execz .LBB73_12
.LBB73_3:
	v_mov_b32_e32 v0, s1
	global_store_b32 v[1:2], v0, off
	s_nop 0
	s_sendmsg sendmsg(MSG_DEALLOC_VGPRS)
	s_endpgm
.LBB73_4:
	s_mov_b32 s0, 0
                                        ; implicit-def: $vgpr1_vgpr2
.LBB73_5:
	s_mov_b32 s5, exec_lo
	v_cmpx_gt_i32_e64 s6, v0
	s_cbranch_execz .LBB73_13
; %bb.6:
	v_or_b32_e32 v1, s4, v0
	v_dual_mov_b32 v2, 0 :: v_dual_mov_b32 v3, s1
	v_or_b32_e32 v0, 0x100, v0
	s_delay_alu instid0(VALU_DEP_2) | instskip(NEXT) | instid1(VALU_DEP_1)
	v_lshlrev_b64 v[1:2], 2, v[1:2]
	v_add_co_u32 v1, vcc_lo, s2, v1
	s_delay_alu instid0(VALU_DEP_2) | instskip(SKIP_2) | instid1(SALU_CYCLE_1)
	v_add_co_ci_u32_e32 v2, vcc_lo, s3, v2, vcc_lo
	global_store_b32 v[1:2], v3, off
	s_or_b32 exec_lo, exec_lo, s5
	s_mov_b32 s5, exec_lo
	v_cmpx_gt_i32_e64 s6, v0
	s_cbranch_execnz .LBB73_14
.LBB73_7:
	s_or_b32 exec_lo, exec_lo, s5
	s_delay_alu instid0(SALU_CYCLE_1)
	s_mov_b32 s5, exec_lo
	v_cmpx_gt_i32_e64 s6, v0
	s_cbranch_execz .LBB73_9
.LBB73_8:
	v_dual_mov_b32 v2, 0 :: v_dual_add_nc_u32 v1, s4, v0
	v_dual_mov_b32 v3, s1 :: v_dual_add_nc_u32 v0, 0x100, v0
	s_delay_alu instid0(VALU_DEP_2) | instskip(NEXT) | instid1(VALU_DEP_1)
	v_lshlrev_b64 v[1:2], 2, v[1:2]
	v_add_co_u32 v1, vcc_lo, s2, v1
	s_delay_alu instid0(VALU_DEP_2)
	v_add_co_ci_u32_e32 v2, vcc_lo, s3, v2, vcc_lo
	global_store_b32 v[1:2], v3, off
.LBB73_9:
	s_or_b32 exec_lo, exec_lo, s5
	s_delay_alu instid0(SALU_CYCLE_1)
	s_mov_b32 s5, exec_lo
                                        ; implicit-def: $vgpr1_vgpr2
	v_cmpx_gt_i32_e64 s6, v0
; %bb.10:
	v_dual_mov_b32 v1, 0 :: v_dual_add_nc_u32 v0, s4, v0
	s_or_b32 s0, s0, exec_lo
	s_delay_alu instid0(VALU_DEP_1) | instskip(NEXT) | instid1(VALU_DEP_1)
	v_lshlrev_b64 v[1:2], 2, v[0:1]
	v_add_co_u32 v1, vcc_lo, s2, v1
	s_delay_alu instid0(VALU_DEP_2)
	v_add_co_ci_u32_e32 v2, vcc_lo, s3, v2, vcc_lo
; %bb.11:
	s_or_b32 exec_lo, exec_lo, s5
	s_and_saveexec_b32 s2, s0
	s_cbranch_execnz .LBB73_3
.LBB73_12:
	s_nop 0
	s_sendmsg sendmsg(MSG_DEALLOC_VGPRS)
	s_endpgm
.LBB73_13:
	s_or_b32 exec_lo, exec_lo, s5
	s_delay_alu instid0(SALU_CYCLE_1)
	s_mov_b32 s5, exec_lo
	v_cmpx_gt_i32_e64 s6, v0
	s_cbranch_execz .LBB73_7
.LBB73_14:
	v_dual_mov_b32 v2, 0 :: v_dual_add_nc_u32 v1, s4, v0
	v_dual_mov_b32 v3, s1 :: v_dual_add_nc_u32 v0, 0x100, v0
	s_delay_alu instid0(VALU_DEP_2) | instskip(NEXT) | instid1(VALU_DEP_1)
	v_lshlrev_b64 v[1:2], 2, v[1:2]
	v_add_co_u32 v1, vcc_lo, s2, v1
	s_delay_alu instid0(VALU_DEP_2) | instskip(SKIP_2) | instid1(SALU_CYCLE_1)
	v_add_co_ci_u32_e32 v2, vcc_lo, s3, v2, vcc_lo
	global_store_b32 v[1:2], v3, off
	s_or_b32 exec_lo, exec_lo, s5
	s_mov_b32 s5, exec_lo
	v_cmpx_gt_i32_e64 s6, v0
	s_cbranch_execz .LBB73_9
	s_branch .LBB73_8
	.section	.rodata,"a",@progbits
	.p2align	6, 0x0
	.amdhsa_kernel _ZN2at6native29vectorized_elementwise_kernelILi8ENS0_11FillFunctorIN3c107complexINS3_4HalfEEEEESt5arrayIPcLm1EEEEviT0_T1_
		.amdhsa_group_segment_fixed_size 0
		.amdhsa_private_segment_fixed_size 0
		.amdhsa_kernarg_size 16
		.amdhsa_user_sgpr_count 15
		.amdhsa_user_sgpr_dispatch_ptr 0
		.amdhsa_user_sgpr_queue_ptr 0
		.amdhsa_user_sgpr_kernarg_segment_ptr 1
		.amdhsa_user_sgpr_dispatch_id 0
		.amdhsa_user_sgpr_private_segment_size 0
		.amdhsa_wavefront_size32 1
		.amdhsa_uses_dynamic_stack 0
		.amdhsa_enable_private_segment 0
		.amdhsa_system_sgpr_workgroup_id_x 1
		.amdhsa_system_sgpr_workgroup_id_y 0
		.amdhsa_system_sgpr_workgroup_id_z 0
		.amdhsa_system_sgpr_workgroup_info 0
		.amdhsa_system_vgpr_workitem_id 0
		.amdhsa_next_free_vgpr 7
		.amdhsa_next_free_sgpr 16
		.amdhsa_reserve_vcc 1
		.amdhsa_float_round_mode_32 0
		.amdhsa_float_round_mode_16_64 0
		.amdhsa_float_denorm_mode_32 3
		.amdhsa_float_denorm_mode_16_64 3
		.amdhsa_dx10_clamp 1
		.amdhsa_ieee_mode 1
		.amdhsa_fp16_overflow 0
		.amdhsa_workgroup_processor_mode 1
		.amdhsa_memory_ordered 1
		.amdhsa_forward_progress 0
		.amdhsa_shared_vgpr_count 0
		.amdhsa_exception_fp_ieee_invalid_op 0
		.amdhsa_exception_fp_denorm_src 0
		.amdhsa_exception_fp_ieee_div_zero 0
		.amdhsa_exception_fp_ieee_overflow 0
		.amdhsa_exception_fp_ieee_underflow 0
		.amdhsa_exception_fp_ieee_inexact 0
		.amdhsa_exception_int_div_zero 0
	.end_amdhsa_kernel
	.section	.text._ZN2at6native29vectorized_elementwise_kernelILi8ENS0_11FillFunctorIN3c107complexINS3_4HalfEEEEESt5arrayIPcLm1EEEEviT0_T1_,"axG",@progbits,_ZN2at6native29vectorized_elementwise_kernelILi8ENS0_11FillFunctorIN3c107complexINS3_4HalfEEEEESt5arrayIPcLm1EEEEviT0_T1_,comdat
.Lfunc_end73:
	.size	_ZN2at6native29vectorized_elementwise_kernelILi8ENS0_11FillFunctorIN3c107complexINS3_4HalfEEEEESt5arrayIPcLm1EEEEviT0_T1_, .Lfunc_end73-_ZN2at6native29vectorized_elementwise_kernelILi8ENS0_11FillFunctorIN3c107complexINS3_4HalfEEEEESt5arrayIPcLm1EEEEviT0_T1_
                                        ; -- End function
	.section	.AMDGPU.csdata,"",@progbits
; Kernel info:
; codeLenInByte = 512
; NumSgprs: 18
; NumVgprs: 7
; ScratchSize: 0
; MemoryBound: 0
; FloatMode: 240
; IeeeMode: 1
; LDSByteSize: 0 bytes/workgroup (compile time only)
; SGPRBlocks: 2
; VGPRBlocks: 0
; NumSGPRsForWavesPerEU: 18
; NumVGPRsForWavesPerEU: 7
; Occupancy: 16
; WaveLimiterHint : 0
; COMPUTE_PGM_RSRC2:SCRATCH_EN: 0
; COMPUTE_PGM_RSRC2:USER_SGPR: 15
; COMPUTE_PGM_RSRC2:TRAP_HANDLER: 0
; COMPUTE_PGM_RSRC2:TGID_X_EN: 1
; COMPUTE_PGM_RSRC2:TGID_Y_EN: 0
; COMPUTE_PGM_RSRC2:TGID_Z_EN: 0
; COMPUTE_PGM_RSRC2:TIDIG_COMP_CNT: 0
	.section	.text._ZN2at6native29vectorized_elementwise_kernelILi4ENS0_11FillFunctorIN3c107complexINS3_4HalfEEEEESt5arrayIPcLm1EEEEviT0_T1_,"axG",@progbits,_ZN2at6native29vectorized_elementwise_kernelILi4ENS0_11FillFunctorIN3c107complexINS3_4HalfEEEEESt5arrayIPcLm1EEEEviT0_T1_,comdat
	.protected	_ZN2at6native29vectorized_elementwise_kernelILi4ENS0_11FillFunctorIN3c107complexINS3_4HalfEEEEESt5arrayIPcLm1EEEEviT0_T1_ ; -- Begin function _ZN2at6native29vectorized_elementwise_kernelILi4ENS0_11FillFunctorIN3c107complexINS3_4HalfEEEEESt5arrayIPcLm1EEEEviT0_T1_
	.globl	_ZN2at6native29vectorized_elementwise_kernelILi4ENS0_11FillFunctorIN3c107complexINS3_4HalfEEEEESt5arrayIPcLm1EEEEviT0_T1_
	.p2align	8
	.type	_ZN2at6native29vectorized_elementwise_kernelILi4ENS0_11FillFunctorIN3c107complexINS3_4HalfEEEEESt5arrayIPcLm1EEEEviT0_T1_,@function
_ZN2at6native29vectorized_elementwise_kernelILi4ENS0_11FillFunctorIN3c107complexINS3_4HalfEEEEESt5arrayIPcLm1EEEEviT0_T1_: ; @_ZN2at6native29vectorized_elementwise_kernelILi4ENS0_11FillFunctorIN3c107complexINS3_4HalfEEEEESt5arrayIPcLm1EEEEviT0_T1_
; %bb.0:
	s_load_b128 s[0:3], s[0:1], 0x0
	s_lshl_b32 s4, s15, 10
	s_waitcnt lgkmcnt(0)
	s_sub_i32 s6, s0, s4
	s_delay_alu instid0(SALU_CYCLE_1)
	s_cmpk_gt_i32 s6, 0x3ff
	s_cbranch_scc0 .LBB74_4
; %bb.1:
	s_ashr_i32 s5, s4, 31
	v_dual_mov_b32 v3, s1 :: v_dual_lshlrev_b32 v6, 4, v0
	s_lshl_b64 s[8:9], s[4:5], 2
	v_dual_mov_b32 v4, s1 :: v_dual_mov_b32 v5, s1
	s_add_u32 s8, s2, s8
	s_addc_u32 s9, s3, s9
	v_add_co_u32 v1, s0, s8, v6
	s_delay_alu instid0(VALU_DEP_1) | instskip(NEXT) | instid1(VALU_DEP_2)
	v_add_co_ci_u32_e64 v2, null, s9, 0, s0
	v_add_co_u32 v1, vcc_lo, v1, 12
	s_delay_alu instid0(VALU_DEP_2)
	v_add_co_ci_u32_e32 v2, vcc_lo, 0, v2, vcc_lo
	s_mov_b32 s0, -1
	global_store_b96 v6, v[3:5], s[8:9]
	s_cbranch_execz .LBB74_5
; %bb.2:
	s_and_saveexec_b32 s2, s0
	s_cbranch_execz .LBB74_12
.LBB74_3:
	v_mov_b32_e32 v0, s1
	global_store_b32 v[1:2], v0, off
	s_nop 0
	s_sendmsg sendmsg(MSG_DEALLOC_VGPRS)
	s_endpgm
.LBB74_4:
	s_mov_b32 s0, 0
                                        ; implicit-def: $vgpr1_vgpr2
.LBB74_5:
	s_mov_b32 s5, exec_lo
	v_cmpx_gt_i32_e64 s6, v0
	s_cbranch_execz .LBB74_13
; %bb.6:
	v_or_b32_e32 v1, s4, v0
	v_dual_mov_b32 v2, 0 :: v_dual_mov_b32 v3, s1
	v_or_b32_e32 v0, 0x100, v0
	s_delay_alu instid0(VALU_DEP_2) | instskip(NEXT) | instid1(VALU_DEP_1)
	v_lshlrev_b64 v[1:2], 2, v[1:2]
	v_add_co_u32 v1, vcc_lo, s2, v1
	s_delay_alu instid0(VALU_DEP_2) | instskip(SKIP_2) | instid1(SALU_CYCLE_1)
	v_add_co_ci_u32_e32 v2, vcc_lo, s3, v2, vcc_lo
	global_store_b32 v[1:2], v3, off
	s_or_b32 exec_lo, exec_lo, s5
	s_mov_b32 s5, exec_lo
	v_cmpx_gt_i32_e64 s6, v0
	s_cbranch_execnz .LBB74_14
.LBB74_7:
	s_or_b32 exec_lo, exec_lo, s5
	s_delay_alu instid0(SALU_CYCLE_1)
	s_mov_b32 s5, exec_lo
	v_cmpx_gt_i32_e64 s6, v0
	s_cbranch_execz .LBB74_9
.LBB74_8:
	v_dual_mov_b32 v2, 0 :: v_dual_add_nc_u32 v1, s4, v0
	v_dual_mov_b32 v3, s1 :: v_dual_add_nc_u32 v0, 0x100, v0
	s_delay_alu instid0(VALU_DEP_2) | instskip(NEXT) | instid1(VALU_DEP_1)
	v_lshlrev_b64 v[1:2], 2, v[1:2]
	v_add_co_u32 v1, vcc_lo, s2, v1
	s_delay_alu instid0(VALU_DEP_2)
	v_add_co_ci_u32_e32 v2, vcc_lo, s3, v2, vcc_lo
	global_store_b32 v[1:2], v3, off
.LBB74_9:
	s_or_b32 exec_lo, exec_lo, s5
	s_delay_alu instid0(SALU_CYCLE_1)
	s_mov_b32 s5, exec_lo
                                        ; implicit-def: $vgpr1_vgpr2
	v_cmpx_gt_i32_e64 s6, v0
; %bb.10:
	v_dual_mov_b32 v1, 0 :: v_dual_add_nc_u32 v0, s4, v0
	s_or_b32 s0, s0, exec_lo
	s_delay_alu instid0(VALU_DEP_1) | instskip(NEXT) | instid1(VALU_DEP_1)
	v_lshlrev_b64 v[1:2], 2, v[0:1]
	v_add_co_u32 v1, vcc_lo, s2, v1
	s_delay_alu instid0(VALU_DEP_2)
	v_add_co_ci_u32_e32 v2, vcc_lo, s3, v2, vcc_lo
; %bb.11:
	s_or_b32 exec_lo, exec_lo, s5
	s_and_saveexec_b32 s2, s0
	s_cbranch_execnz .LBB74_3
.LBB74_12:
	s_nop 0
	s_sendmsg sendmsg(MSG_DEALLOC_VGPRS)
	s_endpgm
.LBB74_13:
	s_or_b32 exec_lo, exec_lo, s5
	s_delay_alu instid0(SALU_CYCLE_1)
	s_mov_b32 s5, exec_lo
	v_cmpx_gt_i32_e64 s6, v0
	s_cbranch_execz .LBB74_7
.LBB74_14:
	v_dual_mov_b32 v2, 0 :: v_dual_add_nc_u32 v1, s4, v0
	v_dual_mov_b32 v3, s1 :: v_dual_add_nc_u32 v0, 0x100, v0
	s_delay_alu instid0(VALU_DEP_2) | instskip(NEXT) | instid1(VALU_DEP_1)
	v_lshlrev_b64 v[1:2], 2, v[1:2]
	v_add_co_u32 v1, vcc_lo, s2, v1
	s_delay_alu instid0(VALU_DEP_2) | instskip(SKIP_2) | instid1(SALU_CYCLE_1)
	v_add_co_ci_u32_e32 v2, vcc_lo, s3, v2, vcc_lo
	global_store_b32 v[1:2], v3, off
	s_or_b32 exec_lo, exec_lo, s5
	s_mov_b32 s5, exec_lo
	v_cmpx_gt_i32_e64 s6, v0
	s_cbranch_execz .LBB74_9
	s_branch .LBB74_8
	.section	.rodata,"a",@progbits
	.p2align	6, 0x0
	.amdhsa_kernel _ZN2at6native29vectorized_elementwise_kernelILi4ENS0_11FillFunctorIN3c107complexINS3_4HalfEEEEESt5arrayIPcLm1EEEEviT0_T1_
		.amdhsa_group_segment_fixed_size 0
		.amdhsa_private_segment_fixed_size 0
		.amdhsa_kernarg_size 16
		.amdhsa_user_sgpr_count 15
		.amdhsa_user_sgpr_dispatch_ptr 0
		.amdhsa_user_sgpr_queue_ptr 0
		.amdhsa_user_sgpr_kernarg_segment_ptr 1
		.amdhsa_user_sgpr_dispatch_id 0
		.amdhsa_user_sgpr_private_segment_size 0
		.amdhsa_wavefront_size32 1
		.amdhsa_uses_dynamic_stack 0
		.amdhsa_enable_private_segment 0
		.amdhsa_system_sgpr_workgroup_id_x 1
		.amdhsa_system_sgpr_workgroup_id_y 0
		.amdhsa_system_sgpr_workgroup_id_z 0
		.amdhsa_system_sgpr_workgroup_info 0
		.amdhsa_system_vgpr_workitem_id 0
		.amdhsa_next_free_vgpr 7
		.amdhsa_next_free_sgpr 16
		.amdhsa_reserve_vcc 1
		.amdhsa_float_round_mode_32 0
		.amdhsa_float_round_mode_16_64 0
		.amdhsa_float_denorm_mode_32 3
		.amdhsa_float_denorm_mode_16_64 3
		.amdhsa_dx10_clamp 1
		.amdhsa_ieee_mode 1
		.amdhsa_fp16_overflow 0
		.amdhsa_workgroup_processor_mode 1
		.amdhsa_memory_ordered 1
		.amdhsa_forward_progress 0
		.amdhsa_shared_vgpr_count 0
		.amdhsa_exception_fp_ieee_invalid_op 0
		.amdhsa_exception_fp_denorm_src 0
		.amdhsa_exception_fp_ieee_div_zero 0
		.amdhsa_exception_fp_ieee_overflow 0
		.amdhsa_exception_fp_ieee_underflow 0
		.amdhsa_exception_fp_ieee_inexact 0
		.amdhsa_exception_int_div_zero 0
	.end_amdhsa_kernel
	.section	.text._ZN2at6native29vectorized_elementwise_kernelILi4ENS0_11FillFunctorIN3c107complexINS3_4HalfEEEEESt5arrayIPcLm1EEEEviT0_T1_,"axG",@progbits,_ZN2at6native29vectorized_elementwise_kernelILi4ENS0_11FillFunctorIN3c107complexINS3_4HalfEEEEESt5arrayIPcLm1EEEEviT0_T1_,comdat
.Lfunc_end74:
	.size	_ZN2at6native29vectorized_elementwise_kernelILi4ENS0_11FillFunctorIN3c107complexINS3_4HalfEEEEESt5arrayIPcLm1EEEEviT0_T1_, .Lfunc_end74-_ZN2at6native29vectorized_elementwise_kernelILi4ENS0_11FillFunctorIN3c107complexINS3_4HalfEEEEESt5arrayIPcLm1EEEEviT0_T1_
                                        ; -- End function
	.section	.AMDGPU.csdata,"",@progbits
; Kernel info:
; codeLenInByte = 512
; NumSgprs: 18
; NumVgprs: 7
; ScratchSize: 0
; MemoryBound: 0
; FloatMode: 240
; IeeeMode: 1
; LDSByteSize: 0 bytes/workgroup (compile time only)
; SGPRBlocks: 2
; VGPRBlocks: 0
; NumSGPRsForWavesPerEU: 18
; NumVGPRsForWavesPerEU: 7
; Occupancy: 16
; WaveLimiterHint : 0
; COMPUTE_PGM_RSRC2:SCRATCH_EN: 0
; COMPUTE_PGM_RSRC2:USER_SGPR: 15
; COMPUTE_PGM_RSRC2:TRAP_HANDLER: 0
; COMPUTE_PGM_RSRC2:TGID_X_EN: 1
; COMPUTE_PGM_RSRC2:TGID_Y_EN: 0
; COMPUTE_PGM_RSRC2:TGID_Z_EN: 0
; COMPUTE_PGM_RSRC2:TIDIG_COMP_CNT: 0
	.section	.text._ZN2at6native29vectorized_elementwise_kernelILi2ENS0_11FillFunctorIN3c107complexINS3_4HalfEEEEESt5arrayIPcLm1EEEEviT0_T1_,"axG",@progbits,_ZN2at6native29vectorized_elementwise_kernelILi2ENS0_11FillFunctorIN3c107complexINS3_4HalfEEEEESt5arrayIPcLm1EEEEviT0_T1_,comdat
	.protected	_ZN2at6native29vectorized_elementwise_kernelILi2ENS0_11FillFunctorIN3c107complexINS3_4HalfEEEEESt5arrayIPcLm1EEEEviT0_T1_ ; -- Begin function _ZN2at6native29vectorized_elementwise_kernelILi2ENS0_11FillFunctorIN3c107complexINS3_4HalfEEEEESt5arrayIPcLm1EEEEviT0_T1_
	.globl	_ZN2at6native29vectorized_elementwise_kernelILi2ENS0_11FillFunctorIN3c107complexINS3_4HalfEEEEESt5arrayIPcLm1EEEEviT0_T1_
	.p2align	8
	.type	_ZN2at6native29vectorized_elementwise_kernelILi2ENS0_11FillFunctorIN3c107complexINS3_4HalfEEEEESt5arrayIPcLm1EEEEviT0_T1_,@function
_ZN2at6native29vectorized_elementwise_kernelILi2ENS0_11FillFunctorIN3c107complexINS3_4HalfEEEEESt5arrayIPcLm1EEEEviT0_T1_: ; @_ZN2at6native29vectorized_elementwise_kernelILi2ENS0_11FillFunctorIN3c107complexINS3_4HalfEEEEESt5arrayIPcLm1EEEEviT0_T1_
; %bb.0:
	s_load_b128 s[0:3], s[0:1], 0x0
	s_lshl_b32 s4, s15, 10
	s_waitcnt lgkmcnt(0)
	s_sub_i32 s6, s0, s4
	s_mov_b32 s0, -1
	s_cmpk_gt_i32 s6, 0x3ff
	s_cbranch_scc0 .LBB75_2
; %bb.1:
	s_ashr_i32 s5, s4, 31
	s_mov_b32 s0, s1
	v_dual_mov_b32 v2, s1 :: v_dual_lshlrev_b32 v3, 3, v0
	s_lshl_b64 s[8:9], s[4:5], 2
	v_mov_b32_e32 v1, s0
	s_add_u32 s8, s2, s8
	s_addc_u32 s9, s3, s9
	s_mov_b32 s0, 0
	s_clause 0x1
	global_store_b64 v3, v[1:2], s[8:9]
	global_store_b64 v3, v[1:2], s[8:9] offset:2048
.LBB75_2:
	s_and_not1_b32 vcc_lo, exec_lo, s0
	s_cbranch_vccnz .LBB75_8
; %bb.3:
	s_mov_b32 s0, exec_lo
	v_cmpx_gt_i32_e64 s6, v0
	s_cbranch_execnz .LBB75_9
; %bb.4:
	s_or_b32 exec_lo, exec_lo, s0
	s_delay_alu instid0(SALU_CYCLE_1)
	s_mov_b32 s0, exec_lo
	v_cmpx_gt_i32_e64 s6, v0
	s_cbranch_execnz .LBB75_10
.LBB75_5:
	s_or_b32 exec_lo, exec_lo, s0
	s_delay_alu instid0(SALU_CYCLE_1)
	s_mov_b32 s0, exec_lo
	v_cmpx_gt_i32_e64 s6, v0
	s_cbranch_execnz .LBB75_11
.LBB75_6:
	s_or_b32 exec_lo, exec_lo, s0
	s_delay_alu instid0(SALU_CYCLE_1)
	s_mov_b32 s0, exec_lo
	v_cmpx_gt_i32_e64 s6, v0
	s_cbranch_execz .LBB75_8
.LBB75_7:
	v_dual_mov_b32 v1, 0 :: v_dual_add_nc_u32 v0, s4, v0
	v_mov_b32_e32 v2, s1
	s_delay_alu instid0(VALU_DEP_2) | instskip(NEXT) | instid1(VALU_DEP_1)
	v_lshlrev_b64 v[0:1], 2, v[0:1]
	v_add_co_u32 v0, vcc_lo, s2, v0
	s_delay_alu instid0(VALU_DEP_2)
	v_add_co_ci_u32_e32 v1, vcc_lo, s3, v1, vcc_lo
	global_store_b32 v[0:1], v2, off
.LBB75_8:
	s_nop 0
	s_sendmsg sendmsg(MSG_DEALLOC_VGPRS)
	s_endpgm
.LBB75_9:
	v_or_b32_e32 v1, s4, v0
	v_dual_mov_b32 v2, 0 :: v_dual_mov_b32 v3, s1
	v_or_b32_e32 v0, 0x100, v0
	s_delay_alu instid0(VALU_DEP_2) | instskip(NEXT) | instid1(VALU_DEP_1)
	v_lshlrev_b64 v[1:2], 2, v[1:2]
	v_add_co_u32 v1, vcc_lo, s2, v1
	s_delay_alu instid0(VALU_DEP_2) | instskip(SKIP_2) | instid1(SALU_CYCLE_1)
	v_add_co_ci_u32_e32 v2, vcc_lo, s3, v2, vcc_lo
	global_store_b32 v[1:2], v3, off
	s_or_b32 exec_lo, exec_lo, s0
	s_mov_b32 s0, exec_lo
	v_cmpx_gt_i32_e64 s6, v0
	s_cbranch_execz .LBB75_5
.LBB75_10:
	v_dual_mov_b32 v2, 0 :: v_dual_add_nc_u32 v1, s4, v0
	v_dual_mov_b32 v3, s1 :: v_dual_add_nc_u32 v0, 0x100, v0
	s_delay_alu instid0(VALU_DEP_2) | instskip(NEXT) | instid1(VALU_DEP_1)
	v_lshlrev_b64 v[1:2], 2, v[1:2]
	v_add_co_u32 v1, vcc_lo, s2, v1
	s_delay_alu instid0(VALU_DEP_2) | instskip(SKIP_2) | instid1(SALU_CYCLE_1)
	v_add_co_ci_u32_e32 v2, vcc_lo, s3, v2, vcc_lo
	global_store_b32 v[1:2], v3, off
	s_or_b32 exec_lo, exec_lo, s0
	s_mov_b32 s0, exec_lo
	v_cmpx_gt_i32_e64 s6, v0
	s_cbranch_execz .LBB75_6
.LBB75_11:
	v_dual_mov_b32 v2, 0 :: v_dual_add_nc_u32 v1, s4, v0
	v_dual_mov_b32 v3, s1 :: v_dual_add_nc_u32 v0, 0x100, v0
	s_delay_alu instid0(VALU_DEP_2) | instskip(NEXT) | instid1(VALU_DEP_1)
	v_lshlrev_b64 v[1:2], 2, v[1:2]
	v_add_co_u32 v1, vcc_lo, s2, v1
	s_delay_alu instid0(VALU_DEP_2) | instskip(SKIP_2) | instid1(SALU_CYCLE_1)
	v_add_co_ci_u32_e32 v2, vcc_lo, s3, v2, vcc_lo
	global_store_b32 v[1:2], v3, off
	s_or_b32 exec_lo, exec_lo, s0
	s_mov_b32 s0, exec_lo
	v_cmpx_gt_i32_e64 s6, v0
	s_cbranch_execnz .LBB75_7
	s_branch .LBB75_8
	.section	.rodata,"a",@progbits
	.p2align	6, 0x0
	.amdhsa_kernel _ZN2at6native29vectorized_elementwise_kernelILi2ENS0_11FillFunctorIN3c107complexINS3_4HalfEEEEESt5arrayIPcLm1EEEEviT0_T1_
		.amdhsa_group_segment_fixed_size 0
		.amdhsa_private_segment_fixed_size 0
		.amdhsa_kernarg_size 16
		.amdhsa_user_sgpr_count 15
		.amdhsa_user_sgpr_dispatch_ptr 0
		.amdhsa_user_sgpr_queue_ptr 0
		.amdhsa_user_sgpr_kernarg_segment_ptr 1
		.amdhsa_user_sgpr_dispatch_id 0
		.amdhsa_user_sgpr_private_segment_size 0
		.amdhsa_wavefront_size32 1
		.amdhsa_uses_dynamic_stack 0
		.amdhsa_enable_private_segment 0
		.amdhsa_system_sgpr_workgroup_id_x 1
		.amdhsa_system_sgpr_workgroup_id_y 0
		.amdhsa_system_sgpr_workgroup_id_z 0
		.amdhsa_system_sgpr_workgroup_info 0
		.amdhsa_system_vgpr_workitem_id 0
		.amdhsa_next_free_vgpr 4
		.amdhsa_next_free_sgpr 16
		.amdhsa_reserve_vcc 1
		.amdhsa_float_round_mode_32 0
		.amdhsa_float_round_mode_16_64 0
		.amdhsa_float_denorm_mode_32 3
		.amdhsa_float_denorm_mode_16_64 3
		.amdhsa_dx10_clamp 1
		.amdhsa_ieee_mode 1
		.amdhsa_fp16_overflow 0
		.amdhsa_workgroup_processor_mode 1
		.amdhsa_memory_ordered 1
		.amdhsa_forward_progress 0
		.amdhsa_shared_vgpr_count 0
		.amdhsa_exception_fp_ieee_invalid_op 0
		.amdhsa_exception_fp_denorm_src 0
		.amdhsa_exception_fp_ieee_div_zero 0
		.amdhsa_exception_fp_ieee_overflow 0
		.amdhsa_exception_fp_ieee_underflow 0
		.amdhsa_exception_fp_ieee_inexact 0
		.amdhsa_exception_int_div_zero 0
	.end_amdhsa_kernel
	.section	.text._ZN2at6native29vectorized_elementwise_kernelILi2ENS0_11FillFunctorIN3c107complexINS3_4HalfEEEEESt5arrayIPcLm1EEEEviT0_T1_,"axG",@progbits,_ZN2at6native29vectorized_elementwise_kernelILi2ENS0_11FillFunctorIN3c107complexINS3_4HalfEEEEESt5arrayIPcLm1EEEEviT0_T1_,comdat
.Lfunc_end75:
	.size	_ZN2at6native29vectorized_elementwise_kernelILi2ENS0_11FillFunctorIN3c107complexINS3_4HalfEEEEESt5arrayIPcLm1EEEEviT0_T1_, .Lfunc_end75-_ZN2at6native29vectorized_elementwise_kernelILi2ENS0_11FillFunctorIN3c107complexINS3_4HalfEEEEESt5arrayIPcLm1EEEEviT0_T1_
                                        ; -- End function
	.section	.AMDGPU.csdata,"",@progbits
; Kernel info:
; codeLenInByte = 476
; NumSgprs: 18
; NumVgprs: 4
; ScratchSize: 0
; MemoryBound: 0
; FloatMode: 240
; IeeeMode: 1
; LDSByteSize: 0 bytes/workgroup (compile time only)
; SGPRBlocks: 2
; VGPRBlocks: 0
; NumSGPRsForWavesPerEU: 18
; NumVGPRsForWavesPerEU: 4
; Occupancy: 16
; WaveLimiterHint : 1
; COMPUTE_PGM_RSRC2:SCRATCH_EN: 0
; COMPUTE_PGM_RSRC2:USER_SGPR: 15
; COMPUTE_PGM_RSRC2:TRAP_HANDLER: 0
; COMPUTE_PGM_RSRC2:TGID_X_EN: 1
; COMPUTE_PGM_RSRC2:TGID_Y_EN: 0
; COMPUTE_PGM_RSRC2:TGID_Z_EN: 0
; COMPUTE_PGM_RSRC2:TIDIG_COMP_CNT: 0
	.section	.text._ZN2at6native27unrolled_elementwise_kernelINS0_11FillFunctorIN3c107complexINS3_4HalfEEEEESt5arrayIPcLm1EELi4E23TrivialOffsetCalculatorILi0EjESB_ILi1EjENS0_6memory15LoadWithoutCastENSE_16StoreWithoutCastEEEviT_T0_T2_T3_T4_T5_,"axG",@progbits,_ZN2at6native27unrolled_elementwise_kernelINS0_11FillFunctorIN3c107complexINS3_4HalfEEEEESt5arrayIPcLm1EELi4E23TrivialOffsetCalculatorILi0EjESB_ILi1EjENS0_6memory15LoadWithoutCastENSE_16StoreWithoutCastEEEviT_T0_T2_T3_T4_T5_,comdat
	.protected	_ZN2at6native27unrolled_elementwise_kernelINS0_11FillFunctorIN3c107complexINS3_4HalfEEEEESt5arrayIPcLm1EELi4E23TrivialOffsetCalculatorILi0EjESB_ILi1EjENS0_6memory15LoadWithoutCastENSE_16StoreWithoutCastEEEviT_T0_T2_T3_T4_T5_ ; -- Begin function _ZN2at6native27unrolled_elementwise_kernelINS0_11FillFunctorIN3c107complexINS3_4HalfEEEEESt5arrayIPcLm1EELi4E23TrivialOffsetCalculatorILi0EjESB_ILi1EjENS0_6memory15LoadWithoutCastENSE_16StoreWithoutCastEEEviT_T0_T2_T3_T4_T5_
	.globl	_ZN2at6native27unrolled_elementwise_kernelINS0_11FillFunctorIN3c107complexINS3_4HalfEEEEESt5arrayIPcLm1EELi4E23TrivialOffsetCalculatorILi0EjESB_ILi1EjENS0_6memory15LoadWithoutCastENSE_16StoreWithoutCastEEEviT_T0_T2_T3_T4_T5_
	.p2align	8
	.type	_ZN2at6native27unrolled_elementwise_kernelINS0_11FillFunctorIN3c107complexINS3_4HalfEEEEESt5arrayIPcLm1EELi4E23TrivialOffsetCalculatorILi0EjESB_ILi1EjENS0_6memory15LoadWithoutCastENSE_16StoreWithoutCastEEEviT_T0_T2_T3_T4_T5_,@function
_ZN2at6native27unrolled_elementwise_kernelINS0_11FillFunctorIN3c107complexINS3_4HalfEEEEESt5arrayIPcLm1EELi4E23TrivialOffsetCalculatorILi0EjESB_ILi1EjENS0_6memory15LoadWithoutCastENSE_16StoreWithoutCastEEEviT_T0_T2_T3_T4_T5_: ; @_ZN2at6native27unrolled_elementwise_kernelINS0_11FillFunctorIN3c107complexINS3_4HalfEEEEESt5arrayIPcLm1EELi4E23TrivialOffsetCalculatorILi0EjESB_ILi1EjENS0_6memory15LoadWithoutCastENSE_16StoreWithoutCastEEEviT_T0_T2_T3_T4_T5_
; %bb.0:
	s_load_b128 s[0:3], s[0:1], 0x0
	s_lshl_b32 s4, s15, 10
	s_mov_b32 s5, exec_lo
	s_waitcnt lgkmcnt(0)
	s_sub_i32 s0, s0, s4
	s_delay_alu instid0(SALU_CYCLE_1)
	v_cmpx_gt_i32_e64 s0, v0
	s_cbranch_execnz .LBB76_5
; %bb.1:
	s_or_b32 exec_lo, exec_lo, s5
	s_delay_alu instid0(SALU_CYCLE_1)
	s_mov_b32 s5, exec_lo
	v_cmpx_gt_i32_e64 s0, v0
	s_cbranch_execnz .LBB76_6
.LBB76_2:
	s_or_b32 exec_lo, exec_lo, s5
	s_delay_alu instid0(SALU_CYCLE_1)
	s_mov_b32 s5, exec_lo
	v_cmpx_gt_i32_e64 s0, v0
	s_cbranch_execnz .LBB76_7
.LBB76_3:
	s_or_b32 exec_lo, exec_lo, s5
	v_cmp_gt_i32_e32 vcc_lo, s0, v0
	s_and_saveexec_b32 s0, vcc_lo
	s_cbranch_execnz .LBB76_8
.LBB76_4:
	s_nop 0
	s_sendmsg sendmsg(MSG_DEALLOC_VGPRS)
	s_endpgm
.LBB76_5:
	v_or_b32_e32 v1, s4, v0
	v_dual_mov_b32 v2, 0 :: v_dual_mov_b32 v3, s1
	v_or_b32_e32 v0, 0x100, v0
	s_delay_alu instid0(VALU_DEP_2) | instskip(NEXT) | instid1(VALU_DEP_1)
	v_lshlrev_b64 v[1:2], 2, v[1:2]
	v_add_co_u32 v1, vcc_lo, s2, v1
	s_delay_alu instid0(VALU_DEP_2) | instskip(SKIP_2) | instid1(SALU_CYCLE_1)
	v_add_co_ci_u32_e32 v2, vcc_lo, s3, v2, vcc_lo
	global_store_b32 v[1:2], v3, off
	s_or_b32 exec_lo, exec_lo, s5
	s_mov_b32 s5, exec_lo
	v_cmpx_gt_i32_e64 s0, v0
	s_cbranch_execz .LBB76_2
.LBB76_6:
	v_dual_mov_b32 v2, 0 :: v_dual_add_nc_u32 v1, s4, v0
	v_dual_mov_b32 v3, s1 :: v_dual_add_nc_u32 v0, 0x100, v0
	s_delay_alu instid0(VALU_DEP_2) | instskip(NEXT) | instid1(VALU_DEP_1)
	v_lshlrev_b64 v[1:2], 2, v[1:2]
	v_add_co_u32 v1, vcc_lo, s2, v1
	s_delay_alu instid0(VALU_DEP_2) | instskip(SKIP_2) | instid1(SALU_CYCLE_1)
	v_add_co_ci_u32_e32 v2, vcc_lo, s3, v2, vcc_lo
	global_store_b32 v[1:2], v3, off
	s_or_b32 exec_lo, exec_lo, s5
	s_mov_b32 s5, exec_lo
	v_cmpx_gt_i32_e64 s0, v0
	s_cbranch_execz .LBB76_3
.LBB76_7:
	v_dual_mov_b32 v2, 0 :: v_dual_add_nc_u32 v1, s4, v0
	v_dual_mov_b32 v3, s1 :: v_dual_add_nc_u32 v0, 0x100, v0
	s_delay_alu instid0(VALU_DEP_2) | instskip(NEXT) | instid1(VALU_DEP_1)
	v_lshlrev_b64 v[1:2], 2, v[1:2]
	v_add_co_u32 v1, vcc_lo, s2, v1
	s_delay_alu instid0(VALU_DEP_2)
	v_add_co_ci_u32_e32 v2, vcc_lo, s3, v2, vcc_lo
	global_store_b32 v[1:2], v3, off
	s_or_b32 exec_lo, exec_lo, s5
	v_cmp_gt_i32_e32 vcc_lo, s0, v0
	s_and_saveexec_b32 s0, vcc_lo
	s_cbranch_execz .LBB76_4
.LBB76_8:
	v_dual_mov_b32 v1, 0 :: v_dual_add_nc_u32 v0, s4, v0
	v_mov_b32_e32 v2, s1
	s_delay_alu instid0(VALU_DEP_2) | instskip(NEXT) | instid1(VALU_DEP_1)
	v_lshlrev_b64 v[0:1], 2, v[0:1]
	v_add_co_u32 v0, vcc_lo, s2, v0
	s_delay_alu instid0(VALU_DEP_2)
	v_add_co_ci_u32_e32 v1, vcc_lo, s3, v1, vcc_lo
	global_store_b32 v[0:1], v2, off
	s_nop 0
	s_sendmsg sendmsg(MSG_DEALLOC_VGPRS)
	s_endpgm
	.section	.rodata,"a",@progbits
	.p2align	6, 0x0
	.amdhsa_kernel _ZN2at6native27unrolled_elementwise_kernelINS0_11FillFunctorIN3c107complexINS3_4HalfEEEEESt5arrayIPcLm1EELi4E23TrivialOffsetCalculatorILi0EjESB_ILi1EjENS0_6memory15LoadWithoutCastENSE_16StoreWithoutCastEEEviT_T0_T2_T3_T4_T5_
		.amdhsa_group_segment_fixed_size 0
		.amdhsa_private_segment_fixed_size 0
		.amdhsa_kernarg_size 20
		.amdhsa_user_sgpr_count 15
		.amdhsa_user_sgpr_dispatch_ptr 0
		.amdhsa_user_sgpr_queue_ptr 0
		.amdhsa_user_sgpr_kernarg_segment_ptr 1
		.amdhsa_user_sgpr_dispatch_id 0
		.amdhsa_user_sgpr_private_segment_size 0
		.amdhsa_wavefront_size32 1
		.amdhsa_uses_dynamic_stack 0
		.amdhsa_enable_private_segment 0
		.amdhsa_system_sgpr_workgroup_id_x 1
		.amdhsa_system_sgpr_workgroup_id_y 0
		.amdhsa_system_sgpr_workgroup_id_z 0
		.amdhsa_system_sgpr_workgroup_info 0
		.amdhsa_system_vgpr_workitem_id 0
		.amdhsa_next_free_vgpr 4
		.amdhsa_next_free_sgpr 16
		.amdhsa_reserve_vcc 1
		.amdhsa_float_round_mode_32 0
		.amdhsa_float_round_mode_16_64 0
		.amdhsa_float_denorm_mode_32 3
		.amdhsa_float_denorm_mode_16_64 3
		.amdhsa_dx10_clamp 1
		.amdhsa_ieee_mode 1
		.amdhsa_fp16_overflow 0
		.amdhsa_workgroup_processor_mode 1
		.amdhsa_memory_ordered 1
		.amdhsa_forward_progress 0
		.amdhsa_shared_vgpr_count 0
		.amdhsa_exception_fp_ieee_invalid_op 0
		.amdhsa_exception_fp_denorm_src 0
		.amdhsa_exception_fp_ieee_div_zero 0
		.amdhsa_exception_fp_ieee_overflow 0
		.amdhsa_exception_fp_ieee_underflow 0
		.amdhsa_exception_fp_ieee_inexact 0
		.amdhsa_exception_int_div_zero 0
	.end_amdhsa_kernel
	.section	.text._ZN2at6native27unrolled_elementwise_kernelINS0_11FillFunctorIN3c107complexINS3_4HalfEEEEESt5arrayIPcLm1EELi4E23TrivialOffsetCalculatorILi0EjESB_ILi1EjENS0_6memory15LoadWithoutCastENSE_16StoreWithoutCastEEEviT_T0_T2_T3_T4_T5_,"axG",@progbits,_ZN2at6native27unrolled_elementwise_kernelINS0_11FillFunctorIN3c107complexINS3_4HalfEEEEESt5arrayIPcLm1EELi4E23TrivialOffsetCalculatorILi0EjESB_ILi1EjENS0_6memory15LoadWithoutCastENSE_16StoreWithoutCastEEEviT_T0_T2_T3_T4_T5_,comdat
.Lfunc_end76:
	.size	_ZN2at6native27unrolled_elementwise_kernelINS0_11FillFunctorIN3c107complexINS3_4HalfEEEEESt5arrayIPcLm1EELi4E23TrivialOffsetCalculatorILi0EjESB_ILi1EjENS0_6memory15LoadWithoutCastENSE_16StoreWithoutCastEEEviT_T0_T2_T3_T4_T5_, .Lfunc_end76-_ZN2at6native27unrolled_elementwise_kernelINS0_11FillFunctorIN3c107complexINS3_4HalfEEEEESt5arrayIPcLm1EELi4E23TrivialOffsetCalculatorILi0EjESB_ILi1EjENS0_6memory15LoadWithoutCastENSE_16StoreWithoutCastEEEviT_T0_T2_T3_T4_T5_
                                        ; -- End function
	.section	.AMDGPU.csdata,"",@progbits
; Kernel info:
; codeLenInByte = 400
; NumSgprs: 18
; NumVgprs: 4
; ScratchSize: 0
; MemoryBound: 0
; FloatMode: 240
; IeeeMode: 1
; LDSByteSize: 0 bytes/workgroup (compile time only)
; SGPRBlocks: 2
; VGPRBlocks: 0
; NumSGPRsForWavesPerEU: 18
; NumVGPRsForWavesPerEU: 4
; Occupancy: 16
; WaveLimiterHint : 0
; COMPUTE_PGM_RSRC2:SCRATCH_EN: 0
; COMPUTE_PGM_RSRC2:USER_SGPR: 15
; COMPUTE_PGM_RSRC2:TRAP_HANDLER: 0
; COMPUTE_PGM_RSRC2:TGID_X_EN: 1
; COMPUTE_PGM_RSRC2:TGID_Y_EN: 0
; COMPUTE_PGM_RSRC2:TGID_Z_EN: 0
; COMPUTE_PGM_RSRC2:TIDIG_COMP_CNT: 0
	.section	.text._ZN2at6native32elementwise_kernel_manual_unrollILi128ELi4EZNS0_22gpu_kernel_impl_nocastINS0_11FillFunctorIN3c107complexINS4_4HalfEEEEEEEvRNS_18TensorIteratorBaseERKT_EUlibE_EEviT1_,"axG",@progbits,_ZN2at6native32elementwise_kernel_manual_unrollILi128ELi4EZNS0_22gpu_kernel_impl_nocastINS0_11FillFunctorIN3c107complexINS4_4HalfEEEEEEEvRNS_18TensorIteratorBaseERKT_EUlibE_EEviT1_,comdat
	.protected	_ZN2at6native32elementwise_kernel_manual_unrollILi128ELi4EZNS0_22gpu_kernel_impl_nocastINS0_11FillFunctorIN3c107complexINS4_4HalfEEEEEEEvRNS_18TensorIteratorBaseERKT_EUlibE_EEviT1_ ; -- Begin function _ZN2at6native32elementwise_kernel_manual_unrollILi128ELi4EZNS0_22gpu_kernel_impl_nocastINS0_11FillFunctorIN3c107complexINS4_4HalfEEEEEEEvRNS_18TensorIteratorBaseERKT_EUlibE_EEviT1_
	.globl	_ZN2at6native32elementwise_kernel_manual_unrollILi128ELi4EZNS0_22gpu_kernel_impl_nocastINS0_11FillFunctorIN3c107complexINS4_4HalfEEEEEEEvRNS_18TensorIteratorBaseERKT_EUlibE_EEviT1_
	.p2align	8
	.type	_ZN2at6native32elementwise_kernel_manual_unrollILi128ELi4EZNS0_22gpu_kernel_impl_nocastINS0_11FillFunctorIN3c107complexINS4_4HalfEEEEEEEvRNS_18TensorIteratorBaseERKT_EUlibE_EEviT1_,@function
_ZN2at6native32elementwise_kernel_manual_unrollILi128ELi4EZNS0_22gpu_kernel_impl_nocastINS0_11FillFunctorIN3c107complexINS4_4HalfEEEEEEEvRNS_18TensorIteratorBaseERKT_EUlibE_EEviT1_: ; @_ZN2at6native32elementwise_kernel_manual_unrollILi128ELi4EZNS0_22gpu_kernel_impl_nocastINS0_11FillFunctorIN3c107complexINS4_4HalfEEEEEEEvRNS_18TensorIteratorBaseERKT_EUlibE_EEviT1_
; %bb.0:
	s_clause 0x1
	s_load_b32 s18, s[0:1], 0x8
	s_load_b32 s24, s[0:1], 0x0
	v_lshl_or_b32 v2, s15, 9, v0
	s_or_b32 s0, s0, 8
	s_mov_b32 s2, exec_lo
	s_delay_alu instid0(VALU_DEP_1) | instskip(SKIP_2) | instid1(SALU_CYCLE_1)
	v_or_b32_e32 v4, 0x180, v2
	s_waitcnt lgkmcnt(0)
	s_add_i32 s19, s18, -1
	s_cmp_gt_u32 s19, 1
	s_cselect_b32 s20, -1, 0
	v_cmpx_le_i32_e64 s24, v4
	s_xor_b32 s21, exec_lo, s2
	s_cbranch_execz .LBB77_7
; %bb.1:
	s_clause 0x4
	s_load_b128 s[4:7], s[0:1], 0x4
	s_load_b64 s[10:11], s[0:1], 0x14
	s_load_b64 s[8:9], s[0:1], 0xc4
	;; [unrolled: 1-line block ×3, first 2 shown]
	s_load_b32 s22, s[0:1], 0x110
	s_cmp_lg_u32 s18, 0
	s_mov_b32 s27, exec_lo
	s_cselect_b32 s26, -1, 0
	s_add_u32 s12, s0, 0xc4
	s_addc_u32 s13, s1, 0
	s_min_u32 s25, s19, 15
	s_cmp_gt_u32 s18, 1
	s_cselect_b32 s23, -1, 0
	v_cmpx_gt_i32_e64 s24, v2
	s_cbranch_execz .LBB77_14
; %bb.2:
	s_and_not1_b32 vcc_lo, exec_lo, s20
	s_cbranch_vccnz .LBB77_21
; %bb.3:
	v_mov_b32_e32 v0, 0
	s_and_not1_b32 vcc_lo, exec_lo, s26
	s_cbranch_vccnz .LBB77_73
; %bb.4:
	s_add_i32 s29, s25, 1
	s_cmp_eq_u32 s19, 2
	s_mov_b32 s28, 0
	s_cbranch_scc1 .LBB77_69
; %bb.5:
	v_dual_mov_b32 v0, 0 :: v_dual_mov_b32 v1, v2
	s_and_b32 s28, s29, 28
	s_mov_b32 s30, 0
	s_mov_b64 s[14:15], s[0:1]
	s_mov_b64 s[16:17], s[12:13]
.LBB77_6:                               ; =>This Inner Loop Header: Depth=1
	s_clause 0x1
	s_load_b256 s[36:43], s[14:15], 0x4
	s_load_b128 s[44:47], s[14:15], 0x24
	s_load_b128 s[48:51], s[16:17], 0x0
	s_add_u32 s14, s14, 48
	s_addc_u32 s15, s15, 0
	s_add_i32 s30, s30, 4
	s_add_u32 s16, s16, 16
	s_addc_u32 s17, s17, 0
	s_cmp_lg_u32 s28, s30
	s_waitcnt lgkmcnt(0)
	v_mul_hi_u32 v3, s37, v1
	s_delay_alu instid0(VALU_DEP_1) | instskip(NEXT) | instid1(VALU_DEP_1)
	v_add_nc_u32_e32 v3, v1, v3
	v_lshrrev_b32_e32 v3, s38, v3
	s_delay_alu instid0(VALU_DEP_1) | instskip(SKIP_1) | instid1(VALU_DEP_2)
	v_mul_hi_u32 v4, s40, v3
	v_mul_lo_u32 v7, v3, s36
	v_add_nc_u32_e32 v4, v3, v4
	s_delay_alu instid0(VALU_DEP_2) | instskip(NEXT) | instid1(VALU_DEP_2)
	v_sub_nc_u32_e32 v7, v1, v7
	v_lshrrev_b32_e32 v4, s41, v4
	s_delay_alu instid0(VALU_DEP_2) | instskip(NEXT) | instid1(VALU_DEP_2)
	v_mul_lo_u32 v7, v7, s48
	v_mul_hi_u32 v5, s43, v4
	v_mul_lo_u32 v8, v4, s39
	s_delay_alu instid0(VALU_DEP_2) | instskip(NEXT) | instid1(VALU_DEP_2)
	v_add_nc_u32_e32 v5, v4, v5
	v_sub_nc_u32_e32 v3, v3, v8
	s_delay_alu instid0(VALU_DEP_2) | instskip(NEXT) | instid1(VALU_DEP_2)
	v_lshrrev_b32_e32 v5, s44, v5
	v_mul_lo_u32 v3, v3, s49
	s_delay_alu instid0(VALU_DEP_2) | instskip(NEXT) | instid1(VALU_DEP_2)
	v_mul_hi_u32 v6, s46, v5
	v_add3_u32 v0, v7, v0, v3
	s_delay_alu instid0(VALU_DEP_2) | instskip(NEXT) | instid1(VALU_DEP_1)
	v_add_nc_u32_e32 v6, v5, v6
	v_lshrrev_b32_e32 v1, s47, v6
	v_mul_lo_u32 v6, v5, s42
	s_delay_alu instid0(VALU_DEP_2) | instskip(NEXT) | instid1(VALU_DEP_2)
	v_mul_lo_u32 v9, v1, s45
	v_sub_nc_u32_e32 v4, v4, v6
	s_delay_alu instid0(VALU_DEP_2) | instskip(NEXT) | instid1(VALU_DEP_2)
	v_sub_nc_u32_e32 v5, v5, v9
	v_mul_lo_u32 v4, v4, s50
	s_delay_alu instid0(VALU_DEP_2) | instskip(NEXT) | instid1(VALU_DEP_1)
	v_mul_lo_u32 v5, v5, s51
	v_add3_u32 v0, v4, v0, v5
	s_cbranch_scc1 .LBB77_6
	s_branch .LBB77_70
.LBB77_7:
	s_and_not1_saveexec_b32 s2, s21
	s_cbranch_execz .LBB77_94
.LBB77_8:
	v_cndmask_b32_e64 v3, 0, 1, s20
	s_and_not1_b32 vcc_lo, exec_lo, s20
	s_cbranch_vccnz .LBB77_20
; %bb.9:
	v_mov_b32_e32 v0, 0
	s_cmp_eq_u32 s18, 0
	s_mov_b32 s6, 0
	s_cbranch_scc1 .LBB77_26
; %bb.10:
	s_min_u32 s7, s19, 15
	v_mov_b32_e32 v0, 0
	s_add_i32 s7, s7, 1
	s_cmp_eq_u32 s19, 2
	s_mov_b32 s8, 0
	s_cbranch_scc1 .LBB77_23
; %bb.11:
	v_dual_mov_b32 v0, 0 :: v_dual_mov_b32 v1, v2
	s_add_u32 s2, s0, 0xc4
	s_addc_u32 s3, s1, 0
	s_and_b32 s8, s7, 28
	s_mov_b32 s9, 0
	s_mov_b64 s[4:5], s[0:1]
.LBB77_12:                              ; =>This Inner Loop Header: Depth=1
	s_clause 0x1
	s_load_b256 s[20:27], s[4:5], 0x4
	s_load_b128 s[12:15], s[4:5], 0x24
	s_load_b128 s[28:31], s[2:3], 0x0
	s_add_u32 s4, s4, 48
	s_addc_u32 s5, s5, 0
	s_add_i32 s9, s9, 4
	s_add_u32 s2, s2, 16
	s_addc_u32 s3, s3, 0
	s_cmp_lg_u32 s8, s9
	s_waitcnt lgkmcnt(0)
	v_mul_hi_u32 v5, s21, v1
	s_delay_alu instid0(VALU_DEP_1) | instskip(NEXT) | instid1(VALU_DEP_1)
	v_add_nc_u32_e32 v5, v1, v5
	v_lshrrev_b32_e32 v5, s22, v5
	s_delay_alu instid0(VALU_DEP_1) | instskip(SKIP_1) | instid1(VALU_DEP_2)
	v_mul_hi_u32 v6, s24, v5
	v_mul_lo_u32 v9, v5, s20
	v_add_nc_u32_e32 v6, v5, v6
	s_delay_alu instid0(VALU_DEP_2) | instskip(NEXT) | instid1(VALU_DEP_2)
	v_sub_nc_u32_e32 v9, v1, v9
	v_lshrrev_b32_e32 v6, s25, v6
	s_delay_alu instid0(VALU_DEP_2) | instskip(NEXT) | instid1(VALU_DEP_2)
	v_mul_lo_u32 v9, v9, s28
	v_mul_hi_u32 v7, s27, v6
	v_mul_lo_u32 v10, v6, s23
	s_delay_alu instid0(VALU_DEP_2) | instskip(NEXT) | instid1(VALU_DEP_2)
	v_add_nc_u32_e32 v7, v6, v7
	v_sub_nc_u32_e32 v5, v5, v10
	s_delay_alu instid0(VALU_DEP_2) | instskip(NEXT) | instid1(VALU_DEP_2)
	v_lshrrev_b32_e32 v7, s12, v7
	v_mul_lo_u32 v5, v5, s29
	s_delay_alu instid0(VALU_DEP_2) | instskip(NEXT) | instid1(VALU_DEP_2)
	v_mul_hi_u32 v8, s14, v7
	v_add3_u32 v0, v9, v0, v5
	s_delay_alu instid0(VALU_DEP_2) | instskip(NEXT) | instid1(VALU_DEP_1)
	v_add_nc_u32_e32 v8, v7, v8
	v_lshrrev_b32_e32 v1, s15, v8
	v_mul_lo_u32 v8, v7, s26
	s_delay_alu instid0(VALU_DEP_2) | instskip(NEXT) | instid1(VALU_DEP_2)
	v_mul_lo_u32 v11, v1, s13
	v_sub_nc_u32_e32 v6, v6, v8
	s_delay_alu instid0(VALU_DEP_2) | instskip(NEXT) | instid1(VALU_DEP_2)
	v_sub_nc_u32_e32 v7, v7, v11
	v_mul_lo_u32 v6, v6, s30
	s_delay_alu instid0(VALU_DEP_2) | instskip(NEXT) | instid1(VALU_DEP_1)
	v_mul_lo_u32 v7, v7, s31
	v_add3_u32 v0, v6, v0, v7
	s_cbranch_scc1 .LBB77_12
; %bb.13:
	s_and_b32 s7, s7, 3
	s_delay_alu instid0(SALU_CYCLE_1)
	s_cmp_eq_u32 s7, 0
	s_cbranch_scc0 .LBB77_24
	s_branch .LBB77_26
.LBB77_14:
	s_or_b32 exec_lo, exec_lo, s27
	s_delay_alu instid0(SALU_CYCLE_1)
	s_mov_b32 s27, exec_lo
	v_cmpx_gt_i32_e64 s24, v2
	s_cbranch_execz .LBB77_77
.LBB77_15:
	s_and_not1_b32 vcc_lo, exec_lo, s20
	s_cbranch_vccnz .LBB77_22
; %bb.16:
	v_mov_b32_e32 v0, 0
	s_and_not1_b32 vcc_lo, exec_lo, s26
	s_cbranch_vccnz .LBB77_88
; %bb.17:
	s_add_i32 s29, s25, 1
	s_cmp_eq_u32 s19, 2
	s_mov_b32 s28, 0
	s_cbranch_scc1 .LBB77_84
; %bb.18:
	v_dual_mov_b32 v0, 0 :: v_dual_mov_b32 v1, v2
	s_and_b32 s28, s29, 28
	s_mov_b32 s30, 0
	s_mov_b64 s[14:15], s[0:1]
	s_mov_b64 s[16:17], s[12:13]
.LBB77_19:                              ; =>This Inner Loop Header: Depth=1
	s_clause 0x1
	s_load_b256 s[36:43], s[14:15], 0x4
	s_load_b128 s[44:47], s[14:15], 0x24
	s_load_b128 s[48:51], s[16:17], 0x0
	s_add_u32 s14, s14, 48
	s_addc_u32 s15, s15, 0
	s_add_i32 s30, s30, 4
	s_add_u32 s16, s16, 16
	s_addc_u32 s17, s17, 0
	s_cmp_eq_u32 s28, s30
	s_waitcnt lgkmcnt(0)
	v_mul_hi_u32 v3, s37, v1
	s_delay_alu instid0(VALU_DEP_1) | instskip(NEXT) | instid1(VALU_DEP_1)
	v_add_nc_u32_e32 v3, v1, v3
	v_lshrrev_b32_e32 v3, s38, v3
	s_delay_alu instid0(VALU_DEP_1) | instskip(SKIP_1) | instid1(VALU_DEP_2)
	v_mul_hi_u32 v4, s40, v3
	v_mul_lo_u32 v7, v3, s36
	v_add_nc_u32_e32 v4, v3, v4
	s_delay_alu instid0(VALU_DEP_2) | instskip(NEXT) | instid1(VALU_DEP_2)
	v_sub_nc_u32_e32 v7, v1, v7
	v_lshrrev_b32_e32 v4, s41, v4
	s_delay_alu instid0(VALU_DEP_2) | instskip(NEXT) | instid1(VALU_DEP_2)
	v_mul_lo_u32 v7, v7, s48
	v_mul_hi_u32 v5, s43, v4
	v_mul_lo_u32 v8, v4, s39
	s_delay_alu instid0(VALU_DEP_2) | instskip(NEXT) | instid1(VALU_DEP_2)
	v_add_nc_u32_e32 v5, v4, v5
	v_sub_nc_u32_e32 v3, v3, v8
	s_delay_alu instid0(VALU_DEP_2) | instskip(NEXT) | instid1(VALU_DEP_2)
	v_lshrrev_b32_e32 v5, s44, v5
	v_mul_lo_u32 v3, v3, s49
	s_delay_alu instid0(VALU_DEP_2) | instskip(NEXT) | instid1(VALU_DEP_2)
	v_mul_hi_u32 v6, s46, v5
	v_add3_u32 v0, v7, v0, v3
	s_delay_alu instid0(VALU_DEP_2) | instskip(NEXT) | instid1(VALU_DEP_1)
	v_add_nc_u32_e32 v6, v5, v6
	v_lshrrev_b32_e32 v1, s47, v6
	v_mul_lo_u32 v6, v5, s42
	s_delay_alu instid0(VALU_DEP_2) | instskip(NEXT) | instid1(VALU_DEP_2)
	v_mul_lo_u32 v9, v1, s45
	v_sub_nc_u32_e32 v4, v4, v6
	s_delay_alu instid0(VALU_DEP_2) | instskip(NEXT) | instid1(VALU_DEP_2)
	v_sub_nc_u32_e32 v5, v5, v9
	v_mul_lo_u32 v4, v4, s50
	s_delay_alu instid0(VALU_DEP_2) | instskip(NEXT) | instid1(VALU_DEP_1)
	v_mul_lo_u32 v5, v5, s51
	v_add3_u32 v0, v4, v0, v5
	s_cbranch_scc0 .LBB77_19
	s_branch .LBB77_85
.LBB77_20:
	s_mov_b32 s6, -1
                                        ; implicit-def: $vgpr0
	s_branch .LBB77_26
.LBB77_21:
                                        ; implicit-def: $vgpr0
	s_branch .LBB77_74
.LBB77_22:
                                        ; implicit-def: $vgpr0
	s_branch .LBB77_89
.LBB77_23:
	v_mov_b32_e32 v1, v2
	s_and_b32 s7, s7, 3
	s_delay_alu instid0(SALU_CYCLE_1)
	s_cmp_eq_u32 s7, 0
	s_cbranch_scc1 .LBB77_26
.LBB77_24:
	s_lshl_b32 s2, s8, 2
	s_mul_i32 s4, s8, 12
	s_add_u32 s2, s2, s0
	s_addc_u32 s3, 0, s1
	s_add_u32 s2, s2, 0xc4
	s_addc_u32 s3, s3, 0
	;; [unrolled: 2-line block ×3, first 2 shown]
	.p2align	6
.LBB77_25:                              ; =>This Inner Loop Header: Depth=1
	s_clause 0x1
	s_load_b64 s[8:9], s[4:5], 0x4
	s_load_b32 s10, s[4:5], 0xc
	s_add_u32 s4, s4, 12
	s_addc_u32 s5, s5, 0
	s_waitcnt lgkmcnt(0)
	v_mul_hi_u32 v5, s9, v1
	s_load_b32 s9, s[2:3], 0x0
	s_add_u32 s2, s2, 4
	s_addc_u32 s3, s3, 0
	s_add_i32 s7, s7, -1
	s_delay_alu instid0(SALU_CYCLE_1) | instskip(NEXT) | instid1(VALU_DEP_1)
	s_cmp_lg_u32 s7, 0
	v_add_nc_u32_e32 v5, v1, v5
	s_delay_alu instid0(VALU_DEP_1) | instskip(NEXT) | instid1(VALU_DEP_1)
	v_lshrrev_b32_e32 v7, s10, v5
	v_mul_lo_u32 v5, v7, s8
	s_delay_alu instid0(VALU_DEP_1) | instskip(SKIP_1) | instid1(VALU_DEP_1)
	v_sub_nc_u32_e32 v1, v1, v5
	s_waitcnt lgkmcnt(0)
	v_mad_u64_u32 v[5:6], null, v1, s9, v[0:1]
	s_delay_alu instid0(VALU_DEP_1)
	v_dual_mov_b32 v1, v7 :: v_dual_mov_b32 v0, v5
	s_cbranch_scc1 .LBB77_25
.LBB77_26:
	s_and_not1_b32 vcc_lo, exec_lo, s6
	s_cbranch_vccnz .LBB77_29
; %bb.27:
	s_clause 0x1
	s_load_b128 s[4:7], s[0:1], 0x4
	s_load_b32 s2, s[0:1], 0xc4
	s_cmp_lt_u32 s18, 2
	s_waitcnt lgkmcnt(0)
	v_mul_hi_u32 v0, s5, v2
	s_delay_alu instid0(VALU_DEP_1) | instskip(NEXT) | instid1(VALU_DEP_1)
	v_add_nc_u32_e32 v0, v2, v0
	v_lshrrev_b32_e32 v1, s6, v0
	s_delay_alu instid0(VALU_DEP_1) | instskip(NEXT) | instid1(VALU_DEP_1)
	v_mul_lo_u32 v0, v1, s4
	v_sub_nc_u32_e32 v0, v2, v0
	s_delay_alu instid0(VALU_DEP_1)
	v_mul_lo_u32 v0, v0, s2
	s_cbranch_scc1 .LBB77_29
; %bb.28:
	s_clause 0x1
	s_load_b128 s[4:7], s[0:1], 0x10
	s_load_b32 s2, s[0:1], 0xc8
	s_waitcnt lgkmcnt(0)
	v_mul_hi_u32 v5, s5, v1
	s_delay_alu instid0(VALU_DEP_1) | instskip(NEXT) | instid1(VALU_DEP_1)
	v_add_nc_u32_e32 v5, v1, v5
	v_lshrrev_b32_e32 v5, s6, v5
	s_delay_alu instid0(VALU_DEP_1) | instskip(NEXT) | instid1(VALU_DEP_1)
	v_mul_lo_u32 v5, v5, s4
	v_sub_nc_u32_e32 v1, v1, v5
	s_delay_alu instid0(VALU_DEP_1) | instskip(NEXT) | instid1(VALU_DEP_1)
	v_mad_u64_u32 v[5:6], null, v1, s2, v[0:1]
	v_mov_b32_e32 v0, v5
.LBB77_29:
	v_cmp_ne_u32_e32 vcc_lo, 1, v3
	v_add_nc_u32_e32 v5, 0x80, v2
	s_cbranch_vccnz .LBB77_35
; %bb.30:
	v_mov_b32_e32 v1, 0
	s_cmp_eq_u32 s18, 0
	s_mov_b32 s6, 0
	s_cbranch_scc1 .LBB77_39
; %bb.31:
	s_min_u32 s7, s19, 15
	v_mov_b32_e32 v1, 0
	s_add_i32 s7, s7, 1
	s_cmp_eq_u32 s19, 2
	s_mov_b32 s8, 0
	s_cbranch_scc1 .LBB77_36
; %bb.32:
	v_dual_mov_b32 v1, 0 :: v_dual_mov_b32 v6, v5
	s_add_u32 s2, s0, 0xc4
	s_addc_u32 s3, s1, 0
	s_and_b32 s8, s7, 28
	s_mov_b32 s9, 0
	s_mov_b64 s[4:5], s[0:1]
.LBB77_33:                              ; =>This Inner Loop Header: Depth=1
	s_clause 0x1
	s_load_b256 s[20:27], s[4:5], 0x4
	s_load_b128 s[12:15], s[4:5], 0x24
	s_load_b128 s[28:31], s[2:3], 0x0
	s_add_u32 s4, s4, 48
	s_addc_u32 s5, s5, 0
	s_add_i32 s9, s9, 4
	s_add_u32 s2, s2, 16
	s_addc_u32 s3, s3, 0
	s_cmp_lg_u32 s8, s9
	s_waitcnt lgkmcnt(0)
	v_mul_hi_u32 v7, s21, v6
	s_delay_alu instid0(VALU_DEP_1) | instskip(NEXT) | instid1(VALU_DEP_1)
	v_add_nc_u32_e32 v7, v6, v7
	v_lshrrev_b32_e32 v7, s22, v7
	s_delay_alu instid0(VALU_DEP_1) | instskip(SKIP_1) | instid1(VALU_DEP_2)
	v_mul_hi_u32 v8, s24, v7
	v_mul_lo_u32 v11, v7, s20
	v_add_nc_u32_e32 v8, v7, v8
	s_delay_alu instid0(VALU_DEP_2) | instskip(NEXT) | instid1(VALU_DEP_2)
	v_sub_nc_u32_e32 v11, v6, v11
	v_lshrrev_b32_e32 v8, s25, v8
	s_delay_alu instid0(VALU_DEP_2) | instskip(NEXT) | instid1(VALU_DEP_2)
	v_mul_lo_u32 v11, v11, s28
	v_mul_hi_u32 v9, s27, v8
	v_mul_lo_u32 v12, v8, s23
	s_delay_alu instid0(VALU_DEP_2) | instskip(NEXT) | instid1(VALU_DEP_2)
	v_add_nc_u32_e32 v9, v8, v9
	v_sub_nc_u32_e32 v7, v7, v12
	s_delay_alu instid0(VALU_DEP_2) | instskip(NEXT) | instid1(VALU_DEP_2)
	v_lshrrev_b32_e32 v9, s12, v9
	v_mul_lo_u32 v7, v7, s29
	s_delay_alu instid0(VALU_DEP_2) | instskip(NEXT) | instid1(VALU_DEP_2)
	v_mul_hi_u32 v10, s14, v9
	v_add3_u32 v1, v11, v1, v7
	s_delay_alu instid0(VALU_DEP_2) | instskip(NEXT) | instid1(VALU_DEP_1)
	v_add_nc_u32_e32 v10, v9, v10
	v_lshrrev_b32_e32 v6, s15, v10
	v_mul_lo_u32 v10, v9, s26
	s_delay_alu instid0(VALU_DEP_2) | instskip(NEXT) | instid1(VALU_DEP_2)
	v_mul_lo_u32 v13, v6, s13
	v_sub_nc_u32_e32 v8, v8, v10
	s_delay_alu instid0(VALU_DEP_2) | instskip(NEXT) | instid1(VALU_DEP_2)
	v_sub_nc_u32_e32 v9, v9, v13
	v_mul_lo_u32 v8, v8, s30
	s_delay_alu instid0(VALU_DEP_2) | instskip(NEXT) | instid1(VALU_DEP_1)
	v_mul_lo_u32 v9, v9, s31
	v_add3_u32 v1, v8, v1, v9
	s_cbranch_scc1 .LBB77_33
; %bb.34:
	s_and_b32 s7, s7, 3
	s_delay_alu instid0(SALU_CYCLE_1)
	s_cmp_eq_u32 s7, 0
	s_cbranch_scc0 .LBB77_37
	s_branch .LBB77_39
.LBB77_35:
	s_mov_b32 s6, -1
                                        ; implicit-def: $vgpr1
	s_branch .LBB77_39
.LBB77_36:
	v_mov_b32_e32 v6, v5
	s_and_b32 s7, s7, 3
	s_delay_alu instid0(SALU_CYCLE_1)
	s_cmp_eq_u32 s7, 0
	s_cbranch_scc1 .LBB77_39
.LBB77_37:
	s_lshl_b32 s2, s8, 2
	s_mul_i32 s4, s8, 12
	s_add_u32 s2, s2, s0
	s_addc_u32 s3, 0, s1
	s_add_u32 s2, s2, 0xc4
	s_addc_u32 s3, s3, 0
	;; [unrolled: 2-line block ×3, first 2 shown]
	.p2align	6
.LBB77_38:                              ; =>This Inner Loop Header: Depth=1
	s_clause 0x1
	s_load_b64 s[8:9], s[4:5], 0x4
	s_load_b32 s10, s[4:5], 0xc
	s_add_u32 s4, s4, 12
	s_addc_u32 s5, s5, 0
	s_waitcnt lgkmcnt(0)
	v_mul_hi_u32 v7, s9, v6
	s_load_b32 s9, s[2:3], 0x0
	s_add_u32 s2, s2, 4
	s_addc_u32 s3, s3, 0
	s_add_i32 s7, s7, -1
	s_delay_alu instid0(SALU_CYCLE_1) | instskip(NEXT) | instid1(VALU_DEP_1)
	s_cmp_lg_u32 s7, 0
	v_add_nc_u32_e32 v7, v6, v7
	s_delay_alu instid0(VALU_DEP_1) | instskip(NEXT) | instid1(VALU_DEP_1)
	v_lshrrev_b32_e32 v9, s10, v7
	v_mul_lo_u32 v7, v9, s8
	s_delay_alu instid0(VALU_DEP_1) | instskip(SKIP_1) | instid1(VALU_DEP_1)
	v_sub_nc_u32_e32 v6, v6, v7
	s_waitcnt lgkmcnt(0)
	v_mad_u64_u32 v[7:8], null, v6, s9, v[1:2]
	s_delay_alu instid0(VALU_DEP_1)
	v_dual_mov_b32 v6, v9 :: v_dual_mov_b32 v1, v7
	s_cbranch_scc1 .LBB77_38
.LBB77_39:
	s_and_not1_b32 vcc_lo, exec_lo, s6
	s_cbranch_vccnz .LBB77_42
; %bb.40:
	s_clause 0x1
	s_load_b128 s[4:7], s[0:1], 0x4
	s_load_b32 s2, s[0:1], 0xc4
	s_cmp_lt_u32 s18, 2
	s_waitcnt lgkmcnt(0)
	v_mul_hi_u32 v1, s5, v5
	s_delay_alu instid0(VALU_DEP_1) | instskip(NEXT) | instid1(VALU_DEP_1)
	v_add_nc_u32_e32 v1, v5, v1
	v_lshrrev_b32_e32 v6, s6, v1
	s_delay_alu instid0(VALU_DEP_1) | instskip(NEXT) | instid1(VALU_DEP_1)
	v_mul_lo_u32 v1, v6, s4
	v_sub_nc_u32_e32 v1, v5, v1
	s_delay_alu instid0(VALU_DEP_1)
	v_mul_lo_u32 v1, v1, s2
	s_cbranch_scc1 .LBB77_42
; %bb.41:
	s_clause 0x1
	s_load_b128 s[4:7], s[0:1], 0x10
	s_load_b32 s2, s[0:1], 0xc8
	s_waitcnt lgkmcnt(0)
	v_mul_hi_u32 v5, s5, v6
	s_delay_alu instid0(VALU_DEP_1) | instskip(NEXT) | instid1(VALU_DEP_1)
	v_add_nc_u32_e32 v5, v6, v5
	v_lshrrev_b32_e32 v5, s6, v5
	s_delay_alu instid0(VALU_DEP_1) | instskip(NEXT) | instid1(VALU_DEP_1)
	v_mul_lo_u32 v5, v5, s4
	v_sub_nc_u32_e32 v7, v6, v5
	s_delay_alu instid0(VALU_DEP_1) | instskip(NEXT) | instid1(VALU_DEP_1)
	v_mad_u64_u32 v[5:6], null, v7, s2, v[1:2]
	v_mov_b32_e32 v1, v5
.LBB77_42:
	v_cmp_ne_u32_e32 vcc_lo, 1, v3
	v_add_nc_u32_e32 v5, 0x100, v2
	s_cbranch_vccnz .LBB77_48
; %bb.43:
	v_mov_b32_e32 v2, 0
	s_cmp_eq_u32 s18, 0
	s_mov_b32 s6, 0
	s_cbranch_scc1 .LBB77_52
; %bb.44:
	s_min_u32 s7, s19, 15
	v_mov_b32_e32 v2, 0
	s_add_i32 s7, s7, 1
	s_cmp_eq_u32 s19, 2
	s_mov_b32 s8, 0
	s_cbranch_scc1 .LBB77_49
; %bb.45:
	v_mov_b32_e32 v2, 0
	v_mov_b32_e32 v6, v5
	s_add_u32 s2, s0, 0xc4
	s_addc_u32 s3, s1, 0
	s_and_b32 s8, s7, 28
	s_mov_b32 s9, 0
	s_mov_b64 s[4:5], s[0:1]
.LBB77_46:                              ; =>This Inner Loop Header: Depth=1
	s_clause 0x1
	s_load_b256 s[20:27], s[4:5], 0x4
	s_load_b128 s[12:15], s[4:5], 0x24
	s_load_b128 s[28:31], s[2:3], 0x0
	s_add_u32 s4, s4, 48
	s_addc_u32 s5, s5, 0
	s_add_i32 s9, s9, 4
	s_add_u32 s2, s2, 16
	s_addc_u32 s3, s3, 0
	s_cmp_lg_u32 s8, s9
	s_waitcnt lgkmcnt(0)
	v_mul_hi_u32 v7, s21, v6
	s_delay_alu instid0(VALU_DEP_1) | instskip(NEXT) | instid1(VALU_DEP_1)
	v_add_nc_u32_e32 v7, v6, v7
	v_lshrrev_b32_e32 v7, s22, v7
	s_delay_alu instid0(VALU_DEP_1) | instskip(SKIP_1) | instid1(VALU_DEP_2)
	v_mul_hi_u32 v8, s24, v7
	v_mul_lo_u32 v11, v7, s20
	v_add_nc_u32_e32 v8, v7, v8
	s_delay_alu instid0(VALU_DEP_2) | instskip(NEXT) | instid1(VALU_DEP_2)
	v_sub_nc_u32_e32 v11, v6, v11
	v_lshrrev_b32_e32 v8, s25, v8
	s_delay_alu instid0(VALU_DEP_2) | instskip(NEXT) | instid1(VALU_DEP_2)
	v_mul_lo_u32 v11, v11, s28
	v_mul_hi_u32 v9, s27, v8
	v_mul_lo_u32 v12, v8, s23
	s_delay_alu instid0(VALU_DEP_2) | instskip(NEXT) | instid1(VALU_DEP_2)
	v_add_nc_u32_e32 v9, v8, v9
	v_sub_nc_u32_e32 v7, v7, v12
	s_delay_alu instid0(VALU_DEP_2) | instskip(NEXT) | instid1(VALU_DEP_2)
	v_lshrrev_b32_e32 v9, s12, v9
	v_mul_lo_u32 v7, v7, s29
	s_delay_alu instid0(VALU_DEP_2) | instskip(NEXT) | instid1(VALU_DEP_2)
	v_mul_hi_u32 v10, s14, v9
	v_add3_u32 v2, v11, v2, v7
	s_delay_alu instid0(VALU_DEP_2) | instskip(NEXT) | instid1(VALU_DEP_1)
	v_add_nc_u32_e32 v10, v9, v10
	v_lshrrev_b32_e32 v6, s15, v10
	v_mul_lo_u32 v10, v9, s26
	s_delay_alu instid0(VALU_DEP_2) | instskip(NEXT) | instid1(VALU_DEP_2)
	v_mul_lo_u32 v13, v6, s13
	v_sub_nc_u32_e32 v8, v8, v10
	s_delay_alu instid0(VALU_DEP_2) | instskip(NEXT) | instid1(VALU_DEP_2)
	v_sub_nc_u32_e32 v9, v9, v13
	v_mul_lo_u32 v8, v8, s30
	s_delay_alu instid0(VALU_DEP_2) | instskip(NEXT) | instid1(VALU_DEP_1)
	v_mul_lo_u32 v9, v9, s31
	v_add3_u32 v2, v8, v2, v9
	s_cbranch_scc1 .LBB77_46
; %bb.47:
	s_and_b32 s7, s7, 3
	s_delay_alu instid0(SALU_CYCLE_1)
	s_cmp_eq_u32 s7, 0
	s_cbranch_scc0 .LBB77_50
	s_branch .LBB77_52
.LBB77_48:
	s_mov_b32 s6, -1
                                        ; implicit-def: $vgpr2
	s_branch .LBB77_52
.LBB77_49:
	v_mov_b32_e32 v6, v5
	s_and_b32 s7, s7, 3
	s_delay_alu instid0(SALU_CYCLE_1)
	s_cmp_eq_u32 s7, 0
	s_cbranch_scc1 .LBB77_52
.LBB77_50:
	s_lshl_b32 s2, s8, 2
	s_mul_i32 s4, s8, 12
	s_add_u32 s2, s2, s0
	s_addc_u32 s3, 0, s1
	s_add_u32 s2, s2, 0xc4
	s_addc_u32 s3, s3, 0
	;; [unrolled: 2-line block ×3, first 2 shown]
	.p2align	6
.LBB77_51:                              ; =>This Inner Loop Header: Depth=1
	s_clause 0x1
	s_load_b64 s[8:9], s[4:5], 0x4
	s_load_b32 s10, s[4:5], 0xc
	s_add_u32 s4, s4, 12
	s_addc_u32 s5, s5, 0
	s_waitcnt lgkmcnt(0)
	v_mul_hi_u32 v7, s9, v6
	s_load_b32 s9, s[2:3], 0x0
	s_add_u32 s2, s2, 4
	s_addc_u32 s3, s3, 0
	s_add_i32 s7, s7, -1
	s_delay_alu instid0(SALU_CYCLE_1) | instskip(NEXT) | instid1(VALU_DEP_1)
	s_cmp_lg_u32 s7, 0
	v_add_nc_u32_e32 v7, v6, v7
	s_delay_alu instid0(VALU_DEP_1) | instskip(NEXT) | instid1(VALU_DEP_1)
	v_lshrrev_b32_e32 v9, s10, v7
	v_mul_lo_u32 v7, v9, s8
	s_delay_alu instid0(VALU_DEP_1) | instskip(SKIP_1) | instid1(VALU_DEP_1)
	v_sub_nc_u32_e32 v6, v6, v7
	s_waitcnt lgkmcnt(0)
	v_mad_u64_u32 v[7:8], null, v6, s9, v[2:3]
	v_mov_b32_e32 v6, v9
	s_delay_alu instid0(VALU_DEP_2)
	v_mov_b32_e32 v2, v7
	s_cbranch_scc1 .LBB77_51
.LBB77_52:
	s_and_not1_b32 vcc_lo, exec_lo, s6
	s_cbranch_vccnz .LBB77_55
; %bb.53:
	s_clause 0x1
	s_load_b128 s[4:7], s[0:1], 0x4
	s_load_b32 s2, s[0:1], 0xc4
	s_cmp_lt_u32 s18, 2
	s_waitcnt lgkmcnt(0)
	v_mul_hi_u32 v2, s5, v5
	s_delay_alu instid0(VALU_DEP_1) | instskip(NEXT) | instid1(VALU_DEP_1)
	v_add_nc_u32_e32 v2, v5, v2
	v_lshrrev_b32_e32 v6, s6, v2
	s_delay_alu instid0(VALU_DEP_1) | instskip(NEXT) | instid1(VALU_DEP_1)
	v_mul_lo_u32 v2, v6, s4
	v_sub_nc_u32_e32 v2, v5, v2
	s_delay_alu instid0(VALU_DEP_1)
	v_mul_lo_u32 v2, v2, s2
	s_cbranch_scc1 .LBB77_55
; %bb.54:
	s_clause 0x1
	s_load_b128 s[4:7], s[0:1], 0x10
	s_load_b32 s2, s[0:1], 0xc8
	s_waitcnt lgkmcnt(0)
	v_mul_hi_u32 v5, s5, v6
	s_delay_alu instid0(VALU_DEP_1) | instskip(NEXT) | instid1(VALU_DEP_1)
	v_add_nc_u32_e32 v5, v6, v5
	v_lshrrev_b32_e32 v5, s6, v5
	s_delay_alu instid0(VALU_DEP_1) | instskip(NEXT) | instid1(VALU_DEP_1)
	v_mul_lo_u32 v5, v5, s4
	v_sub_nc_u32_e32 v7, v6, v5
	s_delay_alu instid0(VALU_DEP_1) | instskip(NEXT) | instid1(VALU_DEP_1)
	v_mad_u64_u32 v[5:6], null, v7, s2, v[2:3]
	v_mov_b32_e32 v2, v5
.LBB77_55:
	v_cmp_ne_u32_e32 vcc_lo, 1, v3
	s_cbranch_vccnz .LBB77_61
; %bb.56:
	v_mov_b32_e32 v3, 0
	s_cmp_eq_u32 s18, 0
	s_mov_b32 s6, 0
	s_cbranch_scc1 .LBB77_65
; %bb.57:
	s_min_u32 s7, s19, 15
	v_mov_b32_e32 v3, 0
	s_add_i32 s7, s7, 1
	s_cmp_eq_u32 s19, 2
	s_mov_b32 s8, 0
	s_cbranch_scc1 .LBB77_62
; %bb.58:
	v_mov_b32_e32 v3, 0
	v_mov_b32_e32 v5, v4
	s_add_u32 s2, s0, 0xc4
	s_addc_u32 s3, s1, 0
	s_and_b32 s8, s7, 28
	s_mov_b32 s9, 0
	s_mov_b64 s[4:5], s[0:1]
.LBB77_59:                              ; =>This Inner Loop Header: Depth=1
	s_clause 0x1
	s_load_b256 s[20:27], s[4:5], 0x4
	s_load_b128 s[12:15], s[4:5], 0x24
	s_load_b128 s[28:31], s[2:3], 0x0
	s_add_u32 s4, s4, 48
	s_addc_u32 s5, s5, 0
	s_add_i32 s9, s9, 4
	s_add_u32 s2, s2, 16
	s_addc_u32 s3, s3, 0
	s_cmp_lg_u32 s8, s9
	s_waitcnt lgkmcnt(0)
	v_mul_hi_u32 v6, s21, v5
	s_delay_alu instid0(VALU_DEP_1) | instskip(NEXT) | instid1(VALU_DEP_1)
	v_add_nc_u32_e32 v6, v5, v6
	v_lshrrev_b32_e32 v6, s22, v6
	s_delay_alu instid0(VALU_DEP_1) | instskip(SKIP_1) | instid1(VALU_DEP_2)
	v_mul_hi_u32 v7, s24, v6
	v_mul_lo_u32 v10, v6, s20
	v_add_nc_u32_e32 v7, v6, v7
	s_delay_alu instid0(VALU_DEP_2) | instskip(NEXT) | instid1(VALU_DEP_2)
	v_sub_nc_u32_e32 v10, v5, v10
	v_lshrrev_b32_e32 v7, s25, v7
	s_delay_alu instid0(VALU_DEP_2) | instskip(NEXT) | instid1(VALU_DEP_2)
	v_mul_lo_u32 v10, v10, s28
	v_mul_hi_u32 v8, s27, v7
	v_mul_lo_u32 v11, v7, s23
	s_delay_alu instid0(VALU_DEP_2) | instskip(NEXT) | instid1(VALU_DEP_2)
	v_add_nc_u32_e32 v8, v7, v8
	v_sub_nc_u32_e32 v6, v6, v11
	s_delay_alu instid0(VALU_DEP_2) | instskip(NEXT) | instid1(VALU_DEP_2)
	v_lshrrev_b32_e32 v8, s12, v8
	v_mul_lo_u32 v6, v6, s29
	s_delay_alu instid0(VALU_DEP_2) | instskip(NEXT) | instid1(VALU_DEP_2)
	v_mul_hi_u32 v9, s14, v8
	v_add3_u32 v3, v10, v3, v6
	s_delay_alu instid0(VALU_DEP_2) | instskip(NEXT) | instid1(VALU_DEP_1)
	v_add_nc_u32_e32 v9, v8, v9
	v_lshrrev_b32_e32 v5, s15, v9
	v_mul_lo_u32 v9, v8, s26
	s_delay_alu instid0(VALU_DEP_2) | instskip(NEXT) | instid1(VALU_DEP_2)
	v_mul_lo_u32 v12, v5, s13
	v_sub_nc_u32_e32 v7, v7, v9
	s_delay_alu instid0(VALU_DEP_2) | instskip(NEXT) | instid1(VALU_DEP_2)
	v_sub_nc_u32_e32 v8, v8, v12
	v_mul_lo_u32 v7, v7, s30
	s_delay_alu instid0(VALU_DEP_2) | instskip(NEXT) | instid1(VALU_DEP_1)
	v_mul_lo_u32 v8, v8, s31
	v_add3_u32 v3, v7, v3, v8
	s_cbranch_scc1 .LBB77_59
; %bb.60:
	s_and_b32 s7, s7, 3
	s_delay_alu instid0(SALU_CYCLE_1)
	s_cmp_eq_u32 s7, 0
	s_cbranch_scc0 .LBB77_63
	s_branch .LBB77_65
.LBB77_61:
	s_mov_b32 s6, -1
                                        ; implicit-def: $vgpr3
	s_branch .LBB77_65
.LBB77_62:
	v_mov_b32_e32 v5, v4
	s_and_b32 s7, s7, 3
	s_delay_alu instid0(SALU_CYCLE_1)
	s_cmp_eq_u32 s7, 0
	s_cbranch_scc1 .LBB77_65
.LBB77_63:
	s_lshl_b32 s2, s8, 2
	s_mul_i32 s4, s8, 12
	s_add_u32 s2, s2, s0
	s_addc_u32 s3, 0, s1
	s_add_u32 s2, s2, 0xc4
	s_addc_u32 s3, s3, 0
	;; [unrolled: 2-line block ×3, first 2 shown]
	.p2align	6
.LBB77_64:                              ; =>This Inner Loop Header: Depth=1
	s_clause 0x1
	s_load_b64 s[8:9], s[4:5], 0x4
	s_load_b32 s10, s[4:5], 0xc
	s_add_u32 s4, s4, 12
	s_addc_u32 s5, s5, 0
	s_waitcnt lgkmcnt(0)
	v_mul_hi_u32 v6, s9, v5
	s_load_b32 s9, s[2:3], 0x0
	s_add_u32 s2, s2, 4
	s_addc_u32 s3, s3, 0
	s_add_i32 s7, s7, -1
	s_delay_alu instid0(SALU_CYCLE_1) | instskip(NEXT) | instid1(VALU_DEP_1)
	s_cmp_lg_u32 s7, 0
	v_add_nc_u32_e32 v6, v5, v6
	s_delay_alu instid0(VALU_DEP_1) | instskip(NEXT) | instid1(VALU_DEP_1)
	v_lshrrev_b32_e32 v8, s10, v6
	v_mul_lo_u32 v6, v8, s8
	s_delay_alu instid0(VALU_DEP_1) | instskip(SKIP_1) | instid1(VALU_DEP_1)
	v_sub_nc_u32_e32 v5, v5, v6
	s_waitcnt lgkmcnt(0)
	v_mad_u64_u32 v[6:7], null, v5, s9, v[3:4]
	v_mov_b32_e32 v5, v8
	s_delay_alu instid0(VALU_DEP_2)
	v_mov_b32_e32 v3, v6
	s_cbranch_scc1 .LBB77_64
.LBB77_65:
	s_and_not1_b32 vcc_lo, exec_lo, s6
	s_cbranch_vccnz .LBB77_68
; %bb.66:
	s_clause 0x1
	s_load_b128 s[4:7], s[0:1], 0x4
	s_load_b32 s2, s[0:1], 0xc4
	s_cmp_lt_u32 s18, 2
	s_waitcnt lgkmcnt(0)
	v_mul_hi_u32 v3, s5, v4
	s_delay_alu instid0(VALU_DEP_1) | instskip(NEXT) | instid1(VALU_DEP_1)
	v_add_nc_u32_e32 v3, v4, v3
	v_lshrrev_b32_e32 v5, s6, v3
	s_delay_alu instid0(VALU_DEP_1) | instskip(NEXT) | instid1(VALU_DEP_1)
	v_mul_lo_u32 v3, v5, s4
	v_sub_nc_u32_e32 v3, v4, v3
	s_delay_alu instid0(VALU_DEP_1)
	v_mul_lo_u32 v3, v3, s2
	s_cbranch_scc1 .LBB77_68
; %bb.67:
	s_clause 0x1
	s_load_b128 s[4:7], s[0:1], 0x10
	s_load_b32 s2, s[0:1], 0xc8
	s_waitcnt lgkmcnt(0)
	v_mul_hi_u32 v4, s5, v5
	s_delay_alu instid0(VALU_DEP_1) | instskip(NEXT) | instid1(VALU_DEP_1)
	v_add_nc_u32_e32 v4, v5, v4
	v_lshrrev_b32_e32 v4, s6, v4
	s_delay_alu instid0(VALU_DEP_1) | instskip(NEXT) | instid1(VALU_DEP_1)
	v_mul_lo_u32 v4, v4, s4
	v_sub_nc_u32_e32 v6, v5, v4
	s_delay_alu instid0(VALU_DEP_1) | instskip(NEXT) | instid1(VALU_DEP_1)
	v_mad_u64_u32 v[4:5], null, v6, s2, v[3:4]
	v_mov_b32_e32 v3, v4
.LBB77_68:
	s_clause 0x1
	s_load_b32 s2, s[0:1], 0x110
	s_load_b64 s[0:1], s[0:1], 0x108
	s_waitcnt lgkmcnt(0)
	v_mov_b32_e32 v4, s2
	s_clause 0x3
	global_store_b32 v0, v4, s[0:1]
	global_store_b32 v1, v4, s[0:1]
	;; [unrolled: 1-line block ×4, first 2 shown]
	s_nop 0
	s_sendmsg sendmsg(MSG_DEALLOC_VGPRS)
	s_endpgm
.LBB77_69:
	v_mov_b32_e32 v1, v2
.LBB77_70:
	s_and_b32 s29, s29, 3
	s_delay_alu instid0(SALU_CYCLE_1)
	s_cmp_eq_u32 s29, 0
	s_cbranch_scc1 .LBB77_73
; %bb.71:
	s_lshl_b32 s14, s28, 2
	s_mul_i32 s16, s28, 12
	s_add_u32 s14, s14, s0
	s_addc_u32 s15, s1, 0
	s_add_u32 s14, s14, 0xc4
	s_addc_u32 s15, s15, 0
	;; [unrolled: 2-line block ×3, first 2 shown]
	.p2align	6
.LBB77_72:                              ; =>This Inner Loop Header: Depth=1
	s_clause 0x1
	s_load_b64 s[30:31], s[16:17], 0x4
	s_load_b32 s28, s[16:17], 0xc
	s_add_u32 s16, s16, 12
	s_addc_u32 s17, s17, 0
	s_waitcnt lgkmcnt(0)
	v_mul_hi_u32 v3, s31, v1
	s_load_b32 s31, s[14:15], 0x0
	s_add_u32 s14, s14, 4
	s_addc_u32 s15, s15, 0
	s_add_i32 s29, s29, -1
	s_delay_alu instid0(SALU_CYCLE_1) | instskip(NEXT) | instid1(VALU_DEP_1)
	s_cmp_lg_u32 s29, 0
	v_add_nc_u32_e32 v3, v1, v3
	s_delay_alu instid0(VALU_DEP_1) | instskip(NEXT) | instid1(VALU_DEP_1)
	v_lshrrev_b32_e32 v5, s28, v3
	v_mul_lo_u32 v3, v5, s30
	s_delay_alu instid0(VALU_DEP_1) | instskip(SKIP_1) | instid1(VALU_DEP_1)
	v_sub_nc_u32_e32 v1, v1, v3
	s_waitcnt lgkmcnt(0)
	v_mad_u64_u32 v[3:4], null, v1, s31, v[0:1]
	s_delay_alu instid0(VALU_DEP_1)
	v_dual_mov_b32 v1, v5 :: v_dual_mov_b32 v0, v3
	s_cbranch_scc1 .LBB77_72
.LBB77_73:
	s_cbranch_execnz .LBB77_76
.LBB77_74:
	s_waitcnt lgkmcnt(0)
	v_mul_hi_u32 v0, s5, v2
	s_and_not1_b32 vcc_lo, exec_lo, s23
	s_delay_alu instid0(VALU_DEP_1) | instskip(NEXT) | instid1(VALU_DEP_1)
	v_add_nc_u32_e32 v0, v2, v0
	v_lshrrev_b32_e32 v1, s6, v0
	s_delay_alu instid0(VALU_DEP_1) | instskip(NEXT) | instid1(VALU_DEP_1)
	v_mul_lo_u32 v0, v1, s4
	v_sub_nc_u32_e32 v0, v2, v0
	s_delay_alu instid0(VALU_DEP_1)
	v_mul_lo_u32 v0, v0, s8
	s_cbranch_vccnz .LBB77_76
; %bb.75:
	v_mul_hi_u32 v3, s10, v1
	s_delay_alu instid0(VALU_DEP_1) | instskip(NEXT) | instid1(VALU_DEP_1)
	v_add_nc_u32_e32 v3, v1, v3
	v_lshrrev_b32_e32 v3, s11, v3
	s_delay_alu instid0(VALU_DEP_1) | instskip(NEXT) | instid1(VALU_DEP_1)
	v_mul_lo_u32 v3, v3, s7
	v_sub_nc_u32_e32 v1, v1, v3
	s_delay_alu instid0(VALU_DEP_1) | instskip(NEXT) | instid1(VALU_DEP_1)
	v_mad_u64_u32 v[3:4], null, v1, s9, v[0:1]
	v_mov_b32_e32 v0, v3
.LBB77_76:
	s_waitcnt lgkmcnt(0)
	v_dual_mov_b32 v1, s22 :: v_dual_add_nc_u32 v2, 0x80, v2
	global_store_b32 v0, v1, s[2:3]
	s_or_b32 exec_lo, exec_lo, s27
	s_delay_alu instid0(SALU_CYCLE_1)
	s_mov_b32 s27, exec_lo
	v_cmpx_gt_i32_e64 s24, v2
	s_cbranch_execnz .LBB77_15
.LBB77_77:
	s_or_b32 exec_lo, exec_lo, s27
	s_delay_alu instid0(SALU_CYCLE_1)
	s_mov_b32 s27, exec_lo
	v_cmpx_gt_i32_e64 s24, v2
	s_cbranch_execz .LBB77_92
.LBB77_78:
	s_and_not1_b32 vcc_lo, exec_lo, s20
	s_cbranch_vccnz .LBB77_83
; %bb.79:
	v_mov_b32_e32 v0, 0
	s_and_not1_b32 vcc_lo, exec_lo, s26
	s_cbranch_vccnz .LBB77_99
; %bb.80:
	s_add_i32 s29, s25, 1
	s_cmp_eq_u32 s19, 2
	s_mov_b32 s28, 0
	s_cbranch_scc1 .LBB77_95
; %bb.81:
	v_dual_mov_b32 v0, 0 :: v_dual_mov_b32 v1, v2
	s_and_b32 s28, s29, 28
	s_mov_b32 s30, 0
	s_mov_b64 s[14:15], s[0:1]
	s_mov_b64 s[16:17], s[12:13]
.LBB77_82:                              ; =>This Inner Loop Header: Depth=1
	s_clause 0x1
	s_load_b256 s[36:43], s[14:15], 0x4
	s_load_b128 s[44:47], s[14:15], 0x24
	s_load_b128 s[48:51], s[16:17], 0x0
	s_add_u32 s14, s14, 48
	s_addc_u32 s15, s15, 0
	s_add_i32 s30, s30, 4
	s_add_u32 s16, s16, 16
	s_addc_u32 s17, s17, 0
	s_cmp_eq_u32 s28, s30
	s_waitcnt lgkmcnt(0)
	v_mul_hi_u32 v3, s37, v1
	s_delay_alu instid0(VALU_DEP_1) | instskip(NEXT) | instid1(VALU_DEP_1)
	v_add_nc_u32_e32 v3, v1, v3
	v_lshrrev_b32_e32 v3, s38, v3
	s_delay_alu instid0(VALU_DEP_1) | instskip(SKIP_1) | instid1(VALU_DEP_2)
	v_mul_hi_u32 v4, s40, v3
	v_mul_lo_u32 v7, v3, s36
	v_add_nc_u32_e32 v4, v3, v4
	s_delay_alu instid0(VALU_DEP_2) | instskip(NEXT) | instid1(VALU_DEP_2)
	v_sub_nc_u32_e32 v7, v1, v7
	v_lshrrev_b32_e32 v4, s41, v4
	s_delay_alu instid0(VALU_DEP_2) | instskip(NEXT) | instid1(VALU_DEP_2)
	v_mul_lo_u32 v7, v7, s48
	v_mul_hi_u32 v5, s43, v4
	v_mul_lo_u32 v8, v4, s39
	s_delay_alu instid0(VALU_DEP_2) | instskip(NEXT) | instid1(VALU_DEP_2)
	v_add_nc_u32_e32 v5, v4, v5
	v_sub_nc_u32_e32 v3, v3, v8
	s_delay_alu instid0(VALU_DEP_2) | instskip(NEXT) | instid1(VALU_DEP_2)
	v_lshrrev_b32_e32 v5, s44, v5
	v_mul_lo_u32 v3, v3, s49
	s_delay_alu instid0(VALU_DEP_2) | instskip(NEXT) | instid1(VALU_DEP_2)
	v_mul_hi_u32 v6, s46, v5
	v_add3_u32 v0, v7, v0, v3
	s_delay_alu instid0(VALU_DEP_2) | instskip(NEXT) | instid1(VALU_DEP_1)
	v_add_nc_u32_e32 v6, v5, v6
	v_lshrrev_b32_e32 v1, s47, v6
	v_mul_lo_u32 v6, v5, s42
	s_delay_alu instid0(VALU_DEP_2) | instskip(NEXT) | instid1(VALU_DEP_2)
	v_mul_lo_u32 v9, v1, s45
	v_sub_nc_u32_e32 v4, v4, v6
	s_delay_alu instid0(VALU_DEP_2) | instskip(NEXT) | instid1(VALU_DEP_2)
	v_sub_nc_u32_e32 v5, v5, v9
	v_mul_lo_u32 v4, v4, s50
	s_delay_alu instid0(VALU_DEP_2) | instskip(NEXT) | instid1(VALU_DEP_1)
	v_mul_lo_u32 v5, v5, s51
	v_add3_u32 v0, v4, v0, v5
	s_cbranch_scc0 .LBB77_82
	s_branch .LBB77_96
.LBB77_83:
                                        ; implicit-def: $vgpr0
	s_branch .LBB77_100
.LBB77_84:
	v_mov_b32_e32 v1, v2
.LBB77_85:
	s_and_b32 s29, s29, 3
	s_delay_alu instid0(SALU_CYCLE_1)
	s_cmp_eq_u32 s29, 0
	s_cbranch_scc1 .LBB77_88
; %bb.86:
	s_lshl_b32 s14, s28, 2
	s_mul_i32 s16, s28, 12
	s_add_u32 s14, s14, s0
	s_addc_u32 s15, s1, 0
	s_add_u32 s14, s14, 0xc4
	s_addc_u32 s15, s15, 0
	;; [unrolled: 2-line block ×3, first 2 shown]
	.p2align	6
.LBB77_87:                              ; =>This Inner Loop Header: Depth=1
	s_clause 0x1
	s_load_b64 s[30:31], s[16:17], 0x4
	s_load_b32 s28, s[16:17], 0xc
	s_add_u32 s16, s16, 12
	s_addc_u32 s17, s17, 0
	s_waitcnt lgkmcnt(0)
	v_mul_hi_u32 v3, s31, v1
	s_load_b32 s31, s[14:15], 0x0
	s_add_u32 s14, s14, 4
	s_addc_u32 s15, s15, 0
	s_add_i32 s29, s29, -1
	s_delay_alu instid0(SALU_CYCLE_1) | instskip(NEXT) | instid1(VALU_DEP_1)
	s_cmp_lg_u32 s29, 0
	v_add_nc_u32_e32 v3, v1, v3
	s_delay_alu instid0(VALU_DEP_1) | instskip(NEXT) | instid1(VALU_DEP_1)
	v_lshrrev_b32_e32 v5, s28, v3
	v_mul_lo_u32 v3, v5, s30
	s_delay_alu instid0(VALU_DEP_1) | instskip(SKIP_1) | instid1(VALU_DEP_1)
	v_sub_nc_u32_e32 v1, v1, v3
	s_waitcnt lgkmcnt(0)
	v_mad_u64_u32 v[3:4], null, v1, s31, v[0:1]
	s_delay_alu instid0(VALU_DEP_1)
	v_dual_mov_b32 v1, v5 :: v_dual_mov_b32 v0, v3
	s_cbranch_scc1 .LBB77_87
.LBB77_88:
	s_cbranch_execnz .LBB77_91
.LBB77_89:
	s_waitcnt lgkmcnt(0)
	v_mul_hi_u32 v0, s5, v2
	s_and_not1_b32 vcc_lo, exec_lo, s23
	s_delay_alu instid0(VALU_DEP_1) | instskip(NEXT) | instid1(VALU_DEP_1)
	v_add_nc_u32_e32 v0, v2, v0
	v_lshrrev_b32_e32 v1, s6, v0
	s_delay_alu instid0(VALU_DEP_1) | instskip(NEXT) | instid1(VALU_DEP_1)
	v_mul_lo_u32 v0, v1, s4
	v_sub_nc_u32_e32 v0, v2, v0
	s_delay_alu instid0(VALU_DEP_1)
	v_mul_lo_u32 v0, v0, s8
	s_cbranch_vccnz .LBB77_91
; %bb.90:
	v_mul_hi_u32 v3, s10, v1
	s_delay_alu instid0(VALU_DEP_1) | instskip(NEXT) | instid1(VALU_DEP_1)
	v_add_nc_u32_e32 v3, v1, v3
	v_lshrrev_b32_e32 v3, s11, v3
	s_delay_alu instid0(VALU_DEP_1) | instskip(NEXT) | instid1(VALU_DEP_1)
	v_mul_lo_u32 v3, v3, s7
	v_sub_nc_u32_e32 v1, v1, v3
	s_delay_alu instid0(VALU_DEP_1) | instskip(NEXT) | instid1(VALU_DEP_1)
	v_mad_u64_u32 v[3:4], null, v1, s9, v[0:1]
	v_mov_b32_e32 v0, v3
.LBB77_91:
	s_waitcnt lgkmcnt(0)
	v_dual_mov_b32 v1, s22 :: v_dual_add_nc_u32 v2, 0x80, v2
	global_store_b32 v0, v1, s[2:3]
	s_or_b32 exec_lo, exec_lo, s27
	s_delay_alu instid0(SALU_CYCLE_1)
	s_mov_b32 s27, exec_lo
	v_cmpx_gt_i32_e64 s24, v2
	s_cbranch_execnz .LBB77_78
.LBB77_92:
	s_or_b32 exec_lo, exec_lo, s27
	s_delay_alu instid0(SALU_CYCLE_1)
	s_mov_b32 s16, exec_lo
	v_cmpx_gt_i32_e64 s24, v2
	s_cbranch_execnz .LBB77_103
.LBB77_93:
	s_or_b32 exec_lo, exec_lo, s16
                                        ; implicit-def: $vgpr4
                                        ; implicit-def: $vgpr2
	s_waitcnt lgkmcnt(0)
	s_and_not1_saveexec_b32 s2, s21
	s_cbranch_execnz .LBB77_8
.LBB77_94:
	s_nop 0
	s_sendmsg sendmsg(MSG_DEALLOC_VGPRS)
	s_endpgm
.LBB77_95:
	v_mov_b32_e32 v1, v2
.LBB77_96:
	s_and_b32 s29, s29, 3
	s_delay_alu instid0(SALU_CYCLE_1)
	s_cmp_eq_u32 s29, 0
	s_cbranch_scc1 .LBB77_99
; %bb.97:
	s_lshl_b32 s14, s28, 2
	s_mul_i32 s16, s28, 12
	s_add_u32 s14, s14, s0
	s_addc_u32 s15, s1, 0
	s_add_u32 s14, s14, 0xc4
	s_addc_u32 s15, s15, 0
	;; [unrolled: 2-line block ×3, first 2 shown]
	.p2align	6
.LBB77_98:                              ; =>This Inner Loop Header: Depth=1
	s_clause 0x1
	s_load_b64 s[30:31], s[16:17], 0x4
	s_load_b32 s28, s[16:17], 0xc
	s_add_u32 s16, s16, 12
	s_addc_u32 s17, s17, 0
	s_waitcnt lgkmcnt(0)
	v_mul_hi_u32 v3, s31, v1
	s_load_b32 s31, s[14:15], 0x0
	s_add_u32 s14, s14, 4
	s_addc_u32 s15, s15, 0
	s_add_i32 s29, s29, -1
	s_delay_alu instid0(SALU_CYCLE_1) | instskip(NEXT) | instid1(VALU_DEP_1)
	s_cmp_lg_u32 s29, 0
	v_add_nc_u32_e32 v3, v1, v3
	s_delay_alu instid0(VALU_DEP_1) | instskip(NEXT) | instid1(VALU_DEP_1)
	v_lshrrev_b32_e32 v5, s28, v3
	v_mul_lo_u32 v3, v5, s30
	s_delay_alu instid0(VALU_DEP_1) | instskip(SKIP_1) | instid1(VALU_DEP_1)
	v_sub_nc_u32_e32 v1, v1, v3
	s_waitcnt lgkmcnt(0)
	v_mad_u64_u32 v[3:4], null, v1, s31, v[0:1]
	s_delay_alu instid0(VALU_DEP_1)
	v_dual_mov_b32 v1, v5 :: v_dual_mov_b32 v0, v3
	s_cbranch_scc1 .LBB77_98
.LBB77_99:
	s_cbranch_execnz .LBB77_102
.LBB77_100:
	s_waitcnt lgkmcnt(0)
	v_mul_hi_u32 v0, s5, v2
	s_and_not1_b32 vcc_lo, exec_lo, s23
	s_delay_alu instid0(VALU_DEP_1) | instskip(NEXT) | instid1(VALU_DEP_1)
	v_add_nc_u32_e32 v0, v2, v0
	v_lshrrev_b32_e32 v1, s6, v0
	s_delay_alu instid0(VALU_DEP_1) | instskip(NEXT) | instid1(VALU_DEP_1)
	v_mul_lo_u32 v0, v1, s4
	v_sub_nc_u32_e32 v0, v2, v0
	s_delay_alu instid0(VALU_DEP_1)
	v_mul_lo_u32 v0, v0, s8
	s_cbranch_vccnz .LBB77_102
; %bb.101:
	v_mul_hi_u32 v3, s10, v1
	s_delay_alu instid0(VALU_DEP_1) | instskip(NEXT) | instid1(VALU_DEP_1)
	v_add_nc_u32_e32 v3, v1, v3
	v_lshrrev_b32_e32 v3, s11, v3
	s_delay_alu instid0(VALU_DEP_1) | instskip(NEXT) | instid1(VALU_DEP_1)
	v_mul_lo_u32 v3, v3, s7
	v_sub_nc_u32_e32 v1, v1, v3
	s_delay_alu instid0(VALU_DEP_1) | instskip(NEXT) | instid1(VALU_DEP_1)
	v_mad_u64_u32 v[3:4], null, v1, s9, v[0:1]
	v_mov_b32_e32 v0, v3
.LBB77_102:
	s_waitcnt lgkmcnt(0)
	v_dual_mov_b32 v1, s22 :: v_dual_add_nc_u32 v2, 0x80, v2
	global_store_b32 v0, v1, s[2:3]
	s_or_b32 exec_lo, exec_lo, s27
	s_delay_alu instid0(SALU_CYCLE_1)
	s_mov_b32 s16, exec_lo
	v_cmpx_gt_i32_e64 s24, v2
	s_cbranch_execz .LBB77_93
.LBB77_103:
	s_and_not1_b32 vcc_lo, exec_lo, s20
	s_cbranch_vccnz .LBB77_108
; %bb.104:
	v_mov_b32_e32 v0, 0
	s_and_not1_b32 vcc_lo, exec_lo, s26
	s_cbranch_vccnz .LBB77_113
; %bb.105:
	s_add_i32 s25, s25, 1
	s_cmp_eq_u32 s19, 2
	s_mov_b32 s17, 0
	s_cbranch_scc1 .LBB77_109
; %bb.106:
	v_dual_mov_b32 v0, 0 :: v_dual_mov_b32 v1, v2
	s_and_b32 s17, s25, 28
	s_mov_b32 s24, 0
	s_mov_b64 s[14:15], s[0:1]
.LBB77_107:                             ; =>This Inner Loop Header: Depth=1
	s_clause 0x1
	s_load_b256 s[36:43], s[14:15], 0x4
	s_load_b128 s[28:31], s[14:15], 0x24
	s_load_b128 s[44:47], s[12:13], 0x0
	s_add_u32 s14, s14, 48
	s_addc_u32 s15, s15, 0
	s_add_i32 s24, s24, 4
	s_add_u32 s12, s12, 16
	s_addc_u32 s13, s13, 0
	s_cmp_eq_u32 s17, s24
	s_waitcnt lgkmcnt(0)
	v_mul_hi_u32 v3, s37, v1
	s_delay_alu instid0(VALU_DEP_1) | instskip(NEXT) | instid1(VALU_DEP_1)
	v_add_nc_u32_e32 v3, v1, v3
	v_lshrrev_b32_e32 v3, s38, v3
	s_delay_alu instid0(VALU_DEP_1) | instskip(SKIP_1) | instid1(VALU_DEP_2)
	v_mul_hi_u32 v4, s40, v3
	v_mul_lo_u32 v7, v3, s36
	v_add_nc_u32_e32 v4, v3, v4
	s_delay_alu instid0(VALU_DEP_2) | instskip(NEXT) | instid1(VALU_DEP_2)
	v_sub_nc_u32_e32 v7, v1, v7
	v_lshrrev_b32_e32 v4, s41, v4
	s_delay_alu instid0(VALU_DEP_2) | instskip(NEXT) | instid1(VALU_DEP_2)
	v_mul_lo_u32 v7, v7, s44
	v_mul_hi_u32 v5, s43, v4
	v_mul_lo_u32 v8, v4, s39
	s_delay_alu instid0(VALU_DEP_2) | instskip(NEXT) | instid1(VALU_DEP_2)
	v_add_nc_u32_e32 v5, v4, v5
	v_sub_nc_u32_e32 v3, v3, v8
	s_delay_alu instid0(VALU_DEP_2) | instskip(NEXT) | instid1(VALU_DEP_2)
	v_lshrrev_b32_e32 v5, s28, v5
	v_mul_lo_u32 v3, v3, s45
	s_delay_alu instid0(VALU_DEP_2) | instskip(NEXT) | instid1(VALU_DEP_2)
	v_mul_hi_u32 v6, s30, v5
	v_add3_u32 v0, v7, v0, v3
	s_delay_alu instid0(VALU_DEP_2) | instskip(NEXT) | instid1(VALU_DEP_1)
	v_add_nc_u32_e32 v6, v5, v6
	v_lshrrev_b32_e32 v1, s31, v6
	v_mul_lo_u32 v6, v5, s42
	s_delay_alu instid0(VALU_DEP_2) | instskip(NEXT) | instid1(VALU_DEP_2)
	v_mul_lo_u32 v9, v1, s29
	v_sub_nc_u32_e32 v4, v4, v6
	s_delay_alu instid0(VALU_DEP_2) | instskip(NEXT) | instid1(VALU_DEP_2)
	v_sub_nc_u32_e32 v5, v5, v9
	v_mul_lo_u32 v4, v4, s46
	s_delay_alu instid0(VALU_DEP_2) | instskip(NEXT) | instid1(VALU_DEP_1)
	v_mul_lo_u32 v5, v5, s47
	v_add3_u32 v0, v4, v0, v5
	s_cbranch_scc0 .LBB77_107
	s_branch .LBB77_110
.LBB77_108:
                                        ; implicit-def: $vgpr0
	s_branch .LBB77_114
.LBB77_109:
	v_mov_b32_e32 v1, v2
.LBB77_110:
	s_and_b32 s24, s25, 3
	s_delay_alu instid0(SALU_CYCLE_1)
	s_cmp_eq_u32 s24, 0
	s_cbranch_scc1 .LBB77_113
; %bb.111:
	s_lshl_b32 s12, s17, 2
	s_mul_i32 s14, s17, 12
	s_add_u32 s12, s12, s0
	s_addc_u32 s13, s1, 0
	s_add_u32 s12, s12, 0xc4
	s_addc_u32 s13, s13, 0
	;; [unrolled: 2-line block ×3, first 2 shown]
	.p2align	6
.LBB77_112:                             ; =>This Inner Loop Header: Depth=1
	s_clause 0x1
	s_load_b64 s[26:27], s[14:15], 0x4
	s_load_b32 s17, s[14:15], 0xc
	s_load_b32 s25, s[12:13], 0x0
	s_add_u32 s14, s14, 12
	s_addc_u32 s15, s15, 0
	s_add_u32 s12, s12, 4
	s_addc_u32 s13, s13, 0
	s_add_i32 s24, s24, -1
	s_delay_alu instid0(SALU_CYCLE_1) | instskip(SKIP_2) | instid1(VALU_DEP_1)
	s_cmp_lg_u32 s24, 0
	s_waitcnt lgkmcnt(0)
	v_mul_hi_u32 v3, s27, v1
	v_add_nc_u32_e32 v3, v1, v3
	s_delay_alu instid0(VALU_DEP_1) | instskip(NEXT) | instid1(VALU_DEP_1)
	v_lshrrev_b32_e32 v5, s17, v3
	v_mul_lo_u32 v3, v5, s26
	s_delay_alu instid0(VALU_DEP_1) | instskip(NEXT) | instid1(VALU_DEP_1)
	v_sub_nc_u32_e32 v1, v1, v3
	v_mad_u64_u32 v[3:4], null, v1, s25, v[0:1]
	s_delay_alu instid0(VALU_DEP_1)
	v_dual_mov_b32 v1, v5 :: v_dual_mov_b32 v0, v3
	s_cbranch_scc1 .LBB77_112
.LBB77_113:
	s_cbranch_execnz .LBB77_116
.LBB77_114:
	s_waitcnt lgkmcnt(0)
	v_mul_hi_u32 v0, s5, v2
	s_and_not1_b32 vcc_lo, exec_lo, s23
	s_delay_alu instid0(VALU_DEP_1) | instskip(NEXT) | instid1(VALU_DEP_1)
	v_add_nc_u32_e32 v0, v2, v0
	v_lshrrev_b32_e32 v1, s6, v0
	s_delay_alu instid0(VALU_DEP_1) | instskip(NEXT) | instid1(VALU_DEP_1)
	v_mul_lo_u32 v0, v1, s4
	v_sub_nc_u32_e32 v0, v2, v0
	s_delay_alu instid0(VALU_DEP_1)
	v_mul_lo_u32 v0, v0, s8
	s_cbranch_vccnz .LBB77_116
; %bb.115:
	v_mul_hi_u32 v2, s10, v1
	s_delay_alu instid0(VALU_DEP_1) | instskip(NEXT) | instid1(VALU_DEP_1)
	v_add_nc_u32_e32 v2, v1, v2
	v_lshrrev_b32_e32 v2, s11, v2
	s_delay_alu instid0(VALU_DEP_1) | instskip(NEXT) | instid1(VALU_DEP_1)
	v_mul_lo_u32 v2, v2, s7
	v_sub_nc_u32_e32 v3, v1, v2
	s_delay_alu instid0(VALU_DEP_1) | instskip(NEXT) | instid1(VALU_DEP_1)
	v_mad_u64_u32 v[1:2], null, v3, s9, v[0:1]
	v_mov_b32_e32 v0, v1
.LBB77_116:
	s_waitcnt lgkmcnt(0)
	v_mov_b32_e32 v1, s22
	global_store_b32 v0, v1, s[2:3]
	s_or_b32 exec_lo, exec_lo, s16
                                        ; implicit-def: $vgpr4
                                        ; implicit-def: $vgpr2
	s_and_not1_saveexec_b32 s2, s21
	s_cbranch_execz .LBB77_94
	s_branch .LBB77_8
	.section	.rodata,"a",@progbits
	.p2align	6, 0x0
	.amdhsa_kernel _ZN2at6native32elementwise_kernel_manual_unrollILi128ELi4EZNS0_22gpu_kernel_impl_nocastINS0_11FillFunctorIN3c107complexINS4_4HalfEEEEEEEvRNS_18TensorIteratorBaseERKT_EUlibE_EEviT1_
		.amdhsa_group_segment_fixed_size 0
		.amdhsa_private_segment_fixed_size 0
		.amdhsa_kernarg_size 288
		.amdhsa_user_sgpr_count 15
		.amdhsa_user_sgpr_dispatch_ptr 0
		.amdhsa_user_sgpr_queue_ptr 0
		.amdhsa_user_sgpr_kernarg_segment_ptr 1
		.amdhsa_user_sgpr_dispatch_id 0
		.amdhsa_user_sgpr_private_segment_size 0
		.amdhsa_wavefront_size32 1
		.amdhsa_uses_dynamic_stack 0
		.amdhsa_enable_private_segment 0
		.amdhsa_system_sgpr_workgroup_id_x 1
		.amdhsa_system_sgpr_workgroup_id_y 0
		.amdhsa_system_sgpr_workgroup_id_z 0
		.amdhsa_system_sgpr_workgroup_info 0
		.amdhsa_system_vgpr_workitem_id 0
		.amdhsa_next_free_vgpr 14
		.amdhsa_next_free_sgpr 52
		.amdhsa_reserve_vcc 1
		.amdhsa_float_round_mode_32 0
		.amdhsa_float_round_mode_16_64 0
		.amdhsa_float_denorm_mode_32 3
		.amdhsa_float_denorm_mode_16_64 3
		.amdhsa_dx10_clamp 1
		.amdhsa_ieee_mode 1
		.amdhsa_fp16_overflow 0
		.amdhsa_workgroup_processor_mode 1
		.amdhsa_memory_ordered 1
		.amdhsa_forward_progress 0
		.amdhsa_shared_vgpr_count 0
		.amdhsa_exception_fp_ieee_invalid_op 0
		.amdhsa_exception_fp_denorm_src 0
		.amdhsa_exception_fp_ieee_div_zero 0
		.amdhsa_exception_fp_ieee_overflow 0
		.amdhsa_exception_fp_ieee_underflow 0
		.amdhsa_exception_fp_ieee_inexact 0
		.amdhsa_exception_int_div_zero 0
	.end_amdhsa_kernel
	.section	.text._ZN2at6native32elementwise_kernel_manual_unrollILi128ELi4EZNS0_22gpu_kernel_impl_nocastINS0_11FillFunctorIN3c107complexINS4_4HalfEEEEEEEvRNS_18TensorIteratorBaseERKT_EUlibE_EEviT1_,"axG",@progbits,_ZN2at6native32elementwise_kernel_manual_unrollILi128ELi4EZNS0_22gpu_kernel_impl_nocastINS0_11FillFunctorIN3c107complexINS4_4HalfEEEEEEEvRNS_18TensorIteratorBaseERKT_EUlibE_EEviT1_,comdat
.Lfunc_end77:
	.size	_ZN2at6native32elementwise_kernel_manual_unrollILi128ELi4EZNS0_22gpu_kernel_impl_nocastINS0_11FillFunctorIN3c107complexINS4_4HalfEEEEEEEvRNS_18TensorIteratorBaseERKT_EUlibE_EEviT1_, .Lfunc_end77-_ZN2at6native32elementwise_kernel_manual_unrollILi128ELi4EZNS0_22gpu_kernel_impl_nocastINS0_11FillFunctorIN3c107complexINS4_4HalfEEEEEEEvRNS_18TensorIteratorBaseERKT_EUlibE_EEviT1_
                                        ; -- End function
	.section	.AMDGPU.csdata,"",@progbits
; Kernel info:
; codeLenInByte = 5924
; NumSgprs: 54
; NumVgprs: 14
; ScratchSize: 0
; MemoryBound: 0
; FloatMode: 240
; IeeeMode: 1
; LDSByteSize: 0 bytes/workgroup (compile time only)
; SGPRBlocks: 6
; VGPRBlocks: 1
; NumSGPRsForWavesPerEU: 54
; NumVGPRsForWavesPerEU: 14
; Occupancy: 16
; WaveLimiterHint : 1
; COMPUTE_PGM_RSRC2:SCRATCH_EN: 0
; COMPUTE_PGM_RSRC2:USER_SGPR: 15
; COMPUTE_PGM_RSRC2:TRAP_HANDLER: 0
; COMPUTE_PGM_RSRC2:TGID_X_EN: 1
; COMPUTE_PGM_RSRC2:TGID_Y_EN: 0
; COMPUTE_PGM_RSRC2:TGID_Z_EN: 0
; COMPUTE_PGM_RSRC2:TIDIG_COMP_CNT: 0
	.section	.text._ZN2at6native32elementwise_kernel_manual_unrollILi128ELi4EZNS0_15gpu_kernel_implINS0_11FillFunctorIN3c107complexINS4_4HalfEEEEEEEvRNS_18TensorIteratorBaseERKT_EUlibE_EEviT1_,"axG",@progbits,_ZN2at6native32elementwise_kernel_manual_unrollILi128ELi4EZNS0_15gpu_kernel_implINS0_11FillFunctorIN3c107complexINS4_4HalfEEEEEEEvRNS_18TensorIteratorBaseERKT_EUlibE_EEviT1_,comdat
	.protected	_ZN2at6native32elementwise_kernel_manual_unrollILi128ELi4EZNS0_15gpu_kernel_implINS0_11FillFunctorIN3c107complexINS4_4HalfEEEEEEEvRNS_18TensorIteratorBaseERKT_EUlibE_EEviT1_ ; -- Begin function _ZN2at6native32elementwise_kernel_manual_unrollILi128ELi4EZNS0_15gpu_kernel_implINS0_11FillFunctorIN3c107complexINS4_4HalfEEEEEEEvRNS_18TensorIteratorBaseERKT_EUlibE_EEviT1_
	.globl	_ZN2at6native32elementwise_kernel_manual_unrollILi128ELi4EZNS0_15gpu_kernel_implINS0_11FillFunctorIN3c107complexINS4_4HalfEEEEEEEvRNS_18TensorIteratorBaseERKT_EUlibE_EEviT1_
	.p2align	8
	.type	_ZN2at6native32elementwise_kernel_manual_unrollILi128ELi4EZNS0_15gpu_kernel_implINS0_11FillFunctorIN3c107complexINS4_4HalfEEEEEEEvRNS_18TensorIteratorBaseERKT_EUlibE_EEviT1_,@function
_ZN2at6native32elementwise_kernel_manual_unrollILi128ELi4EZNS0_15gpu_kernel_implINS0_11FillFunctorIN3c107complexINS4_4HalfEEEEEEEvRNS_18TensorIteratorBaseERKT_EUlibE_EEviT1_: ; @_ZN2at6native32elementwise_kernel_manual_unrollILi128ELi4EZNS0_15gpu_kernel_implINS0_11FillFunctorIN3c107complexINS4_4HalfEEEEEEEvRNS_18TensorIteratorBaseERKT_EUlibE_EEviT1_
; %bb.0:
	s_clause 0x2
	s_load_b32 s27, s[0:1], 0x0
	s_load_b128 s[4:7], s[0:1], 0x8
	s_load_b32 s8, s[0:1], 0x18
	v_lshl_or_b32 v19, s15, 9, v0
	s_mov_b32 s3, 0
	s_mov_b32 s1, 0
	s_mov_b32 s0, exec_lo
	s_delay_alu instid0(VALU_DEP_1) | instskip(SKIP_1) | instid1(VALU_DEP_1)
	v_or_b32_e32 v0, 0x180, v19
	s_waitcnt lgkmcnt(0)
	v_cmpx_le_i32_e64 s27, v0
	s_xor_b32 s2, exec_lo, s0
	s_cbranch_execz .LBB78_151
; %bb.1:
	v_cvt_f32_f16_e32 v6, s7
	s_movk_i32 s18, 0x7f
	v_cvt_u16_f16_e32 v18, s7
	s_mov_b32 s30, 0
	s_mov_b32 s31, -1
	v_bfe_u32 v4, v6, 23, 8
	v_dual_mov_b32 v9, 0 :: v_dual_and_b32 v0, 0x3fffff, v6
	v_and_b32_e32 v1, 0x400000, v6
	v_readfirstlane_b32 s1, v6
	v_add_f32_e64 v17, 0x46000000, |v6|
	s_delay_alu instid0(VALU_DEP_4)
	v_or_b32_e32 v0, v4, v0
	v_add_f32_e64 v15, 0x42800000, |v6|
	v_cmp_ne_u32_e32 vcc_lo, 0, v1
	s_and_b32 s13, s1, 0x7fffffff
	v_readfirstlane_b32 s9, v17
	v_cmp_ne_u32_e64 s0, 0, v0
	v_bfe_u32 v5, v6, 16, 1
	v_cvt_f64_f32_e32 v[0:1], v6
	v_lshrrev_b32_e32 v11, 23, v6
	v_lshrrev_b32_e32 v13, 24, v6
	s_and_b32 s0, vcc_lo, s0
	s_cmp_lt_u32 s13, 0x43800000
	v_add_nc_u32_e32 v5, v6, v5
	s_cselect_b32 s25, -1, 0
	s_cmp_gt_u32 s13, 0x3bffffff
	v_cmp_o_f16_e64 vcc_lo, s7, s7
	s_cselect_b32 s22, -1, 0
	s_bfe_u32 s10, s1, 0x10014
	s_and_b32 s9, s9, 0xff
	s_add_i32 s10, s1, s10
	v_add_nc_u32_e32 v5, 0x7fff, v5
	s_add_i32 s11, s10, 0x487ffff
	v_cndmask_b32_e64 v12, 0, 1, s0
	s_lshr_b32 s23, s11, 20
	s_cmp_lg_u32 s9, 0
	v_readfirstlane_b32 s11, v15
	s_cselect_b32 s26, -1, 0
	s_cmp_gt_u32 s13, 0x477fffff
	v_lshrrev_b32_e32 v5, 16, v5
	s_cselect_b32 s9, -1, 0
	s_cmp_lt_u32 s13, 0x47800000
	v_cmp_eq_u32_e64 s0, 0xff, v4
	s_cselect_b32 s19, -1, 0
	s_cmp_gt_u32 s13, 0x37ffffff
	v_cndmask_b32_e32 v14, 0x7fc0, v5, vcc_lo
	s_cselect_b32 s16, -1, 0
	s_bfe_u32 s12, s1, 0x10015
	s_and_b32 s11, s11, 0xff
	s_add_i32 s1, s1, s12
	v_add_nc_u32_e32 v20, v11, v12
	s_add_i32 s12, s1, 0x88fffff
	v_add_f32_e64 v11, 0x43000000, |v6|
	s_lshr_b32 s17, s12, 21
	s_cmp_lg_u32 s11, 0
	v_cvt_u32_f32_e32 v8, v6
	s_cselect_b32 s20, -1, 0
	s_cmp_gt_u32 s13, 0x43efffff
	v_and_b32_e32 v16, 0x80, v13
	s_cselect_b32 s12, -1, 0
	s_cmp_lt_u32 s13, 0x3c800000
	v_cvt_i16_f16_e32 v12, s7
	s_cselect_b32 s14, -1, 0
	s_add_i32 s10, s10, 0x407ffff
	s_mov_b32 s28, 0
	s_and_b32 s11, s10, 0xff00000
	s_lshr_b32 s10, s10, 20
	s_cmp_lg_u32 s11, 0x7f00000
	s_mov_b32 s29, exec_lo
	s_cselect_b32 s15, s10, 0x7e
	s_cmp_lt_u32 s13, 0x38800000
	s_cselect_b32 s10, -1, 0
	s_add_i32 s1, s1, 0x80fffff
	s_delay_alu instid0(SALU_CYCLE_1)
	s_lshr_b32 s11, s1, 21
	s_cmp_gt_u32 s13, 0x7f800000
	s_movk_i32 s1, 0x7c
	s_cselect_b32 s18, s18, 0x7e
	s_cselect_b32 s13, 0x7f, s1
	s_and_b32 s1, s7, 0x7fff7fff
	s_delay_alu instid0(SALU_CYCLE_1)
	s_cmp_lg_u32 s1, 0
	s_cselect_b32 s1, -1, 0
	s_lshr_b32 s21, s7, 16
	v_cndmask_b32_e64 v13, 0, 1, s1
	v_cvt_f32_f16_e32 v7, s21
	v_cmp_o_f16_e64 vcc_lo, s21, s21
	v_readfirstlane_b32 s21, v11
	s_delay_alu instid0(VALU_DEP_3) | instskip(SKIP_1) | instid1(VALU_DEP_1)
	v_cvt_f64_f32_e32 v[2:3], v7
	v_bfe_u32 v10, v7, 16, 1
	v_add_nc_u32_e32 v10, v7, v10
	s_delay_alu instid0(VALU_DEP_1) | instskip(SKIP_1) | instid1(VALU_DEP_2)
	v_add_nc_u32_e32 v4, 0x7fff, v10
	v_add_f32_e64 v10, 0x46800000, |v6|
	v_and_b32_e32 v4, 0xffff0000, v4
	s_delay_alu instid0(VALU_DEP_2) | instskip(NEXT) | instid1(VALU_DEP_2)
	v_readfirstlane_b32 s24, v10
	v_cndmask_b32_e32 v5, 0x7fc00000, v4, vcc_lo
	v_cvt_i32_f32_e32 v4, v6
	s_delay_alu instid0(VALU_DEP_2) | instskip(NEXT) | instid1(VALU_DEP_2)
	v_or_b32_e32 v21, v5, v14
	v_ashrrev_i32_e32 v5, 31, v4
	v_cmpx_gt_i32_e64 s27, v19
	s_cbranch_execz .LBB78_100
; %bb.2:
	v_mul_lo_u32 v10, v19, s6
	v_and_b32_e64 v22, 0xff, s8
	s_delay_alu instid0(VALU_DEP_1) | instskip(NEXT) | instid1(VALU_DEP_3)
	v_cmp_gt_i16_e32 vcc_lo, 11, v22
	v_ashrrev_i32_e32 v11, 31, v10
	v_add_co_u32 v10, s1, s4, v10
	s_delay_alu instid0(VALU_DEP_1)
	v_add_co_ci_u32_e64 v11, s1, s5, v11, s1
	s_cbranch_vccnz .LBB78_9
; %bb.3:
	v_cmp_lt_i16_e32 vcc_lo, 25, v22
	s_cbranch_vccz .LBB78_12
; %bb.4:
	v_cmp_lt_i16_e32 vcc_lo, 28, v22
	s_cbranch_vccz .LBB78_13
	;; [unrolled: 3-line block ×4, first 2 shown]
; %bb.7:
	v_cmp_eq_u16_e32 vcc_lo, 46, v22
	s_mov_b32 s31, 0
	s_mov_b32 s1, -1
	s_cbranch_vccz .LBB78_16
; %bb.8:
	s_mov_b32 s28, -1
	s_mov_b32 s1, 0
	global_store_b32 v[10:11], v21, off
	s_branch .LBB78_16
.LBB78_9:
	s_mov_b32 s1, 0
	s_and_b32 vcc_lo, exec_lo, s31
	s_cbranch_vccnz .LBB78_60
.LBB78_10:
	s_and_not1_b32 vcc_lo, exec_lo, s28
	s_cbranch_vccnz .LBB78_98
.LBB78_11:
	v_add_nc_u32_e32 v19, 0x80, v19
	s_mov_b32 s31, -1
	s_branch .LBB78_99
.LBB78_12:
	s_mov_b32 s1, 0
	s_and_b32 vcc_lo, exec_lo, s31
	s_cbranch_vccnz .LBB78_38
	s_branch .LBB78_59
.LBB78_13:
	s_mov_b32 s1, 0
	s_branch .LBB78_24
.LBB78_14:
	s_mov_b32 s1, 0
	s_branch .LBB78_20
.LBB78_15:
	s_mov_b32 s1, 0
.LBB78_16:
	s_and_b32 vcc_lo, exec_lo, s31
	s_cbranch_vccz .LBB78_19
; %bb.17:
	v_cmp_eq_u16_e32 vcc_lo, 44, v22
	s_mov_b32 s1, -1
	s_cbranch_vccz .LBB78_19
; %bb.18:
	v_cndmask_b32_e64 v23, v20, 0xff, s0
	s_mov_b32 s28, -1
	s_mov_b32 s1, 0
	s_mov_b32 s31, 0
	global_store_b8 v[10:11], v23, off
	s_branch .LBB78_20
.LBB78_19:
	s_mov_b32 s31, 0
.LBB78_20:
	s_delay_alu instid0(SALU_CYCLE_1)
	s_and_b32 vcc_lo, exec_lo, s31
	s_cbranch_vccz .LBB78_23
; %bb.21:
	v_cmp_eq_u16_e32 vcc_lo, 29, v22
	s_mov_b32 s1, -1
	s_cbranch_vccz .LBB78_23
; %bb.22:
	s_mov_b32 s28, -1
	s_mov_b32 s1, 0
	global_store_b64 v[10:11], v[8:9], off
.LBB78_23:
	s_mov_b32 s31, 0
.LBB78_24:
	s_delay_alu instid0(SALU_CYCLE_1)
	s_and_b32 vcc_lo, exec_lo, s31
	s_cbranch_vccz .LBB78_37
; %bb.25:
	v_cmp_gt_i16_e32 vcc_lo, 27, v22
	s_mov_b32 s28, -1
	s_cbranch_vccnz .LBB78_31
; %bb.26:
	v_cmp_lt_i16_e32 vcc_lo, 27, v22
	s_cbranch_vccz .LBB78_28
; %bb.27:
	s_mov_b32 s28, 0
	global_store_b32 v[10:11], v8, off
.LBB78_28:
	s_and_not1_b32 vcc_lo, exec_lo, s28
	s_cbranch_vccnz .LBB78_30
; %bb.29:
	global_store_b16 v[10:11], v18, off
.LBB78_30:
	s_mov_b32 s28, 0
.LBB78_31:
	s_delay_alu instid0(SALU_CYCLE_1)
	s_and_not1_b32 vcc_lo, exec_lo, s28
	s_cbranch_vccnz .LBB78_36
; %bb.32:
	v_mov_b32_e32 v23, 0x80
	s_and_not1_b32 vcc_lo, exec_lo, s25
	s_cbranch_vccnz .LBB78_35
; %bb.33:
	v_mov_b32_e32 v23, 0
	s_or_b32 s28, s22, s26
	s_delay_alu instid0(SALU_CYCLE_1)
	s_and_not1_b32 vcc_lo, exec_lo, s28
	s_cbranch_vccnz .LBB78_35
; %bb.34:
	v_cndmask_b32_e64 v23, v17, s23, s22
	s_delay_alu instid0(VALU_DEP_1)
	v_or_b32_e32 v23, v23, v16
.LBB78_35:
	global_store_b8 v[10:11], v23, off
.LBB78_36:
	s_mov_b32 s28, -1
.LBB78_37:
	s_branch .LBB78_59
.LBB78_38:
	v_cmp_lt_i16_e32 vcc_lo, 22, v22
	s_mov_b32 s31, -1
	s_cbranch_vccz .LBB78_51
; %bb.39:
	v_cmp_gt_i16_e32 vcc_lo, 24, v22
	s_mov_b32 s28, -1
	s_cbranch_vccnz .LBB78_48
; %bb.40:
	v_cmp_lt_i16_e32 vcc_lo, 24, v22
	s_cbranch_vccz .LBB78_45
; %bb.41:
	v_mov_b32_e32 v23, 0x80
	s_and_not1_b32 vcc_lo, exec_lo, s19
	s_cbranch_vccnz .LBB78_44
; %bb.42:
	v_mov_b32_e32 v23, 0
	s_or_b32 s28, s16, s20
	s_delay_alu instid0(SALU_CYCLE_1)
	s_and_not1_b32 vcc_lo, exec_lo, s28
	s_cbranch_vccnz .LBB78_44
; %bb.43:
	v_cndmask_b32_e64 v23, v15, s17, s16
	s_delay_alu instid0(VALU_DEP_1)
	v_or_b32_e32 v23, v23, v16
.LBB78_44:
	s_mov_b32 s28, 0
	global_store_b8 v[10:11], v23, off
.LBB78_45:
	s_and_b32 vcc_lo, exec_lo, s28
	s_cbranch_vccz .LBB78_47
; %bb.46:
	s_and_b32 s28, s14, exec_lo
	s_cselect_b32 s28, s24, s15
	s_and_b32 s31, s12, exec_lo
	s_cselect_b32 s28, s18, s28
	s_delay_alu instid0(SALU_CYCLE_1)
	v_or_b32_e32 v23, s28, v16
	global_store_b8 v[10:11], v23, off
.LBB78_47:
	s_mov_b32 s28, 0
.LBB78_48:
	s_delay_alu instid0(SALU_CYCLE_1)
	s_and_not1_b32 vcc_lo, exec_lo, s28
	s_cbranch_vccnz .LBB78_50
; %bb.49:
	s_and_b32 s28, s10, exec_lo
	s_cselect_b32 s28, s21, s11
	s_and_b32 s31, s9, exec_lo
	s_cselect_b32 s28, s13, s28
	s_delay_alu instid0(SALU_CYCLE_1)
	v_or_b32_e32 v23, s28, v16
	global_store_b8 v[10:11], v23, off
.LBB78_50:
	s_mov_b32 s31, 0
	s_mov_b32 s28, -1
.LBB78_51:
	s_and_not1_b32 vcc_lo, exec_lo, s31
	s_cbranch_vccnz .LBB78_59
; %bb.52:
	v_cmp_lt_i16_e32 vcc_lo, 14, v22
	s_mov_b32 s31, -1
	s_cbranch_vccz .LBB78_56
; %bb.53:
	v_cmp_eq_u16_e32 vcc_lo, 15, v22
	s_mov_b32 s1, -1
	s_cbranch_vccz .LBB78_55
; %bb.54:
	s_mov_b32 s28, -1
	s_mov_b32 s1, 0
	global_store_b16 v[10:11], v14, off
.LBB78_55:
	s_mov_b32 s31, 0
.LBB78_56:
	s_delay_alu instid0(SALU_CYCLE_1)
	s_and_b32 vcc_lo, exec_lo, s31
	s_cbranch_vccz .LBB78_59
; %bb.57:
	v_cmp_eq_u16_e32 vcc_lo, 11, v22
	s_mov_b32 s1, -1
	s_cbranch_vccz .LBB78_59
; %bb.58:
	s_mov_b32 s28, -1
	s_mov_b32 s1, 0
	global_store_b8 v[10:11], v13, off
.LBB78_59:
	s_branch .LBB78_10
.LBB78_60:
	v_cmp_gt_i16_e32 vcc_lo, 5, v22
	s_mov_b32 s28, -1
	s_cbranch_vccnz .LBB78_81
; %bb.61:
	v_cmp_gt_i16_e32 vcc_lo, 8, v22
	s_cbranch_vccnz .LBB78_71
; %bb.62:
	v_cmp_gt_i16_e32 vcc_lo, 9, v22
	s_cbranch_vccnz .LBB78_68
; %bb.63:
	v_cmp_lt_i16_e32 vcc_lo, 9, v22
	s_cbranch_vccz .LBB78_65
; %bb.64:
	s_mov_b32 s28, 0
	global_store_b128 v[10:11], v[0:3], off
.LBB78_65:
	s_and_not1_b32 vcc_lo, exec_lo, s28
	s_cbranch_vccnz .LBB78_67
; %bb.66:
	global_store_b64 v[10:11], v[6:7], off
.LBB78_67:
	s_mov_b32 s28, 0
.LBB78_68:
	s_delay_alu instid0(SALU_CYCLE_1)
	s_and_not1_b32 vcc_lo, exec_lo, s28
	s_cbranch_vccnz .LBB78_70
; %bb.69:
	v_mov_b32_e32 v23, s7
	global_store_b32 v[10:11], v23, off
.LBB78_70:
	s_mov_b32 s28, 0
.LBB78_71:
	s_delay_alu instid0(SALU_CYCLE_1)
	s_and_not1_b32 vcc_lo, exec_lo, s28
	s_cbranch_vccnz .LBB78_80
; %bb.72:
	v_cmp_gt_i16_e32 vcc_lo, 6, v22
	s_mov_b32 s28, -1
	s_cbranch_vccnz .LBB78_78
; %bb.73:
	v_cmp_lt_i16_e32 vcc_lo, 6, v22
	s_cbranch_vccz .LBB78_75
; %bb.74:
	s_mov_b32 s28, 0
	global_store_b64 v[10:11], v[0:1], off
.LBB78_75:
	s_and_not1_b32 vcc_lo, exec_lo, s28
	s_cbranch_vccnz .LBB78_77
; %bb.76:
	global_store_b32 v[10:11], v6, off
.LBB78_77:
	s_mov_b32 s28, 0
.LBB78_78:
	s_delay_alu instid0(SALU_CYCLE_1)
	s_and_not1_b32 vcc_lo, exec_lo, s28
	s_cbranch_vccnz .LBB78_80
; %bb.79:
	v_mov_b32_e32 v23, s7
	global_store_b16 v[10:11], v23, off
.LBB78_80:
	s_mov_b32 s28, 0
.LBB78_81:
	s_delay_alu instid0(SALU_CYCLE_1)
	s_and_not1_b32 vcc_lo, exec_lo, s28
	s_cbranch_vccnz .LBB78_97
; %bb.82:
	v_cmp_gt_i16_e32 vcc_lo, 2, v22
	s_mov_b32 s28, -1
	s_cbranch_vccnz .LBB78_92
; %bb.83:
	v_cmp_gt_i16_e32 vcc_lo, 3, v22
	s_cbranch_vccnz .LBB78_89
; %bb.84:
	v_cmp_lt_i16_e32 vcc_lo, 3, v22
	s_cbranch_vccz .LBB78_86
; %bb.85:
	s_mov_b32 s28, 0
	global_store_b64 v[10:11], v[4:5], off
.LBB78_86:
	s_and_not1_b32 vcc_lo, exec_lo, s28
	s_cbranch_vccnz .LBB78_88
; %bb.87:
	global_store_b32 v[10:11], v4, off
.LBB78_88:
	s_mov_b32 s28, 0
.LBB78_89:
	s_delay_alu instid0(SALU_CYCLE_1)
	s_and_not1_b32 vcc_lo, exec_lo, s28
	s_cbranch_vccnz .LBB78_91
; %bb.90:
	global_store_b16 v[10:11], v12, off
.LBB78_91:
	s_mov_b32 s28, 0
.LBB78_92:
	s_delay_alu instid0(SALU_CYCLE_1)
	s_and_not1_b32 vcc_lo, exec_lo, s28
	s_cbranch_vccnz .LBB78_97
; %bb.93:
	v_cmp_lt_i16_e32 vcc_lo, 0, v22
	s_mov_b32 s28, -1
	s_cbranch_vccz .LBB78_95
; %bb.94:
	s_mov_b32 s28, 0
	global_store_b8 v[10:11], v12, off
.LBB78_95:
	s_and_not1_b32 vcc_lo, exec_lo, s28
	s_cbranch_vccnz .LBB78_97
; %bb.96:
	global_store_b8 v[10:11], v4, off
.LBB78_97:
	s_branch .LBB78_11
.LBB78_98:
	s_mov_b32 s31, 0
                                        ; implicit-def: $vgpr19
.LBB78_99:
	s_and_b32 s28, s1, exec_lo
	s_or_not1_b32 s31, s31, exec_lo
.LBB78_100:
	s_or_b32 exec_lo, exec_lo, s29
	s_mov_b32 s1, 0
                                        ; implicit-def: $vgpr22
                                        ; implicit-def: $vgpr10_vgpr11
	s_and_saveexec_b32 s29, s31
	s_cbranch_execz .LBB78_109
; %bb.101:
	s_mov_b32 s1, -1
	s_mov_b32 s30, s28
	s_mov_b32 s31, exec_lo
	v_cmpx_gt_i32_e64 s27, v19
	s_cbranch_execz .LBB78_326
; %bb.102:
	v_mul_lo_u32 v10, v19, s6
	v_and_b32_e64 v22, 0xff, s8
	s_delay_alu instid0(VALU_DEP_1) | instskip(NEXT) | instid1(VALU_DEP_3)
	v_cmp_gt_i16_e32 vcc_lo, 11, v22
	v_ashrrev_i32_e32 v11, 31, v10
	v_add_co_u32 v10, s1, s4, v10
	s_delay_alu instid0(VALU_DEP_1)
	v_add_co_ci_u32_e64 v11, s1, s5, v11, s1
	s_cbranch_vccnz .LBB78_219
; %bb.103:
	v_cmp_lt_i16_e32 vcc_lo, 25, v22
	s_cbranch_vccz .LBB78_222
; %bb.104:
	v_cmp_lt_i16_e32 vcc_lo, 28, v22
	s_cbranch_vccz .LBB78_223
; %bb.105:
	v_cmp_lt_i16_e32 vcc_lo, 43, v22
	s_cbranch_vccz .LBB78_224
; %bb.106:
	v_cmp_lt_i16_e32 vcc_lo, 45, v22
	s_cbranch_vccz .LBB78_240
; %bb.107:
	v_cmp_eq_u16_e32 vcc_lo, 46, v22
	s_mov_b32 s33, 0
	s_mov_b32 s1, -1
	s_mov_b32 s30, 0
	s_cbranch_vccz .LBB78_241
; %bb.108:
	s_mov_b32 s30, -1
	s_mov_b32 s1, 0
	global_store_b32 v[10:11], v21, off
	s_branch .LBB78_241
.LBB78_109:
	s_or_b32 exec_lo, exec_lo, s29
	s_mov_b32 s0, 0
	s_and_saveexec_b32 s9, s28
	s_cbranch_execnz .LBB78_791
.LBB78_110:
	s_or_b32 exec_lo, exec_lo, s9
	s_and_saveexec_b32 s9, s30
	s_delay_alu instid0(SALU_CYCLE_1)
	s_xor_b32 s9, exec_lo, s9
	s_cbranch_execz .LBB78_112
.LBB78_111:
	global_store_b8 v[10:11], v13, off
.LBB78_112:
	s_or_b32 exec_lo, exec_lo, s9
	s_and_saveexec_b32 s9, s1
	s_delay_alu instid0(SALU_CYCLE_1)
	s_xor_b32 s1, exec_lo, s9
	s_cbranch_execz .LBB78_150
; %bb.113:
	v_cmp_gt_i16_e32 vcc_lo, 5, v22
	s_mov_b32 s9, -1
	s_cbranch_vccnz .LBB78_134
; %bb.114:
	v_cmp_gt_i16_e32 vcc_lo, 8, v22
	s_cbranch_vccnz .LBB78_124
; %bb.115:
	v_cmp_gt_i16_e32 vcc_lo, 9, v22
	s_cbranch_vccnz .LBB78_121
; %bb.116:
	v_cmp_lt_i16_e32 vcc_lo, 9, v22
	s_cbranch_vccz .LBB78_118
; %bb.117:
	s_mov_b32 s9, 0
	global_store_b128 v[10:11], v[0:3], off
.LBB78_118:
	s_and_not1_b32 vcc_lo, exec_lo, s9
	s_cbranch_vccnz .LBB78_120
; %bb.119:
	global_store_b64 v[10:11], v[6:7], off
.LBB78_120:
	s_mov_b32 s9, 0
.LBB78_121:
	s_delay_alu instid0(SALU_CYCLE_1)
	s_and_not1_b32 vcc_lo, exec_lo, s9
	s_cbranch_vccnz .LBB78_123
; %bb.122:
	v_mov_b32_e32 v2, s7
	global_store_b32 v[10:11], v2, off
.LBB78_123:
	s_mov_b32 s9, 0
.LBB78_124:
	s_delay_alu instid0(SALU_CYCLE_1)
	s_and_not1_b32 vcc_lo, exec_lo, s9
	s_cbranch_vccnz .LBB78_133
; %bb.125:
	v_cmp_gt_i16_e32 vcc_lo, 6, v22
	s_mov_b32 s9, -1
	s_cbranch_vccnz .LBB78_131
; %bb.126:
	v_cmp_lt_i16_e32 vcc_lo, 6, v22
	s_cbranch_vccz .LBB78_128
; %bb.127:
	s_mov_b32 s9, 0
	global_store_b64 v[10:11], v[0:1], off
.LBB78_128:
	s_and_not1_b32 vcc_lo, exec_lo, s9
	s_cbranch_vccnz .LBB78_130
; %bb.129:
	global_store_b32 v[10:11], v6, off
.LBB78_130:
	s_mov_b32 s9, 0
.LBB78_131:
	s_delay_alu instid0(SALU_CYCLE_1)
	s_and_not1_b32 vcc_lo, exec_lo, s9
	s_cbranch_vccnz .LBB78_133
; %bb.132:
	v_mov_b32_e32 v0, s7
	global_store_b16 v[10:11], v0, off
.LBB78_133:
	s_mov_b32 s9, 0
.LBB78_134:
	s_delay_alu instid0(SALU_CYCLE_1)
	s_and_not1_b32 vcc_lo, exec_lo, s9
	s_cbranch_vccnz .LBB78_150
; %bb.135:
	v_cmp_gt_i16_e32 vcc_lo, 2, v22
	s_mov_b32 s9, -1
	s_cbranch_vccnz .LBB78_145
; %bb.136:
	v_cmp_gt_i16_e32 vcc_lo, 3, v22
	s_cbranch_vccnz .LBB78_142
; %bb.137:
	v_cmp_lt_i16_e32 vcc_lo, 3, v22
	s_cbranch_vccz .LBB78_139
; %bb.138:
	s_mov_b32 s9, 0
	global_store_b64 v[10:11], v[4:5], off
.LBB78_139:
	s_and_not1_b32 vcc_lo, exec_lo, s9
	s_cbranch_vccnz .LBB78_141
; %bb.140:
	global_store_b32 v[10:11], v4, off
.LBB78_141:
	s_mov_b32 s9, 0
.LBB78_142:
	s_delay_alu instid0(SALU_CYCLE_1)
	s_and_not1_b32 vcc_lo, exec_lo, s9
	s_cbranch_vccnz .LBB78_144
; %bb.143:
	global_store_b16 v[10:11], v12, off
.LBB78_144:
	s_mov_b32 s9, 0
.LBB78_145:
	s_delay_alu instid0(SALU_CYCLE_1)
	s_and_not1_b32 vcc_lo, exec_lo, s9
	s_cbranch_vccnz .LBB78_150
; %bb.146:
	v_cmp_lt_i16_e32 vcc_lo, 0, v22
	s_mov_b32 s9, -1
	s_cbranch_vccz .LBB78_148
; %bb.147:
	s_mov_b32 s9, 0
	global_store_b8 v[10:11], v12, off
.LBB78_148:
	s_and_not1_b32 vcc_lo, exec_lo, s9
	s_cbranch_vccnz .LBB78_150
; %bb.149:
	global_store_b8 v[10:11], v4, off
.LBB78_150:
	s_or_b32 exec_lo, exec_lo, s1
	s_delay_alu instid0(SALU_CYCLE_1)
	s_and_b32 s1, s0, exec_lo
                                        ; implicit-def: $vgpr19
.LBB78_151:
	s_or_saveexec_b32 s2, s2
	s_mov_b32 s0, 0
                                        ; implicit-def: $vgpr2
                                        ; implicit-def: $vgpr0_vgpr1
	s_xor_b32 exec_lo, exec_lo, s2
	s_cbranch_execz .LBB78_685
; %bb.152:
	v_mul_lo_u32 v3, s6, v19
	v_and_b32_e64 v2, 0xff, s8
	s_delay_alu instid0(VALU_DEP_1) | instskip(NEXT) | instid1(VALU_DEP_3)
	v_cmp_gt_i16_e32 vcc_lo, 11, v2
	v_ashrrev_i32_e32 v1, 31, v3
	v_add_co_u32 v0, s0, s4, v3
	s_delay_alu instid0(VALU_DEP_1)
	v_add_co_ci_u32_e64 v1, s0, s5, v1, s0
	s_cbranch_vccnz .LBB78_180
; %bb.153:
	v_cmp_lt_i16_e32 vcc_lo, 25, v2
	s_mov_b32 s3, -1
	s_mov_b32 s8, 0
	s_mov_b32 s9, 0
	;; [unrolled: 1-line block ×3, first 2 shown]
	s_cbranch_vccz .LBB78_233
; %bb.154:
	v_cmp_lt_i16_e32 vcc_lo, 28, v2
	s_cbranch_vccz .LBB78_169
; %bb.155:
	v_cmp_lt_i16_e32 vcc_lo, 43, v2
	;; [unrolled: 3-line block ×3, first 2 shown]
	s_cbranch_vccz .LBB78_159
; %bb.157:
	v_cmp_eq_u16_e32 vcc_lo, 46, v2
	s_mov_b32 s0, -1
	s_mov_b32 s3, 0
	s_cbranch_vccz .LBB78_159
; %bb.158:
	v_cvt_f32_f16_e32 v5, s7
	s_lshr_b32 s0, s7, 16
	s_mov_b32 s9, -1
	v_cvt_f32_f16_e32 v4, s0
	v_cmp_o_f16_e64 vcc_lo, s0, s0
	v_bfe_u32 v7, v5, 16, 1
	s_mov_b32 s0, 0
	s_delay_alu instid0(VALU_DEP_3) | instskip(NEXT) | instid1(VALU_DEP_2)
	v_bfe_u32 v6, v4, 16, 1
	v_add_nc_u32_e32 v5, v5, v7
	s_delay_alu instid0(VALU_DEP_1) | instskip(NEXT) | instid1(VALU_DEP_1)
	v_add_nc_u32_e32 v5, 0x7fff, v5
	v_lshrrev_b32_e32 v5, 16, v5
	s_delay_alu instid0(VALU_DEP_4) | instskip(NEXT) | instid1(VALU_DEP_1)
	v_add_nc_u32_e32 v4, v4, v6
	v_add_nc_u32_e32 v4, 0x7fff, v4
	s_delay_alu instid0(VALU_DEP_1) | instskip(NEXT) | instid1(VALU_DEP_1)
	v_and_b32_e32 v4, 0xffff0000, v4
	v_cndmask_b32_e32 v4, 0x7fc00000, v4, vcc_lo
	v_cmp_o_f16_e64 vcc_lo, s7, s7
	v_cndmask_b32_e32 v5, 0x7fc0, v5, vcc_lo
	s_delay_alu instid0(VALU_DEP_1)
	v_or_b32_e32 v4, v4, v5
	global_store_b32 v[0:1], v4, off
.LBB78_159:
	s_and_b32 vcc_lo, exec_lo, s3
	s_cbranch_vccz .LBB78_164
; %bb.160:
	v_cmp_eq_u16_e32 vcc_lo, 44, v2
	s_mov_b32 s0, -1
	s_cbranch_vccz .LBB78_164
; %bb.161:
	v_cvt_f32_f16_e32 v4, s7
	v_mov_b32_e32 v5, 0xff
	s_delay_alu instid0(VALU_DEP_2) | instskip(NEXT) | instid1(VALU_DEP_1)
	v_readfirstlane_b32 s0, v4
	s_bfe_u32 s3, s0, 0x80017
	s_delay_alu instid0(SALU_CYCLE_1)
	s_cmpk_eq_i32 s3, 0xff
	s_cbranch_scc1 .LBB78_163
; %bb.162:
	s_bitcmp1_b32 s0, 22
	v_lshrrev_b32_e32 v4, 23, v4
	s_cselect_b32 s9, -1, 0
	s_and_b32 s0, s0, 0x3fffff
	s_delay_alu instid0(SALU_CYCLE_1) | instskip(NEXT) | instid1(SALU_CYCLE_1)
	s_or_b32 s0, s3, s0
	s_cmp_lg_u32 s0, 0
	s_cselect_b32 s0, -1, 0
	s_delay_alu instid0(SALU_CYCLE_1) | instskip(NEXT) | instid1(SALU_CYCLE_1)
	s_and_b32 s0, s9, s0
	v_cndmask_b32_e64 v5, 0, 1, s0
	s_delay_alu instid0(VALU_DEP_1)
	v_add_nc_u32_e32 v5, v4, v5
.LBB78_163:
	s_mov_b32 s0, 0
	s_mov_b32 s9, -1
	global_store_b8 v[0:1], v5, off
.LBB78_164:
	s_mov_b32 s3, 0
.LBB78_165:
	s_delay_alu instid0(SALU_CYCLE_1)
	s_and_b32 vcc_lo, exec_lo, s3
	s_cbranch_vccz .LBB78_168
; %bb.166:
	v_cmp_eq_u16_e32 vcc_lo, 29, v2
	s_mov_b32 s0, -1
	s_cbranch_vccz .LBB78_168
; %bb.167:
	v_cvt_f32_f16_e32 v4, s7
	v_mov_b32_e32 v5, 0
	s_mov_b32 s0, 0
	s_mov_b32 s9, -1
	s_delay_alu instid0(VALU_DEP_2)
	v_cvt_u32_f32_e32 v4, v4
	global_store_b64 v[0:1], v[4:5], off
.LBB78_168:
	s_mov_b32 s3, 0
.LBB78_169:
	s_delay_alu instid0(SALU_CYCLE_1)
	s_and_b32 vcc_lo, exec_lo, s3
	s_cbranch_vccz .LBB78_232
; %bb.170:
	v_cmp_gt_i16_e32 vcc_lo, 27, v2
	s_mov_b32 s3, -1
	s_cbranch_vccnz .LBB78_176
; %bb.171:
	v_cmp_lt_i16_e32 vcc_lo, 27, v2
	s_cbranch_vccz .LBB78_173
; %bb.172:
	v_cvt_f32_f16_e32 v4, s7
	s_mov_b32 s3, 0
	s_delay_alu instid0(VALU_DEP_1)
	v_cvt_u32_f32_e32 v4, v4
	global_store_b32 v[0:1], v4, off
.LBB78_173:
	s_and_not1_b32 vcc_lo, exec_lo, s3
	s_cbranch_vccnz .LBB78_175
; %bb.174:
	v_cvt_u16_f16_e32 v4, s7
	global_store_b16 v[0:1], v4, off
.LBB78_175:
	s_mov_b32 s3, 0
.LBB78_176:
	s_delay_alu instid0(SALU_CYCLE_1)
	s_and_not1_b32 vcc_lo, exec_lo, s3
	s_cbranch_vccnz .LBB78_231
; %bb.177:
	v_cvt_f32_f16_e32 v4, s7
	v_mov_b32_e32 v5, 0x80
	s_delay_alu instid0(VALU_DEP_2) | instskip(NEXT) | instid1(VALU_DEP_1)
	v_readfirstlane_b32 s3, v4
	s_and_b32 s9, s3, 0x7fffffff
	s_delay_alu instid0(SALU_CYCLE_1)
	s_cmp_gt_u32 s9, 0x437fffff
	s_cbranch_scc1 .LBB78_230
; %bb.178:
	s_cmp_gt_u32 s9, 0x3bffffff
	s_cbranch_scc0 .LBB78_225
; %bb.179:
	s_bfe_u32 s9, s3, 0x10014
	s_mov_b32 s10, 0
	s_add_i32 s9, s3, s9
	s_delay_alu instid0(SALU_CYCLE_1) | instskip(NEXT) | instid1(SALU_CYCLE_1)
	s_add_i32 s9, s9, 0x487ffff
	s_lshr_b32 s11, s9, 20
	s_mov_b32 s9, -1
	s_branch .LBB78_226
.LBB78_180:
	s_mov_b32 s9, 0
	s_mov_b32 s3, s1
	s_cbranch_execz .LBB78_382
; %bb.181:
	v_cmp_gt_i16_e32 vcc_lo, 5, v2
	s_mov_b32 s0, -1
	s_cbranch_vccnz .LBB78_202
; %bb.182:
	v_cmp_gt_i16_e32 vcc_lo, 8, v2
	s_cbranch_vccnz .LBB78_192
; %bb.183:
	v_cmp_gt_i16_e32 vcc_lo, 9, v2
	s_cbranch_vccnz .LBB78_189
; %bb.184:
	v_cmp_lt_i16_e32 vcc_lo, 9, v2
	s_cbranch_vccz .LBB78_186
; %bb.185:
	s_lshr_b32 s0, s7, 16
	v_cvt_f32_f16_e32 v4, s7
	v_cvt_f32_f16_e32 v6, s0
	s_mov_b32 s0, 0
	s_delay_alu instid0(VALU_DEP_2) | instskip(NEXT) | instid1(VALU_DEP_2)
	v_cvt_f64_f32_e32 v[4:5], v4
	v_cvt_f64_f32_e32 v[6:7], v6
	global_store_b128 v[0:1], v[4:7], off
.LBB78_186:
	s_and_not1_b32 vcc_lo, exec_lo, s0
	s_cbranch_vccnz .LBB78_188
; %bb.187:
	s_lshr_b32 s0, s7, 16
	v_cvt_f32_f16_e32 v4, s7
	v_cvt_f32_f16_e32 v5, s0
	global_store_b64 v[0:1], v[4:5], off
.LBB78_188:
	s_mov_b32 s0, 0
.LBB78_189:
	s_delay_alu instid0(SALU_CYCLE_1)
	s_and_not1_b32 vcc_lo, exec_lo, s0
	s_cbranch_vccnz .LBB78_191
; %bb.190:
	v_mov_b32_e32 v4, s7
	global_store_b32 v[0:1], v4, off
.LBB78_191:
	s_mov_b32 s0, 0
.LBB78_192:
	s_delay_alu instid0(SALU_CYCLE_1)
	s_and_not1_b32 vcc_lo, exec_lo, s0
	s_cbranch_vccnz .LBB78_201
; %bb.193:
	v_cmp_gt_i16_e32 vcc_lo, 6, v2
	s_mov_b32 s0, -1
	s_cbranch_vccnz .LBB78_199
; %bb.194:
	v_cmp_lt_i16_e32 vcc_lo, 6, v2
	s_cbranch_vccz .LBB78_196
; %bb.195:
	v_cvt_f32_f16_e32 v4, s7
	s_mov_b32 s0, 0
	s_delay_alu instid0(VALU_DEP_1)
	v_cvt_f64_f32_e32 v[4:5], v4
	global_store_b64 v[0:1], v[4:5], off
.LBB78_196:
	s_and_not1_b32 vcc_lo, exec_lo, s0
	s_cbranch_vccnz .LBB78_198
; %bb.197:
	v_cvt_f32_f16_e32 v4, s7
	global_store_b32 v[0:1], v4, off
.LBB78_198:
	s_mov_b32 s0, 0
.LBB78_199:
	s_delay_alu instid0(SALU_CYCLE_1)
	s_and_not1_b32 vcc_lo, exec_lo, s0
	s_cbranch_vccnz .LBB78_201
; %bb.200:
	v_mov_b32_e32 v4, s7
	global_store_b16 v[0:1], v4, off
.LBB78_201:
	s_mov_b32 s0, 0
.LBB78_202:
	s_delay_alu instid0(SALU_CYCLE_1)
	s_and_not1_b32 vcc_lo, exec_lo, s0
	s_cbranch_vccnz .LBB78_218
; %bb.203:
	v_cmp_gt_i16_e32 vcc_lo, 2, v2
	s_mov_b32 s0, -1
	s_cbranch_vccnz .LBB78_213
; %bb.204:
	v_cmp_gt_i16_e32 vcc_lo, 3, v2
	s_cbranch_vccnz .LBB78_210
; %bb.205:
	v_cmp_lt_i16_e32 vcc_lo, 3, v2
	s_cbranch_vccz .LBB78_207
; %bb.206:
	v_cvt_f32_f16_e32 v4, s7
	s_mov_b32 s0, 0
	s_delay_alu instid0(VALU_DEP_1) | instskip(NEXT) | instid1(VALU_DEP_1)
	v_cvt_i32_f32_e32 v4, v4
	v_ashrrev_i32_e32 v5, 31, v4
	global_store_b64 v[0:1], v[4:5], off
.LBB78_207:
	s_and_not1_b32 vcc_lo, exec_lo, s0
	s_cbranch_vccnz .LBB78_209
; %bb.208:
	v_cvt_f32_f16_e32 v4, s7
	s_delay_alu instid0(VALU_DEP_1)
	v_cvt_i32_f32_e32 v4, v4
	global_store_b32 v[0:1], v4, off
.LBB78_209:
	s_mov_b32 s0, 0
.LBB78_210:
	s_delay_alu instid0(SALU_CYCLE_1)
	s_and_not1_b32 vcc_lo, exec_lo, s0
	s_cbranch_vccnz .LBB78_212
; %bb.211:
	v_cvt_i16_f16_e32 v4, s7
	global_store_b16 v[0:1], v4, off
.LBB78_212:
	s_mov_b32 s0, 0
.LBB78_213:
	s_delay_alu instid0(SALU_CYCLE_1)
	s_and_not1_b32 vcc_lo, exec_lo, s0
	s_cbranch_vccnz .LBB78_218
; %bb.214:
	v_cmp_lt_i16_e32 vcc_lo, 0, v2
	s_mov_b32 s0, -1
	s_cbranch_vccz .LBB78_216
; %bb.215:
	v_cvt_i16_f16_e32 v4, s7
	s_mov_b32 s0, 0
	global_store_b8 v[0:1], v4, off
.LBB78_216:
	s_and_not1_b32 vcc_lo, exec_lo, s0
	s_cbranch_vccnz .LBB78_218
; %bb.217:
	v_cvt_f32_f16_e32 v4, s7
	s_delay_alu instid0(VALU_DEP_1)
	v_cvt_i32_f32_e32 v4, v4
	global_store_b8 v[0:1], v4, off
.LBB78_218:
	s_branch .LBB78_383
.LBB78_219:
	s_mov_b32 s30, 0
	s_mov_b32 s1, s28
	s_cbranch_execnz .LBB78_286
.LBB78_220:
	s_and_not1_b32 vcc_lo, exec_lo, s30
	s_cbranch_vccnz .LBB78_324
.LBB78_221:
	v_add_nc_u32_e32 v19, 0x80, v19
	s_mov_b32 s33, -1
	s_branch .LBB78_325
.LBB78_222:
	s_mov_b32 s33, -1
	s_mov_b32 s30, 0
	s_mov_b32 s1, s28
	s_branch .LBB78_263
.LBB78_223:
	s_mov_b32 s33, -1
	s_mov_b32 s30, 0
	s_mov_b32 s1, s28
	s_branch .LBB78_249
.LBB78_224:
	s_mov_b32 s33, -1
	s_mov_b32 s30, 0
	s_mov_b32 s1, s28
	s_branch .LBB78_245
.LBB78_225:
	s_mov_b32 s10, -1
	s_mov_b32 s9, 0
                                        ; implicit-def: $sgpr11
.LBB78_226:
	v_mov_b32_e32 v4, s11
	s_and_not1_b32 vcc_lo, exec_lo, s10
                                        ; implicit-def: $sgpr10
	s_cbranch_vccnz .LBB78_228
; %bb.227:
	v_add_f32_e64 v4, 0x46000000, |s3|
	s_mov_b32 s10, 0
	s_delay_alu instid0(VALU_DEP_1) | instskip(NEXT) | instid1(VALU_DEP_1)
	v_and_b32_e32 v4, 0xff, v4
	v_cmp_ne_u32_e64 s9, 0, v4
.LBB78_228:
	v_mov_b32_e32 v5, s10
	s_delay_alu instid0(VALU_DEP_2)
	s_and_not1_b32 vcc_lo, exec_lo, s9
	s_cbranch_vccnz .LBB78_230
; %bb.229:
	s_lshr_b32 s3, s3, 24
	s_delay_alu instid0(SALU_CYCLE_1) | instskip(NEXT) | instid1(SALU_CYCLE_1)
	s_and_b32 s3, s3, 0x80
	v_or_b32_e32 v5, s3, v4
.LBB78_230:
	global_store_b8 v[0:1], v5, off
.LBB78_231:
	s_mov_b32 s9, -1
.LBB78_232:
	s_mov_b32 s3, 0
.LBB78_233:
	s_delay_alu instid0(SALU_CYCLE_1)
	s_and_b32 vcc_lo, exec_lo, s3
	s_cbranch_vccz .LBB78_378
; %bb.234:
	v_cmp_lt_i16_e32 vcc_lo, 22, v2
	s_mov_b32 s3, -1
	s_cbranch_vccz .LBB78_371
; %bb.235:
	v_cmp_gt_i16_e32 vcc_lo, 24, v2
	s_cbranch_vccnz .LBB78_358
; %bb.236:
	v_cmp_lt_i16_e32 vcc_lo, 24, v2
	s_cbranch_vccz .LBB78_345
; %bb.237:
	v_cvt_f32_f16_e32 v4, s7
	v_mov_b32_e32 v5, 0x80
	s_delay_alu instid0(VALU_DEP_2) | instskip(NEXT) | instid1(VALU_DEP_1)
	v_readfirstlane_b32 s3, v4
	s_and_b32 s8, s3, 0x7fffffff
	s_delay_alu instid0(SALU_CYCLE_1)
	s_cmp_gt_u32 s8, 0x477fffff
	s_cbranch_scc1 .LBB78_344
; %bb.238:
	s_cmp_gt_u32 s8, 0x37ffffff
	s_cbranch_scc0 .LBB78_339
; %bb.239:
	s_bfe_u32 s8, s3, 0x10015
	s_mov_b32 s9, 0
	s_add_i32 s8, s3, s8
	s_delay_alu instid0(SALU_CYCLE_1) | instskip(NEXT) | instid1(SALU_CYCLE_1)
	s_add_i32 s8, s8, 0x88fffff
	s_lshr_b32 s10, s8, 21
	s_mov_b32 s8, -1
	s_branch .LBB78_340
.LBB78_240:
	s_mov_b32 s33, -1
	s_mov_b32 s30, 0
	s_mov_b32 s1, s28
.LBB78_241:
	s_and_b32 vcc_lo, exec_lo, s33
	s_cbranch_vccz .LBB78_244
; %bb.242:
	v_cmp_eq_u16_e32 vcc_lo, 44, v22
	s_mov_b32 s1, -1
	s_cbranch_vccz .LBB78_244
; %bb.243:
	v_cndmask_b32_e64 v23, v20, 0xff, s0
	s_mov_b32 s30, -1
	s_mov_b32 s1, 0
	global_store_b8 v[10:11], v23, off
.LBB78_244:
	s_mov_b32 s33, 0
.LBB78_245:
	s_delay_alu instid0(SALU_CYCLE_1)
	s_and_b32 vcc_lo, exec_lo, s33
	s_cbranch_vccz .LBB78_248
; %bb.246:
	v_cmp_eq_u16_e32 vcc_lo, 29, v22
	s_mov_b32 s1, -1
	s_cbranch_vccz .LBB78_248
; %bb.247:
	s_mov_b32 s30, -1
	s_mov_b32 s1, 0
	global_store_b64 v[10:11], v[8:9], off
.LBB78_248:
	s_mov_b32 s33, 0
.LBB78_249:
	s_delay_alu instid0(SALU_CYCLE_1)
	s_and_b32 vcc_lo, exec_lo, s33
	s_cbranch_vccz .LBB78_262
; %bb.250:
	v_cmp_gt_i16_e32 vcc_lo, 27, v22
	s_mov_b32 s30, -1
	s_cbranch_vccnz .LBB78_256
; %bb.251:
	v_cmp_lt_i16_e32 vcc_lo, 27, v22
	s_cbranch_vccz .LBB78_253
; %bb.252:
	s_mov_b32 s30, 0
	global_store_b32 v[10:11], v8, off
.LBB78_253:
	s_and_not1_b32 vcc_lo, exec_lo, s30
	s_cbranch_vccnz .LBB78_255
; %bb.254:
	global_store_b16 v[10:11], v18, off
.LBB78_255:
	s_mov_b32 s30, 0
.LBB78_256:
	s_delay_alu instid0(SALU_CYCLE_1)
	s_and_not1_b32 vcc_lo, exec_lo, s30
	s_cbranch_vccnz .LBB78_261
; %bb.257:
	v_mov_b32_e32 v23, 0x80
	s_and_not1_b32 vcc_lo, exec_lo, s25
	s_cbranch_vccnz .LBB78_260
; %bb.258:
	v_mov_b32_e32 v23, 0
	s_or_b32 s30, s22, s26
	s_delay_alu instid0(SALU_CYCLE_1)
	s_and_not1_b32 vcc_lo, exec_lo, s30
	s_cbranch_vccnz .LBB78_260
; %bb.259:
	v_cndmask_b32_e64 v23, v17, s23, s22
	s_delay_alu instid0(VALU_DEP_1)
	v_or_b32_e32 v23, v23, v16
.LBB78_260:
	global_store_b8 v[10:11], v23, off
.LBB78_261:
	s_mov_b32 s30, -1
.LBB78_262:
	s_mov_b32 s33, 0
.LBB78_263:
	s_delay_alu instid0(SALU_CYCLE_1)
	s_and_b32 vcc_lo, exec_lo, s33
	s_cbranch_vccz .LBB78_285
; %bb.264:
	v_cmp_lt_i16_e32 vcc_lo, 22, v22
	s_mov_b32 s33, -1
	s_cbranch_vccz .LBB78_277
; %bb.265:
	v_cmp_gt_i16_e32 vcc_lo, 24, v22
	s_mov_b32 s30, -1
	s_cbranch_vccnz .LBB78_274
; %bb.266:
	v_cmp_lt_i16_e32 vcc_lo, 24, v22
	s_cbranch_vccz .LBB78_271
; %bb.267:
	v_mov_b32_e32 v23, 0x80
	s_and_not1_b32 vcc_lo, exec_lo, s19
	s_cbranch_vccnz .LBB78_270
; %bb.268:
	v_mov_b32_e32 v23, 0
	s_or_b32 s30, s16, s20
	s_delay_alu instid0(SALU_CYCLE_1)
	s_and_not1_b32 vcc_lo, exec_lo, s30
	s_cbranch_vccnz .LBB78_270
; %bb.269:
	v_cndmask_b32_e64 v23, v15, s17, s16
	s_delay_alu instid0(VALU_DEP_1)
	v_or_b32_e32 v23, v23, v16
.LBB78_270:
	s_mov_b32 s30, 0
	global_store_b8 v[10:11], v23, off
.LBB78_271:
	s_and_b32 vcc_lo, exec_lo, s30
	s_cbranch_vccz .LBB78_273
; %bb.272:
	s_and_b32 s30, s14, exec_lo
	s_cselect_b32 s30, s24, s15
	s_and_b32 s33, s12, exec_lo
	s_cselect_b32 s30, s18, s30
	s_delay_alu instid0(SALU_CYCLE_1)
	v_or_b32_e32 v23, s30, v16
	global_store_b8 v[10:11], v23, off
.LBB78_273:
	s_mov_b32 s30, 0
.LBB78_274:
	s_delay_alu instid0(SALU_CYCLE_1)
	s_and_not1_b32 vcc_lo, exec_lo, s30
	s_cbranch_vccnz .LBB78_276
; %bb.275:
	s_and_b32 s30, s10, exec_lo
	s_cselect_b32 s30, s21, s11
	s_and_b32 s33, s9, exec_lo
	s_cselect_b32 s30, s13, s30
	s_delay_alu instid0(SALU_CYCLE_1)
	v_or_b32_e32 v23, s30, v16
	global_store_b8 v[10:11], v23, off
.LBB78_276:
	s_mov_b32 s33, 0
	s_mov_b32 s30, -1
.LBB78_277:
	s_and_not1_b32 vcc_lo, exec_lo, s33
	s_cbranch_vccnz .LBB78_285
; %bb.278:
	v_cmp_lt_i16_e32 vcc_lo, 14, v22
	s_mov_b32 s33, -1
	s_cbranch_vccz .LBB78_282
; %bb.279:
	v_cmp_eq_u16_e32 vcc_lo, 15, v22
	s_mov_b32 s1, -1
	s_cbranch_vccz .LBB78_281
; %bb.280:
	s_mov_b32 s30, -1
	s_mov_b32 s1, 0
	global_store_b16 v[10:11], v14, off
.LBB78_281:
	s_mov_b32 s33, 0
.LBB78_282:
	s_delay_alu instid0(SALU_CYCLE_1)
	s_and_b32 vcc_lo, exec_lo, s33
	s_cbranch_vccz .LBB78_285
; %bb.283:
	v_cmp_eq_u16_e32 vcc_lo, 11, v22
	s_mov_b32 s1, -1
	s_cbranch_vccz .LBB78_285
; %bb.284:
	s_mov_b32 s30, -1
	s_mov_b32 s1, 0
	global_store_b8 v[10:11], v13, off
.LBB78_285:
	s_branch .LBB78_220
.LBB78_286:
	v_cmp_gt_i16_e32 vcc_lo, 5, v22
	s_mov_b32 s30, -1
	s_cbranch_vccnz .LBB78_307
; %bb.287:
	v_cmp_gt_i16_e32 vcc_lo, 8, v22
	s_cbranch_vccnz .LBB78_297
; %bb.288:
	v_cmp_gt_i16_e32 vcc_lo, 9, v22
	s_cbranch_vccnz .LBB78_294
; %bb.289:
	v_cmp_lt_i16_e32 vcc_lo, 9, v22
	s_cbranch_vccz .LBB78_291
; %bb.290:
	s_mov_b32 s30, 0
	global_store_b128 v[10:11], v[0:3], off
.LBB78_291:
	s_and_not1_b32 vcc_lo, exec_lo, s30
	s_cbranch_vccnz .LBB78_293
; %bb.292:
	global_store_b64 v[10:11], v[6:7], off
.LBB78_293:
	s_mov_b32 s30, 0
.LBB78_294:
	s_delay_alu instid0(SALU_CYCLE_1)
	s_and_not1_b32 vcc_lo, exec_lo, s30
	s_cbranch_vccnz .LBB78_296
; %bb.295:
	v_mov_b32_e32 v23, s7
	global_store_b32 v[10:11], v23, off
.LBB78_296:
	s_mov_b32 s30, 0
.LBB78_297:
	s_delay_alu instid0(SALU_CYCLE_1)
	s_and_not1_b32 vcc_lo, exec_lo, s30
	s_cbranch_vccnz .LBB78_306
; %bb.298:
	v_cmp_gt_i16_e32 vcc_lo, 6, v22
	s_mov_b32 s30, -1
	s_cbranch_vccnz .LBB78_304
; %bb.299:
	v_cmp_lt_i16_e32 vcc_lo, 6, v22
	s_cbranch_vccz .LBB78_301
; %bb.300:
	s_mov_b32 s30, 0
	global_store_b64 v[10:11], v[0:1], off
.LBB78_301:
	s_and_not1_b32 vcc_lo, exec_lo, s30
	s_cbranch_vccnz .LBB78_303
; %bb.302:
	global_store_b32 v[10:11], v6, off
.LBB78_303:
	s_mov_b32 s30, 0
.LBB78_304:
	s_delay_alu instid0(SALU_CYCLE_1)
	s_and_not1_b32 vcc_lo, exec_lo, s30
	s_cbranch_vccnz .LBB78_306
; %bb.305:
	v_mov_b32_e32 v23, s7
	global_store_b16 v[10:11], v23, off
.LBB78_306:
	s_mov_b32 s30, 0
.LBB78_307:
	s_delay_alu instid0(SALU_CYCLE_1)
	s_and_not1_b32 vcc_lo, exec_lo, s30
	s_cbranch_vccnz .LBB78_323
; %bb.308:
	v_cmp_gt_i16_e32 vcc_lo, 2, v22
	s_mov_b32 s30, -1
	s_cbranch_vccnz .LBB78_318
; %bb.309:
	v_cmp_gt_i16_e32 vcc_lo, 3, v22
	s_cbranch_vccnz .LBB78_315
; %bb.310:
	v_cmp_lt_i16_e32 vcc_lo, 3, v22
	s_cbranch_vccz .LBB78_312
; %bb.311:
	s_mov_b32 s30, 0
	global_store_b64 v[10:11], v[4:5], off
.LBB78_312:
	s_and_not1_b32 vcc_lo, exec_lo, s30
	s_cbranch_vccnz .LBB78_314
; %bb.313:
	global_store_b32 v[10:11], v4, off
.LBB78_314:
	s_mov_b32 s30, 0
.LBB78_315:
	s_delay_alu instid0(SALU_CYCLE_1)
	s_and_not1_b32 vcc_lo, exec_lo, s30
	s_cbranch_vccnz .LBB78_317
; %bb.316:
	global_store_b16 v[10:11], v12, off
.LBB78_317:
	s_mov_b32 s30, 0
.LBB78_318:
	s_delay_alu instid0(SALU_CYCLE_1)
	s_and_not1_b32 vcc_lo, exec_lo, s30
	s_cbranch_vccnz .LBB78_323
; %bb.319:
	v_cmp_lt_i16_e32 vcc_lo, 0, v22
	s_mov_b32 s30, -1
	s_cbranch_vccz .LBB78_321
; %bb.320:
	s_mov_b32 s30, 0
	global_store_b8 v[10:11], v12, off
.LBB78_321:
	s_and_not1_b32 vcc_lo, exec_lo, s30
	s_cbranch_vccnz .LBB78_323
; %bb.322:
	global_store_b8 v[10:11], v4, off
.LBB78_323:
	s_branch .LBB78_221
.LBB78_324:
	s_mov_b32 s33, 0
                                        ; implicit-def: $vgpr19
.LBB78_325:
	s_and_not1_b32 s30, s28, exec_lo
	s_and_b32 s1, s1, exec_lo
	s_delay_alu instid0(SALU_CYCLE_1)
	s_or_b32 s30, s30, s1
	s_or_not1_b32 s1, s33, exec_lo
.LBB78_326:
	s_or_b32 exec_lo, exec_lo, s31
	s_mov_b32 s33, 0
	s_mov_b32 s35, 0
                                        ; implicit-def: $vgpr22
                                        ; implicit-def: $vgpr10_vgpr11
	s_and_saveexec_b32 s31, s1
	s_cbranch_execz .LBB78_790
; %bb.327:
	s_mov_b32 s36, -1
	s_mov_b32 s34, s30
	s_mov_b32 s33, exec_lo
	v_cmpx_gt_i32_e64 s27, v19
	s_cbranch_execz .LBB78_558
; %bb.328:
	v_mul_lo_u32 v10, v19, s6
	v_and_b32_e64 v22, 0xff, s8
	s_delay_alu instid0(VALU_DEP_1) | instskip(NEXT) | instid1(VALU_DEP_3)
	v_cmp_gt_i16_e32 vcc_lo, 11, v22
	v_ashrrev_i32_e32 v11, 31, v10
	v_add_co_u32 v10, s1, s4, v10
	s_delay_alu instid0(VALU_DEP_1)
	v_add_co_ci_u32_e64 v11, s1, s5, v11, s1
	s_cbranch_vccnz .LBB78_335
; %bb.329:
	v_cmp_lt_i16_e32 vcc_lo, 25, v22
	s_cbranch_vccz .LBB78_336
; %bb.330:
	v_cmp_lt_i16_e32 vcc_lo, 28, v22
	s_cbranch_vccz .LBB78_337
	;; [unrolled: 3-line block ×4, first 2 shown]
; %bb.333:
	v_cmp_eq_u16_e32 vcc_lo, 46, v22
	s_mov_b32 s1, -1
	s_mov_b32 s34, 0
	s_cbranch_vccz .LBB78_470
; %bb.334:
	s_mov_b32 s34, -1
	s_mov_b32 s1, 0
	global_store_b32 v[10:11], v21, off
	s_branch .LBB78_470
.LBB78_335:
	s_mov_b32 s35, -1
	s_mov_b32 s34, 0
	s_mov_b32 s1, s30
	s_branch .LBB78_515
.LBB78_336:
	s_mov_b32 s35, -1
	s_mov_b32 s34, 0
	s_mov_b32 s1, s30
	s_branch .LBB78_492
.LBB78_337:
	s_mov_b32 s35, -1
	s_mov_b32 s34, 0
	s_mov_b32 s1, s30
	s_branch .LBB78_478
.LBB78_338:
	s_mov_b32 s35, -1
	s_mov_b32 s34, 0
	s_mov_b32 s1, s30
	s_branch .LBB78_474
.LBB78_339:
	s_mov_b32 s9, -1
	s_mov_b32 s8, 0
                                        ; implicit-def: $sgpr10
.LBB78_340:
	v_mov_b32_e32 v4, s10
	s_and_not1_b32 vcc_lo, exec_lo, s9
                                        ; implicit-def: $sgpr9
	s_cbranch_vccnz .LBB78_342
; %bb.341:
	v_add_f32_e64 v4, 0x42800000, |s3|
	s_mov_b32 s9, 0
	s_delay_alu instid0(VALU_DEP_1) | instskip(NEXT) | instid1(VALU_DEP_1)
	v_and_b32_e32 v4, 0xff, v4
	v_cmp_ne_u32_e64 s8, 0, v4
.LBB78_342:
	v_mov_b32_e32 v5, s9
	s_delay_alu instid0(VALU_DEP_2)
	s_and_not1_b32 vcc_lo, exec_lo, s8
	s_cbranch_vccnz .LBB78_344
; %bb.343:
	s_lshr_b32 s3, s3, 24
	s_delay_alu instid0(SALU_CYCLE_1) | instskip(NEXT) | instid1(SALU_CYCLE_1)
	s_and_b32 s3, s3, 0x80
	v_or_b32_e32 v5, s3, v4
.LBB78_344:
	s_mov_b32 s3, 0
	global_store_b8 v[0:1], v5, off
.LBB78_345:
	s_and_b32 vcc_lo, exec_lo, s3
	s_cbranch_vccz .LBB78_357
; %bb.346:
	v_cvt_f32_f16_e32 v4, s7
	s_delay_alu instid0(VALU_DEP_1) | instskip(NEXT) | instid1(VALU_DEP_1)
	v_readfirstlane_b32 s3, v4
	s_and_b32 s8, s3, 0x7fffffff
	s_delay_alu instid0(SALU_CYCLE_1)
	s_cmp_lt_u32 s8, 0x43f00000
	s_cbranch_scc0 .LBB78_349
; %bb.347:
	s_cmp_gt_u32 s8, 0x3c7fffff
	s_cbranch_scc0 .LBB78_350
; %bb.348:
	s_bfe_u32 s9, s3, 0x10014
	s_delay_alu instid0(SALU_CYCLE_1) | instskip(NEXT) | instid1(SALU_CYCLE_1)
	s_add_i32 s9, s3, s9
	s_add_i32 s9, s9, 0x407ffff
	s_delay_alu instid0(SALU_CYCLE_1)
	s_and_b32 s10, s9, 0xff00000
	s_lshr_b32 s9, s9, 20
	s_cmp_lg_u32 s10, 0x7f00000
	s_cselect_b32 s10, s9, 0x7e
	s_mov_b32 s9, 0
	s_branch .LBB78_351
.LBB78_349:
	s_mov_b32 s9, -1
                                        ; implicit-def: $vgpr5
	s_branch .LBB78_354
.LBB78_350:
	s_mov_b32 s9, -1
                                        ; implicit-def: $sgpr10
.LBB78_351:
	v_mov_b32_e32 v5, s10
	s_and_not1_b32 vcc_lo, exec_lo, s9
	s_cbranch_vccnz .LBB78_353
; %bb.352:
	v_add_f32_e64 v5, 0x46800000, |v4|
.LBB78_353:
	s_mov_b32 s9, 0
.LBB78_354:
	s_delay_alu instid0(SALU_CYCLE_1)
	s_and_not1_b32 vcc_lo, exec_lo, s9
	s_cbranch_vccnz .LBB78_356
; %bb.355:
	s_cmp_gt_u32 s8, 0x7f800000
	s_movk_i32 s8, 0x7f
	s_delay_alu instid0(SALU_CYCLE_1) | instskip(NEXT) | instid1(SALU_CYCLE_1)
	s_cselect_b32 s8, s8, 0x7e
	v_mov_b32_e32 v5, s8
.LBB78_356:
	s_lshr_b32 s3, s3, 24
	s_delay_alu instid0(SALU_CYCLE_1)
	s_and_b32 s3, s3, 0x80
	s_delay_alu instid0(VALU_DEP_1) | instid1(SALU_CYCLE_1)
	v_or_b32_e32 v4, s3, v5
	global_store_b8 v[0:1], v4, off
.LBB78_357:
	s_mov_b32 s3, 0
.LBB78_358:
	s_delay_alu instid0(SALU_CYCLE_1)
	s_and_not1_b32 vcc_lo, exec_lo, s3
	s_cbranch_vccnz .LBB78_370
; %bb.359:
	v_cvt_f32_f16_e32 v4, s7
	s_delay_alu instid0(VALU_DEP_1) | instskip(NEXT) | instid1(VALU_DEP_1)
	v_readfirstlane_b32 s3, v4
	s_and_b32 s8, s3, 0x7fffffff
	s_delay_alu instid0(SALU_CYCLE_1)
	s_cmp_lt_u32 s8, 0x47800000
	s_cbranch_scc0 .LBB78_362
; %bb.360:
	s_cmp_gt_u32 s8, 0x387fffff
	s_cbranch_scc0 .LBB78_363
; %bb.361:
	s_bfe_u32 s9, s3, 0x10015
	s_delay_alu instid0(SALU_CYCLE_1) | instskip(NEXT) | instid1(SALU_CYCLE_1)
	s_add_i32 s9, s3, s9
	s_add_i32 s9, s9, 0x80fffff
	s_delay_alu instid0(SALU_CYCLE_1)
	s_lshr_b32 s10, s9, 21
	s_mov_b32 s9, 0
	s_branch .LBB78_364
.LBB78_362:
	s_mov_b32 s9, -1
                                        ; implicit-def: $vgpr5
	s_branch .LBB78_367
.LBB78_363:
	s_mov_b32 s9, -1
                                        ; implicit-def: $sgpr10
.LBB78_364:
	v_mov_b32_e32 v5, s10
	s_and_not1_b32 vcc_lo, exec_lo, s9
	s_cbranch_vccnz .LBB78_366
; %bb.365:
	v_add_f32_e64 v5, 0x43000000, |v4|
.LBB78_366:
	s_mov_b32 s9, 0
.LBB78_367:
	s_delay_alu instid0(SALU_CYCLE_1)
	s_and_not1_b32 vcc_lo, exec_lo, s9
	s_cbranch_vccnz .LBB78_369
; %bb.368:
	s_cmp_gt_u32 s8, 0x7f800000
	s_movk_i32 s8, 0x7f
	s_delay_alu instid0(SALU_CYCLE_1) | instskip(NEXT) | instid1(SALU_CYCLE_1)
	s_cselect_b32 s8, s8, 0x7c
	v_mov_b32_e32 v5, s8
.LBB78_369:
	s_lshr_b32 s3, s3, 24
	s_delay_alu instid0(SALU_CYCLE_1)
	s_and_b32 s3, s3, 0x80
	s_delay_alu instid0(VALU_DEP_1) | instid1(SALU_CYCLE_1)
	v_or_b32_e32 v4, s3, v5
	global_store_b8 v[0:1], v4, off
.LBB78_370:
	s_mov_b32 s3, 0
	s_mov_b32 s9, -1
.LBB78_371:
	s_and_not1_b32 vcc_lo, exec_lo, s3
	s_mov_b32 s8, 0
	s_cbranch_vccnz .LBB78_378
; %bb.372:
	v_cmp_lt_i16_e32 vcc_lo, 14, v2
	s_mov_b32 s3, -1
	s_cbranch_vccz .LBB78_376
; %bb.373:
	v_cmp_eq_u16_e32 vcc_lo, 15, v2
	s_mov_b32 s0, -1
	s_cbranch_vccz .LBB78_375
; %bb.374:
	v_cvt_f32_f16_e32 v4, s7
	v_cmp_o_f16_e64 vcc_lo, s7, s7
	s_mov_b32 s0, 0
	s_mov_b32 s9, -1
	s_delay_alu instid0(VALU_DEP_2) | instskip(NEXT) | instid1(VALU_DEP_1)
	v_bfe_u32 v5, v4, 16, 1
	v_add_nc_u32_e32 v4, v4, v5
	s_delay_alu instid0(VALU_DEP_1) | instskip(NEXT) | instid1(VALU_DEP_1)
	v_add_nc_u32_e32 v4, 0x7fff, v4
	v_lshrrev_b32_e32 v4, 16, v4
	s_delay_alu instid0(VALU_DEP_1)
	v_cndmask_b32_e32 v4, 0x7fc0, v4, vcc_lo
	global_store_b16 v[0:1], v4, off
.LBB78_375:
	s_mov_b32 s3, 0
.LBB78_376:
	s_delay_alu instid0(SALU_CYCLE_1)
	s_and_b32 vcc_lo, exec_lo, s3
	s_cbranch_vccz .LBB78_378
; %bb.377:
	v_cmp_ne_u16_e64 s0, 11, v2
	s_mov_b32 s8, -1
.LBB78_378:
	s_delay_alu instid0(VALU_DEP_1)
	s_and_b32 vcc_lo, exec_lo, s0
	s_mov_b32 s3, s1
	s_cbranch_vccnz .LBB78_450
; %bb.379:
	s_and_not1_b32 vcc_lo, exec_lo, s8
	s_cbranch_vccnz .LBB78_381
.LBB78_380:
	s_and_b32 s0, s7, 0x7fff7fff
	s_mov_b32 s9, -1
	s_cmp_lg_u32 s0, 0
	s_cselect_b32 s0, -1, 0
	s_delay_alu instid0(SALU_CYCLE_1)
	v_cndmask_b32_e64 v4, 0, 1, s0
	global_store_b8 v[0:1], v4, off
.LBB78_381:
.LBB78_382:
	s_and_not1_b32 vcc_lo, exec_lo, s9
	s_cbranch_vccnz .LBB78_683
.LBB78_383:
	s_lshl_b32 s6, s6, 7
	v_cmp_gt_i16_e32 vcc_lo, 11, v2
	v_add_nc_u32_e32 v3, s6, v3
	s_delay_alu instid0(VALU_DEP_1) | instskip(SKIP_1) | instid1(VALU_DEP_1)
	v_ashrrev_i32_e32 v1, 31, v3
	v_add_co_u32 v0, s0, s4, v3
	v_add_co_ci_u32_e64 v1, s0, s5, v1, s0
	s_cbranch_vccnz .LBB78_411
; %bb.384:
	v_cmp_lt_i16_e32 vcc_lo, 25, v2
	s_mov_b32 s10, -1
	s_mov_b32 s8, 0
	s_mov_b32 s9, 0
	;; [unrolled: 1-line block ×3, first 2 shown]
	s_cbranch_vccz .LBB78_462
; %bb.385:
	v_cmp_lt_i16_e32 vcc_lo, 28, v2
	s_cbranch_vccz .LBB78_400
; %bb.386:
	v_cmp_lt_i16_e32 vcc_lo, 43, v2
	;; [unrolled: 3-line block ×3, first 2 shown]
	s_cbranch_vccz .LBB78_390
; %bb.388:
	v_cmp_eq_u16_e32 vcc_lo, 46, v2
	s_mov_b32 s0, -1
	s_mov_b32 s10, 0
	s_cbranch_vccz .LBB78_390
; %bb.389:
	v_cvt_f32_f16_e32 v5, s7
	s_lshr_b32 s0, s7, 16
	s_mov_b32 s9, -1
	v_cvt_f32_f16_e32 v4, s0
	v_cmp_o_f16_e64 vcc_lo, s0, s0
	v_bfe_u32 v7, v5, 16, 1
	s_mov_b32 s0, 0
	s_delay_alu instid0(VALU_DEP_3) | instskip(NEXT) | instid1(VALU_DEP_2)
	v_bfe_u32 v6, v4, 16, 1
	v_add_nc_u32_e32 v5, v5, v7
	s_delay_alu instid0(VALU_DEP_1) | instskip(NEXT) | instid1(VALU_DEP_1)
	v_add_nc_u32_e32 v5, 0x7fff, v5
	v_lshrrev_b32_e32 v5, 16, v5
	s_delay_alu instid0(VALU_DEP_4) | instskip(NEXT) | instid1(VALU_DEP_1)
	v_add_nc_u32_e32 v4, v4, v6
	v_add_nc_u32_e32 v4, 0x7fff, v4
	s_delay_alu instid0(VALU_DEP_1) | instskip(NEXT) | instid1(VALU_DEP_1)
	v_and_b32_e32 v4, 0xffff0000, v4
	v_cndmask_b32_e32 v4, 0x7fc00000, v4, vcc_lo
	v_cmp_o_f16_e64 vcc_lo, s7, s7
	v_cndmask_b32_e32 v5, 0x7fc0, v5, vcc_lo
	s_delay_alu instid0(VALU_DEP_1)
	v_or_b32_e32 v4, v4, v5
	global_store_b32 v[0:1], v4, off
.LBB78_390:
	s_and_b32 vcc_lo, exec_lo, s10
	s_cbranch_vccz .LBB78_395
; %bb.391:
	v_cmp_eq_u16_e32 vcc_lo, 44, v2
	s_mov_b32 s0, -1
	s_cbranch_vccz .LBB78_395
; %bb.392:
	v_cvt_f32_f16_e32 v4, s7
	v_mov_b32_e32 v5, 0xff
	s_delay_alu instid0(VALU_DEP_2) | instskip(NEXT) | instid1(VALU_DEP_1)
	v_readfirstlane_b32 s0, v4
	s_bfe_u32 s9, s0, 0x80017
	s_delay_alu instid0(SALU_CYCLE_1)
	s_cmpk_eq_i32 s9, 0xff
	s_cbranch_scc1 .LBB78_394
; %bb.393:
	s_bitcmp1_b32 s0, 22
	v_lshrrev_b32_e32 v4, 23, v4
	s_cselect_b32 s10, -1, 0
	s_and_b32 s0, s0, 0x3fffff
	s_delay_alu instid0(SALU_CYCLE_1) | instskip(NEXT) | instid1(SALU_CYCLE_1)
	s_or_b32 s0, s9, s0
	s_cmp_lg_u32 s0, 0
	s_cselect_b32 s0, -1, 0
	s_delay_alu instid0(SALU_CYCLE_1) | instskip(NEXT) | instid1(SALU_CYCLE_1)
	s_and_b32 s0, s10, s0
	v_cndmask_b32_e64 v5, 0, 1, s0
	s_delay_alu instid0(VALU_DEP_1)
	v_add_nc_u32_e32 v5, v4, v5
.LBB78_394:
	s_mov_b32 s0, 0
	s_mov_b32 s9, -1
	global_store_b8 v[0:1], v5, off
.LBB78_395:
	s_mov_b32 s10, 0
.LBB78_396:
	s_delay_alu instid0(SALU_CYCLE_1)
	s_and_b32 vcc_lo, exec_lo, s10
	s_cbranch_vccz .LBB78_399
; %bb.397:
	v_cmp_eq_u16_e32 vcc_lo, 29, v2
	s_mov_b32 s0, -1
	s_cbranch_vccz .LBB78_399
; %bb.398:
	v_cvt_f32_f16_e32 v4, s7
	v_mov_b32_e32 v5, 0
	s_mov_b32 s0, 0
	s_mov_b32 s9, -1
	s_delay_alu instid0(VALU_DEP_2)
	v_cvt_u32_f32_e32 v4, v4
	global_store_b64 v[0:1], v[4:5], off
.LBB78_399:
	s_mov_b32 s10, 0
.LBB78_400:
	s_delay_alu instid0(SALU_CYCLE_1)
	s_and_b32 vcc_lo, exec_lo, s10
	s_cbranch_vccz .LBB78_461
; %bb.401:
	v_cmp_gt_i16_e32 vcc_lo, 27, v2
	s_mov_b32 s9, -1
	s_cbranch_vccnz .LBB78_407
; %bb.402:
	v_cmp_lt_i16_e32 vcc_lo, 27, v2
	s_cbranch_vccz .LBB78_404
; %bb.403:
	v_cvt_f32_f16_e32 v4, s7
	s_mov_b32 s9, 0
	s_delay_alu instid0(VALU_DEP_1)
	v_cvt_u32_f32_e32 v4, v4
	global_store_b32 v[0:1], v4, off
.LBB78_404:
	s_and_not1_b32 vcc_lo, exec_lo, s9
	s_cbranch_vccnz .LBB78_406
; %bb.405:
	v_cvt_u16_f16_e32 v4, s7
	global_store_b16 v[0:1], v4, off
.LBB78_406:
	s_mov_b32 s9, 0
.LBB78_407:
	s_delay_alu instid0(SALU_CYCLE_1)
	s_and_not1_b32 vcc_lo, exec_lo, s9
	s_cbranch_vccnz .LBB78_460
; %bb.408:
	v_cvt_f32_f16_e32 v4, s7
	v_mov_b32_e32 v5, 0x80
	s_delay_alu instid0(VALU_DEP_2) | instskip(NEXT) | instid1(VALU_DEP_1)
	v_readfirstlane_b32 s9, v4
	s_and_b32 s10, s9, 0x7fffffff
	s_delay_alu instid0(SALU_CYCLE_1)
	s_cmp_gt_u32 s10, 0x437fffff
	s_cbranch_scc1 .LBB78_459
; %bb.409:
	s_cmp_gt_u32 s10, 0x3bffffff
	s_cbranch_scc0 .LBB78_454
; %bb.410:
	s_bfe_u32 s10, s9, 0x10014
	s_mov_b32 s11, 0
	s_add_i32 s10, s9, s10
	s_delay_alu instid0(SALU_CYCLE_1) | instskip(NEXT) | instid1(SALU_CYCLE_1)
	s_add_i32 s10, s10, 0x487ffff
	s_lshr_b32 s12, s10, 20
	s_mov_b32 s10, -1
	s_branch .LBB78_455
.LBB78_411:
	s_mov_b32 s9, 0
	s_cbranch_execz .LBB78_615
; %bb.412:
	v_cmp_gt_i16_e32 vcc_lo, 5, v2
	s_mov_b32 s0, -1
	s_cbranch_vccnz .LBB78_433
; %bb.413:
	v_cmp_gt_i16_e32 vcc_lo, 8, v2
	s_cbranch_vccnz .LBB78_423
; %bb.414:
	v_cmp_gt_i16_e32 vcc_lo, 9, v2
	s_cbranch_vccnz .LBB78_420
; %bb.415:
	v_cmp_lt_i16_e32 vcc_lo, 9, v2
	s_cbranch_vccz .LBB78_417
; %bb.416:
	s_lshr_b32 s0, s7, 16
	v_cvt_f32_f16_e32 v4, s7
	v_cvt_f32_f16_e32 v6, s0
	s_mov_b32 s0, 0
	s_delay_alu instid0(VALU_DEP_2) | instskip(NEXT) | instid1(VALU_DEP_2)
	v_cvt_f64_f32_e32 v[4:5], v4
	v_cvt_f64_f32_e32 v[6:7], v6
	global_store_b128 v[0:1], v[4:7], off
.LBB78_417:
	s_and_not1_b32 vcc_lo, exec_lo, s0
	s_cbranch_vccnz .LBB78_419
; %bb.418:
	s_lshr_b32 s0, s7, 16
	v_cvt_f32_f16_e32 v4, s7
	v_cvt_f32_f16_e32 v5, s0
	global_store_b64 v[0:1], v[4:5], off
.LBB78_419:
	s_mov_b32 s0, 0
.LBB78_420:
	s_delay_alu instid0(SALU_CYCLE_1)
	s_and_not1_b32 vcc_lo, exec_lo, s0
	s_cbranch_vccnz .LBB78_422
; %bb.421:
	v_mov_b32_e32 v4, s7
	global_store_b32 v[0:1], v4, off
.LBB78_422:
	s_mov_b32 s0, 0
.LBB78_423:
	s_delay_alu instid0(SALU_CYCLE_1)
	s_and_not1_b32 vcc_lo, exec_lo, s0
	s_cbranch_vccnz .LBB78_432
; %bb.424:
	v_cmp_gt_i16_e32 vcc_lo, 6, v2
	s_mov_b32 s0, -1
	s_cbranch_vccnz .LBB78_430
; %bb.425:
	v_cmp_lt_i16_e32 vcc_lo, 6, v2
	s_cbranch_vccz .LBB78_427
; %bb.426:
	v_cvt_f32_f16_e32 v4, s7
	s_mov_b32 s0, 0
	s_delay_alu instid0(VALU_DEP_1)
	v_cvt_f64_f32_e32 v[4:5], v4
	global_store_b64 v[0:1], v[4:5], off
.LBB78_427:
	s_and_not1_b32 vcc_lo, exec_lo, s0
	s_cbranch_vccnz .LBB78_429
; %bb.428:
	v_cvt_f32_f16_e32 v4, s7
	global_store_b32 v[0:1], v4, off
.LBB78_429:
	s_mov_b32 s0, 0
.LBB78_430:
	s_delay_alu instid0(SALU_CYCLE_1)
	s_and_not1_b32 vcc_lo, exec_lo, s0
	s_cbranch_vccnz .LBB78_432
; %bb.431:
	v_mov_b32_e32 v4, s7
	global_store_b16 v[0:1], v4, off
.LBB78_432:
	s_mov_b32 s0, 0
.LBB78_433:
	s_delay_alu instid0(SALU_CYCLE_1)
	s_and_not1_b32 vcc_lo, exec_lo, s0
	s_cbranch_vccnz .LBB78_449
; %bb.434:
	v_cmp_gt_i16_e32 vcc_lo, 2, v2
	s_mov_b32 s0, -1
	s_cbranch_vccnz .LBB78_444
; %bb.435:
	v_cmp_gt_i16_e32 vcc_lo, 3, v2
	s_cbranch_vccnz .LBB78_441
; %bb.436:
	v_cmp_lt_i16_e32 vcc_lo, 3, v2
	s_cbranch_vccz .LBB78_438
; %bb.437:
	v_cvt_f32_f16_e32 v4, s7
	s_mov_b32 s0, 0
	s_delay_alu instid0(VALU_DEP_1) | instskip(NEXT) | instid1(VALU_DEP_1)
	v_cvt_i32_f32_e32 v4, v4
	v_ashrrev_i32_e32 v5, 31, v4
	global_store_b64 v[0:1], v[4:5], off
.LBB78_438:
	s_and_not1_b32 vcc_lo, exec_lo, s0
	s_cbranch_vccnz .LBB78_440
; %bb.439:
	v_cvt_f32_f16_e32 v4, s7
	s_delay_alu instid0(VALU_DEP_1)
	v_cvt_i32_f32_e32 v4, v4
	global_store_b32 v[0:1], v4, off
.LBB78_440:
	s_mov_b32 s0, 0
.LBB78_441:
	s_delay_alu instid0(SALU_CYCLE_1)
	s_and_not1_b32 vcc_lo, exec_lo, s0
	s_cbranch_vccnz .LBB78_443
; %bb.442:
	v_cvt_i16_f16_e32 v4, s7
	global_store_b16 v[0:1], v4, off
.LBB78_443:
	s_mov_b32 s0, 0
.LBB78_444:
	s_delay_alu instid0(SALU_CYCLE_1)
	s_and_not1_b32 vcc_lo, exec_lo, s0
	s_cbranch_vccnz .LBB78_449
; %bb.445:
	v_cmp_lt_i16_e32 vcc_lo, 0, v2
	s_mov_b32 s0, -1
	s_cbranch_vccz .LBB78_447
; %bb.446:
	v_cvt_i16_f16_e32 v4, s7
	s_mov_b32 s0, 0
	global_store_b8 v[0:1], v4, off
.LBB78_447:
	s_and_not1_b32 vcc_lo, exec_lo, s0
	s_cbranch_vccnz .LBB78_449
; %bb.448:
	v_cvt_f32_f16_e32 v4, s7
	s_delay_alu instid0(VALU_DEP_1)
	v_cvt_i32_f32_e32 v4, v4
	global_store_b8 v[0:1], v4, off
.LBB78_449:
	s_branch .LBB78_616
.LBB78_450:
	s_cbranch_execnz .LBB78_452
; %bb.451:
	s_or_b32 s3, s1, exec_lo
	s_cbranch_execz .LBB78_380
	s_branch .LBB78_381
.LBB78_452:
	s_trap 2
	s_sendmsg_rtn_b32 s0, sendmsg(MSG_RTN_GET_DOORBELL)
	s_mov_b32 ttmp2, m0
	s_waitcnt lgkmcnt(0)
	s_and_b32 s0, s0, 0x3ff
	s_delay_alu instid0(SALU_CYCLE_1) | instskip(NEXT) | instid1(SALU_CYCLE_1)
	s_bitset1_b32 s0, 10
	s_mov_b32 m0, s0
	s_sendmsg sendmsg(MSG_INTERRUPT)
	s_mov_b32 m0, ttmp2
.LBB78_453:                             ; =>This Inner Loop Header: Depth=1
	s_sethalt 5
	s_branch .LBB78_453
.LBB78_454:
	s_mov_b32 s11, -1
	s_mov_b32 s10, 0
                                        ; implicit-def: $sgpr12
.LBB78_455:
	v_mov_b32_e32 v4, s12
	s_and_not1_b32 vcc_lo, exec_lo, s11
                                        ; implicit-def: $sgpr11
	s_cbranch_vccnz .LBB78_457
; %bb.456:
	v_add_f32_e64 v4, 0x46000000, |s9|
	s_mov_b32 s11, 0
	s_delay_alu instid0(VALU_DEP_1) | instskip(NEXT) | instid1(VALU_DEP_1)
	v_and_b32_e32 v4, 0xff, v4
	v_cmp_ne_u32_e64 s10, 0, v4
.LBB78_457:
	v_mov_b32_e32 v5, s11
	s_delay_alu instid0(VALU_DEP_2)
	s_and_not1_b32 vcc_lo, exec_lo, s10
	s_cbranch_vccnz .LBB78_459
; %bb.458:
	s_lshr_b32 s9, s9, 24
	s_delay_alu instid0(SALU_CYCLE_1) | instskip(NEXT) | instid1(SALU_CYCLE_1)
	s_and_b32 s9, s9, 0x80
	v_or_b32_e32 v5, s9, v4
.LBB78_459:
	global_store_b8 v[0:1], v5, off
.LBB78_460:
	s_mov_b32 s9, -1
.LBB78_461:
	s_mov_b32 s10, 0
.LBB78_462:
	s_delay_alu instid0(SALU_CYCLE_1)
	s_and_b32 vcc_lo, exec_lo, s10
	s_cbranch_vccz .LBB78_611
; %bb.463:
	v_cmp_lt_i16_e32 vcc_lo, 22, v2
	s_mov_b32 s8, -1
	s_cbranch_vccz .LBB78_604
; %bb.464:
	v_cmp_gt_i16_e32 vcc_lo, 24, v2
	s_cbranch_vccnz .LBB78_591
; %bb.465:
	v_cmp_lt_i16_e32 vcc_lo, 24, v2
	s_cbranch_vccz .LBB78_578
; %bb.466:
	v_cvt_f32_f16_e32 v4, s7
	v_mov_b32_e32 v5, 0x80
	s_delay_alu instid0(VALU_DEP_2) | instskip(NEXT) | instid1(VALU_DEP_1)
	v_readfirstlane_b32 s8, v4
	s_and_b32 s9, s8, 0x7fffffff
	s_delay_alu instid0(SALU_CYCLE_1)
	s_cmp_gt_u32 s9, 0x477fffff
	s_cbranch_scc1 .LBB78_577
; %bb.467:
	s_cmp_gt_u32 s9, 0x37ffffff
	s_cbranch_scc0 .LBB78_572
; %bb.468:
	s_bfe_u32 s9, s8, 0x10015
	s_mov_b32 s10, 0
	s_add_i32 s9, s8, s9
	s_delay_alu instid0(SALU_CYCLE_1) | instskip(NEXT) | instid1(SALU_CYCLE_1)
	s_add_i32 s9, s9, 0x88fffff
	s_lshr_b32 s11, s9, 21
	s_mov_b32 s9, -1
	s_branch .LBB78_573
.LBB78_469:
	s_mov_b32 s35, -1
	s_mov_b32 s34, 0
	s_mov_b32 s1, s30
.LBB78_470:
	s_and_b32 vcc_lo, exec_lo, s35
	s_cbranch_vccz .LBB78_473
; %bb.471:
	v_cmp_eq_u16_e32 vcc_lo, 44, v22
	s_mov_b32 s1, -1
	s_cbranch_vccz .LBB78_473
; %bb.472:
	v_cndmask_b32_e64 v23, v20, 0xff, s0
	s_mov_b32 s34, -1
	s_mov_b32 s1, 0
	global_store_b8 v[10:11], v23, off
.LBB78_473:
	s_mov_b32 s35, 0
.LBB78_474:
	s_delay_alu instid0(SALU_CYCLE_1)
	s_and_b32 vcc_lo, exec_lo, s35
	s_cbranch_vccz .LBB78_477
; %bb.475:
	v_cmp_eq_u16_e32 vcc_lo, 29, v22
	s_mov_b32 s1, -1
	s_cbranch_vccz .LBB78_477
; %bb.476:
	s_mov_b32 s34, -1
	s_mov_b32 s1, 0
	global_store_b64 v[10:11], v[8:9], off
.LBB78_477:
	s_mov_b32 s35, 0
.LBB78_478:
	s_delay_alu instid0(SALU_CYCLE_1)
	s_and_b32 vcc_lo, exec_lo, s35
	s_cbranch_vccz .LBB78_491
; %bb.479:
	v_cmp_gt_i16_e32 vcc_lo, 27, v22
	s_mov_b32 s34, -1
	s_cbranch_vccnz .LBB78_485
; %bb.480:
	v_cmp_lt_i16_e32 vcc_lo, 27, v22
	s_cbranch_vccz .LBB78_482
; %bb.481:
	s_mov_b32 s34, 0
	global_store_b32 v[10:11], v8, off
.LBB78_482:
	s_and_not1_b32 vcc_lo, exec_lo, s34
	s_cbranch_vccnz .LBB78_484
; %bb.483:
	global_store_b16 v[10:11], v18, off
.LBB78_484:
	s_mov_b32 s34, 0
.LBB78_485:
	s_delay_alu instid0(SALU_CYCLE_1)
	s_and_not1_b32 vcc_lo, exec_lo, s34
	s_cbranch_vccnz .LBB78_490
; %bb.486:
	v_mov_b32_e32 v23, 0x80
	s_and_not1_b32 vcc_lo, exec_lo, s25
	s_cbranch_vccnz .LBB78_489
; %bb.487:
	v_mov_b32_e32 v23, 0
	s_or_b32 s34, s22, s26
	s_delay_alu instid0(SALU_CYCLE_1)
	s_and_not1_b32 vcc_lo, exec_lo, s34
	s_cbranch_vccnz .LBB78_489
; %bb.488:
	v_cndmask_b32_e64 v23, v17, s23, s22
	s_delay_alu instid0(VALU_DEP_1)
	v_or_b32_e32 v23, v23, v16
.LBB78_489:
	global_store_b8 v[10:11], v23, off
.LBB78_490:
	s_mov_b32 s34, -1
.LBB78_491:
	s_mov_b32 s35, 0
.LBB78_492:
	s_delay_alu instid0(SALU_CYCLE_1)
	s_and_b32 vcc_lo, exec_lo, s35
	s_cbranch_vccz .LBB78_514
; %bb.493:
	v_cmp_lt_i16_e32 vcc_lo, 22, v22
	s_mov_b32 s35, -1
	s_cbranch_vccz .LBB78_506
; %bb.494:
	v_cmp_gt_i16_e32 vcc_lo, 24, v22
	s_mov_b32 s34, -1
	s_cbranch_vccnz .LBB78_503
; %bb.495:
	v_cmp_lt_i16_e32 vcc_lo, 24, v22
	s_cbranch_vccz .LBB78_500
; %bb.496:
	v_mov_b32_e32 v23, 0x80
	s_and_not1_b32 vcc_lo, exec_lo, s19
	s_cbranch_vccnz .LBB78_499
; %bb.497:
	v_mov_b32_e32 v23, 0
	s_or_b32 s34, s16, s20
	s_delay_alu instid0(SALU_CYCLE_1)
	s_and_not1_b32 vcc_lo, exec_lo, s34
	s_cbranch_vccnz .LBB78_499
; %bb.498:
	v_cndmask_b32_e64 v23, v15, s17, s16
	s_delay_alu instid0(VALU_DEP_1)
	v_or_b32_e32 v23, v23, v16
.LBB78_499:
	s_mov_b32 s34, 0
	global_store_b8 v[10:11], v23, off
.LBB78_500:
	s_and_b32 vcc_lo, exec_lo, s34
	s_cbranch_vccz .LBB78_502
; %bb.501:
	s_and_b32 s34, s14, exec_lo
	s_cselect_b32 s34, s24, s15
	s_and_b32 s35, s12, exec_lo
	s_cselect_b32 s34, s18, s34
	s_delay_alu instid0(SALU_CYCLE_1)
	v_or_b32_e32 v23, s34, v16
	global_store_b8 v[10:11], v23, off
.LBB78_502:
	s_mov_b32 s34, 0
.LBB78_503:
	s_delay_alu instid0(SALU_CYCLE_1)
	s_and_not1_b32 vcc_lo, exec_lo, s34
	s_cbranch_vccnz .LBB78_505
; %bb.504:
	s_and_b32 s34, s10, exec_lo
	s_cselect_b32 s34, s21, s11
	s_and_b32 s35, s9, exec_lo
	s_cselect_b32 s34, s13, s34
	s_delay_alu instid0(SALU_CYCLE_1)
	v_or_b32_e32 v23, s34, v16
	global_store_b8 v[10:11], v23, off
.LBB78_505:
	s_mov_b32 s35, 0
	s_mov_b32 s34, -1
.LBB78_506:
	s_and_not1_b32 vcc_lo, exec_lo, s35
	s_cbranch_vccnz .LBB78_514
; %bb.507:
	v_cmp_lt_i16_e32 vcc_lo, 14, v22
	s_mov_b32 s35, -1
	s_cbranch_vccz .LBB78_511
; %bb.508:
	v_cmp_eq_u16_e32 vcc_lo, 15, v22
	s_mov_b32 s1, -1
	s_cbranch_vccz .LBB78_510
; %bb.509:
	s_mov_b32 s34, -1
	s_mov_b32 s1, 0
	global_store_b16 v[10:11], v14, off
.LBB78_510:
	s_mov_b32 s35, 0
.LBB78_511:
	s_delay_alu instid0(SALU_CYCLE_1)
	s_and_b32 vcc_lo, exec_lo, s35
	s_cbranch_vccz .LBB78_514
; %bb.512:
	v_cmp_eq_u16_e32 vcc_lo, 11, v22
	s_mov_b32 s1, -1
	s_cbranch_vccz .LBB78_514
; %bb.513:
	s_mov_b32 s34, -1
	s_mov_b32 s1, 0
	global_store_b8 v[10:11], v13, off
.LBB78_514:
	s_mov_b32 s35, 0
.LBB78_515:
	s_delay_alu instid0(SALU_CYCLE_1)
	s_and_b32 vcc_lo, exec_lo, s35
	s_cbranch_vccz .LBB78_554
; %bb.516:
	v_cmp_gt_i16_e32 vcc_lo, 5, v22
	s_mov_b32 s34, -1
	s_cbranch_vccnz .LBB78_537
; %bb.517:
	v_cmp_gt_i16_e32 vcc_lo, 8, v22
	s_cbranch_vccnz .LBB78_527
; %bb.518:
	v_cmp_gt_i16_e32 vcc_lo, 9, v22
	s_cbranch_vccnz .LBB78_524
; %bb.519:
	v_cmp_lt_i16_e32 vcc_lo, 9, v22
	s_cbranch_vccz .LBB78_521
; %bb.520:
	s_mov_b32 s34, 0
	global_store_b128 v[10:11], v[0:3], off
.LBB78_521:
	s_and_not1_b32 vcc_lo, exec_lo, s34
	s_cbranch_vccnz .LBB78_523
; %bb.522:
	global_store_b64 v[10:11], v[6:7], off
.LBB78_523:
	s_mov_b32 s34, 0
.LBB78_524:
	s_delay_alu instid0(SALU_CYCLE_1)
	s_and_not1_b32 vcc_lo, exec_lo, s34
	s_cbranch_vccnz .LBB78_526
; %bb.525:
	v_mov_b32_e32 v23, s7
	global_store_b32 v[10:11], v23, off
.LBB78_526:
	s_mov_b32 s34, 0
.LBB78_527:
	s_delay_alu instid0(SALU_CYCLE_1)
	s_and_not1_b32 vcc_lo, exec_lo, s34
	s_cbranch_vccnz .LBB78_536
; %bb.528:
	v_cmp_gt_i16_e32 vcc_lo, 6, v22
	s_mov_b32 s34, -1
	s_cbranch_vccnz .LBB78_534
; %bb.529:
	v_cmp_lt_i16_e32 vcc_lo, 6, v22
	s_cbranch_vccz .LBB78_531
; %bb.530:
	s_mov_b32 s34, 0
	global_store_b64 v[10:11], v[0:1], off
.LBB78_531:
	s_and_not1_b32 vcc_lo, exec_lo, s34
	s_cbranch_vccnz .LBB78_533
; %bb.532:
	global_store_b32 v[10:11], v6, off
.LBB78_533:
	s_mov_b32 s34, 0
.LBB78_534:
	s_delay_alu instid0(SALU_CYCLE_1)
	s_and_not1_b32 vcc_lo, exec_lo, s34
	s_cbranch_vccnz .LBB78_536
; %bb.535:
	v_mov_b32_e32 v23, s7
	global_store_b16 v[10:11], v23, off
.LBB78_536:
	s_mov_b32 s34, 0
.LBB78_537:
	s_delay_alu instid0(SALU_CYCLE_1)
	s_and_not1_b32 vcc_lo, exec_lo, s34
	s_cbranch_vccnz .LBB78_553
; %bb.538:
	v_cmp_gt_i16_e32 vcc_lo, 2, v22
	s_mov_b32 s34, -1
	s_cbranch_vccnz .LBB78_548
; %bb.539:
	v_cmp_gt_i16_e32 vcc_lo, 3, v22
	s_cbranch_vccnz .LBB78_545
; %bb.540:
	v_cmp_lt_i16_e32 vcc_lo, 3, v22
	s_cbranch_vccz .LBB78_542
; %bb.541:
	s_mov_b32 s34, 0
	global_store_b64 v[10:11], v[4:5], off
.LBB78_542:
	s_and_not1_b32 vcc_lo, exec_lo, s34
	s_cbranch_vccnz .LBB78_544
; %bb.543:
	global_store_b32 v[10:11], v4, off
.LBB78_544:
	s_mov_b32 s34, 0
.LBB78_545:
	s_delay_alu instid0(SALU_CYCLE_1)
	s_and_not1_b32 vcc_lo, exec_lo, s34
	s_cbranch_vccnz .LBB78_547
; %bb.546:
	global_store_b16 v[10:11], v12, off
.LBB78_547:
	s_mov_b32 s34, 0
.LBB78_548:
	s_delay_alu instid0(SALU_CYCLE_1)
	s_and_not1_b32 vcc_lo, exec_lo, s34
	s_cbranch_vccnz .LBB78_553
; %bb.549:
	v_cmp_lt_i16_e32 vcc_lo, 0, v22
	s_mov_b32 s34, -1
	s_cbranch_vccz .LBB78_551
; %bb.550:
	s_mov_b32 s34, 0
	global_store_b8 v[10:11], v12, off
.LBB78_551:
	s_and_not1_b32 vcc_lo, exec_lo, s34
	s_cbranch_vccnz .LBB78_553
; %bb.552:
	global_store_b8 v[10:11], v4, off
.LBB78_553:
	s_mov_b32 s34, -1
.LBB78_554:
	s_delay_alu instid0(SALU_CYCLE_1)
	s_and_not1_b32 vcc_lo, exec_lo, s34
	s_cbranch_vccnz .LBB78_556
; %bb.555:
	v_add_nc_u32_e32 v19, 0x80, v19
	s_mov_b32 s35, -1
	s_branch .LBB78_557
.LBB78_556:
	s_mov_b32 s35, 0
                                        ; implicit-def: $vgpr19
.LBB78_557:
	s_and_not1_b32 s34, s30, exec_lo
	s_and_b32 s1, s1, exec_lo
	s_or_not1_b32 s36, s35, exec_lo
	s_or_b32 s34, s34, s1
.LBB78_558:
	s_or_b32 exec_lo, exec_lo, s33
	s_mov_b32 s1, 0
	s_mov_b32 s35, 0
                                        ; implicit-def: $vgpr22
                                        ; implicit-def: $vgpr10_vgpr11
	s_and_saveexec_b32 s33, s36
	s_cbranch_execz .LBB78_789
; %bb.559:
	v_cmp_gt_i32_e32 vcc_lo, s27, v19
	s_mov_b32 s36, s34
                                        ; implicit-def: $vgpr22
                                        ; implicit-def: $vgpr10_vgpr11
	s_and_saveexec_b32 s27, vcc_lo
	s_cbranch_execz .LBB78_788
; %bb.560:
	v_mul_lo_u32 v10, v19, s6
	v_and_b32_e64 v22, 0xff, s8
	s_delay_alu instid0(VALU_DEP_1) | instskip(NEXT) | instid1(VALU_DEP_3)
	v_cmp_gt_i16_e32 vcc_lo, 11, v22
	v_ashrrev_i32_e32 v11, 31, v10
	v_add_co_u32 v10, s1, s4, v10
	s_delay_alu instid0(VALU_DEP_1)
	v_add_co_ci_u32_e64 v11, s1, s5, v11, s1
	s_cbranch_vccnz .LBB78_571
; %bb.561:
	v_cmp_lt_i16_e32 vcc_lo, 25, v22
	s_mov_b32 s35, -1
	s_mov_b32 s1, s34
	s_cbranch_vccz .LBB78_765
; %bb.562:
	v_cmp_lt_i16_e32 vcc_lo, 28, v22
	s_mov_b32 s1, s34
	s_cbranch_vccz .LBB78_752
; %bb.563:
	v_cmp_lt_i16_e32 vcc_lo, 43, v22
	;; [unrolled: 4-line block ×3, first 2 shown]
	s_mov_b32 s1, s34
	s_cbranch_vccz .LBB78_568
; %bb.565:
	v_cmp_eq_u16_e32 vcc_lo, 46, v22
	s_mov_b32 s1, -1
	s_cbranch_vccz .LBB78_567
; %bb.566:
	s_mov_b32 s1, 0
	global_store_b32 v[10:11], v21, off
.LBB78_567:
	s_mov_b32 s35, 0
.LBB78_568:
	s_delay_alu instid0(SALU_CYCLE_1)
	s_and_b32 vcc_lo, exec_lo, s35
	s_cbranch_vccz .LBB78_747
; %bb.569:
	v_cmp_eq_u16_e32 vcc_lo, 44, v22
	s_mov_b32 s1, -1
	s_cbranch_vccz .LBB78_747
; %bb.570:
	v_cndmask_b32_e64 v19, v20, 0xff, s0
	s_mov_b32 s1, 0
	s_mov_b32 s35, 0
	global_store_b8 v[10:11], v19, off
	s_branch .LBB78_748
.LBB78_571:
	s_mov_b32 s9, 0
	s_mov_b32 s0, -1
	s_mov_b32 s1, s34
	s_branch .LBB78_787
.LBB78_572:
	s_mov_b32 s10, -1
	s_mov_b32 s9, 0
                                        ; implicit-def: $sgpr11
.LBB78_573:
	v_mov_b32_e32 v4, s11
	s_and_not1_b32 vcc_lo, exec_lo, s10
                                        ; implicit-def: $sgpr10
	s_cbranch_vccnz .LBB78_575
; %bb.574:
	v_add_f32_e64 v4, 0x42800000, |s8|
	s_mov_b32 s10, 0
	s_delay_alu instid0(VALU_DEP_1) | instskip(NEXT) | instid1(VALU_DEP_1)
	v_and_b32_e32 v4, 0xff, v4
	v_cmp_ne_u32_e64 s9, 0, v4
.LBB78_575:
	v_mov_b32_e32 v5, s10
	s_delay_alu instid0(VALU_DEP_2)
	s_and_not1_b32 vcc_lo, exec_lo, s9
	s_cbranch_vccnz .LBB78_577
; %bb.576:
	s_lshr_b32 s8, s8, 24
	s_delay_alu instid0(SALU_CYCLE_1) | instskip(NEXT) | instid1(SALU_CYCLE_1)
	s_and_b32 s8, s8, 0x80
	v_or_b32_e32 v5, s8, v4
.LBB78_577:
	s_mov_b32 s8, 0
	global_store_b8 v[0:1], v5, off
.LBB78_578:
	s_and_b32 vcc_lo, exec_lo, s8
	s_cbranch_vccz .LBB78_590
; %bb.579:
	v_cvt_f32_f16_e32 v4, s7
	s_delay_alu instid0(VALU_DEP_1) | instskip(NEXT) | instid1(VALU_DEP_1)
	v_readfirstlane_b32 s8, v4
	s_and_b32 s9, s8, 0x7fffffff
	s_delay_alu instid0(SALU_CYCLE_1)
	s_cmp_lt_u32 s9, 0x43f00000
	s_cbranch_scc0 .LBB78_582
; %bb.580:
	s_cmp_gt_u32 s9, 0x3c7fffff
	s_cbranch_scc0 .LBB78_583
; %bb.581:
	s_bfe_u32 s10, s8, 0x10014
	s_delay_alu instid0(SALU_CYCLE_1) | instskip(NEXT) | instid1(SALU_CYCLE_1)
	s_add_i32 s10, s8, s10
	s_add_i32 s10, s10, 0x407ffff
	s_delay_alu instid0(SALU_CYCLE_1)
	s_and_b32 s11, s10, 0xff00000
	s_lshr_b32 s10, s10, 20
	s_cmp_lg_u32 s11, 0x7f00000
	s_cselect_b32 s11, s10, 0x7e
	s_mov_b32 s10, 0
	s_branch .LBB78_584
.LBB78_582:
	s_mov_b32 s10, -1
                                        ; implicit-def: $vgpr5
	s_branch .LBB78_587
.LBB78_583:
	s_mov_b32 s10, -1
                                        ; implicit-def: $sgpr11
.LBB78_584:
	v_mov_b32_e32 v5, s11
	s_and_not1_b32 vcc_lo, exec_lo, s10
	s_cbranch_vccnz .LBB78_586
; %bb.585:
	v_add_f32_e64 v5, 0x46800000, |v4|
.LBB78_586:
	s_mov_b32 s10, 0
.LBB78_587:
	s_delay_alu instid0(SALU_CYCLE_1)
	s_and_not1_b32 vcc_lo, exec_lo, s10
	s_cbranch_vccnz .LBB78_589
; %bb.588:
	s_cmp_gt_u32 s9, 0x7f800000
	s_movk_i32 s9, 0x7f
	s_delay_alu instid0(SALU_CYCLE_1) | instskip(NEXT) | instid1(SALU_CYCLE_1)
	s_cselect_b32 s9, s9, 0x7e
	v_mov_b32_e32 v5, s9
.LBB78_589:
	s_lshr_b32 s8, s8, 24
	s_delay_alu instid0(SALU_CYCLE_1)
	s_and_b32 s8, s8, 0x80
	s_delay_alu instid0(VALU_DEP_1) | instid1(SALU_CYCLE_1)
	v_or_b32_e32 v4, s8, v5
	global_store_b8 v[0:1], v4, off
.LBB78_590:
	s_mov_b32 s8, 0
.LBB78_591:
	s_delay_alu instid0(SALU_CYCLE_1)
	s_and_not1_b32 vcc_lo, exec_lo, s8
	s_cbranch_vccnz .LBB78_603
; %bb.592:
	v_cvt_f32_f16_e32 v4, s7
	s_delay_alu instid0(VALU_DEP_1) | instskip(NEXT) | instid1(VALU_DEP_1)
	v_readfirstlane_b32 s8, v4
	s_and_b32 s9, s8, 0x7fffffff
	s_delay_alu instid0(SALU_CYCLE_1)
	s_cmp_lt_u32 s9, 0x47800000
	s_cbranch_scc0 .LBB78_595
; %bb.593:
	s_cmp_gt_u32 s9, 0x387fffff
	s_cbranch_scc0 .LBB78_596
; %bb.594:
	s_bfe_u32 s10, s8, 0x10015
	s_delay_alu instid0(SALU_CYCLE_1) | instskip(NEXT) | instid1(SALU_CYCLE_1)
	s_add_i32 s10, s8, s10
	s_add_i32 s10, s10, 0x80fffff
	s_delay_alu instid0(SALU_CYCLE_1)
	s_lshr_b32 s11, s10, 21
	s_mov_b32 s10, 0
	s_branch .LBB78_597
.LBB78_595:
	s_mov_b32 s10, -1
                                        ; implicit-def: $vgpr5
	s_branch .LBB78_600
.LBB78_596:
	s_mov_b32 s10, -1
                                        ; implicit-def: $sgpr11
.LBB78_597:
	v_mov_b32_e32 v5, s11
	s_and_not1_b32 vcc_lo, exec_lo, s10
	s_cbranch_vccnz .LBB78_599
; %bb.598:
	v_add_f32_e64 v5, 0x43000000, |v4|
.LBB78_599:
	s_mov_b32 s10, 0
.LBB78_600:
	s_delay_alu instid0(SALU_CYCLE_1)
	s_and_not1_b32 vcc_lo, exec_lo, s10
	s_cbranch_vccnz .LBB78_602
; %bb.601:
	s_cmp_gt_u32 s9, 0x7f800000
	s_movk_i32 s9, 0x7f
	s_delay_alu instid0(SALU_CYCLE_1) | instskip(NEXT) | instid1(SALU_CYCLE_1)
	s_cselect_b32 s9, s9, 0x7c
	v_mov_b32_e32 v5, s9
.LBB78_602:
	s_lshr_b32 s8, s8, 24
	s_delay_alu instid0(SALU_CYCLE_1)
	s_and_b32 s8, s8, 0x80
	s_delay_alu instid0(VALU_DEP_1) | instid1(SALU_CYCLE_1)
	v_or_b32_e32 v4, s8, v5
	global_store_b8 v[0:1], v4, off
.LBB78_603:
	s_mov_b32 s8, 0
	s_mov_b32 s9, -1
.LBB78_604:
	s_and_not1_b32 vcc_lo, exec_lo, s8
	s_mov_b32 s8, 0
	s_cbranch_vccnz .LBB78_611
; %bb.605:
	v_cmp_lt_i16_e32 vcc_lo, 14, v2
	s_mov_b32 s8, -1
	s_cbranch_vccz .LBB78_609
; %bb.606:
	v_cmp_eq_u16_e32 vcc_lo, 15, v2
	s_mov_b32 s0, -1
	s_cbranch_vccz .LBB78_608
; %bb.607:
	v_cvt_f32_f16_e32 v4, s7
	v_cmp_o_f16_e64 vcc_lo, s7, s7
	s_mov_b32 s0, 0
	s_mov_b32 s9, -1
	s_delay_alu instid0(VALU_DEP_2) | instskip(NEXT) | instid1(VALU_DEP_1)
	v_bfe_u32 v5, v4, 16, 1
	v_add_nc_u32_e32 v4, v4, v5
	s_delay_alu instid0(VALU_DEP_1) | instskip(NEXT) | instid1(VALU_DEP_1)
	v_add_nc_u32_e32 v4, 0x7fff, v4
	v_lshrrev_b32_e32 v4, 16, v4
	s_delay_alu instid0(VALU_DEP_1)
	v_cndmask_b32_e32 v4, 0x7fc0, v4, vcc_lo
	global_store_b16 v[0:1], v4, off
.LBB78_608:
	s_mov_b32 s8, 0
.LBB78_609:
	s_delay_alu instid0(SALU_CYCLE_1)
	s_and_b32 vcc_lo, exec_lo, s8
	s_mov_b32 s8, 0
	s_cbranch_vccz .LBB78_611
; %bb.610:
	v_cmp_ne_u16_e64 s0, 11, v2
	s_mov_b32 s8, -1
.LBB78_611:
	s_delay_alu instid0(VALU_DEP_1)
	s_and_b32 vcc_lo, exec_lo, s0
	s_cbranch_vccnz .LBB78_728
; %bb.612:
	s_and_not1_b32 vcc_lo, exec_lo, s8
	s_cbranch_vccnz .LBB78_614
.LBB78_613:
	s_and_b32 s0, s7, 0x7fff7fff
	s_mov_b32 s9, -1
	s_cmp_lg_u32 s0, 0
	s_cselect_b32 s0, -1, 0
	s_delay_alu instid0(SALU_CYCLE_1)
	v_cndmask_b32_e64 v4, 0, 1, s0
	global_store_b8 v[0:1], v4, off
.LBB78_614:
.LBB78_615:
	s_and_not1_b32 vcc_lo, exec_lo, s9
	s_cbranch_vccnz .LBB78_683
.LBB78_616:
	v_add_nc_u32_e32 v3, s6, v3
	v_cmp_gt_i16_e32 vcc_lo, 11, v2
	s_delay_alu instid0(VALU_DEP_2) | instskip(SKIP_1) | instid1(VALU_DEP_1)
	v_ashrrev_i32_e32 v1, 31, v3
	v_add_co_u32 v0, s0, s4, v3
	v_add_co_ci_u32_e64 v1, s0, s5, v1, s0
	s_cbranch_vccnz .LBB78_644
; %bb.617:
	v_cmp_lt_i16_e32 vcc_lo, 25, v2
	s_mov_b32 s10, -1
	s_mov_b32 s8, 0
	s_mov_b32 s9, 0
	;; [unrolled: 1-line block ×3, first 2 shown]
	s_cbranch_vccz .LBB78_740
; %bb.618:
	v_cmp_lt_i16_e32 vcc_lo, 28, v2
	s_cbranch_vccz .LBB78_633
; %bb.619:
	v_cmp_lt_i16_e32 vcc_lo, 43, v2
	;; [unrolled: 3-line block ×3, first 2 shown]
	s_cbranch_vccz .LBB78_623
; %bb.621:
	v_cmp_eq_u16_e32 vcc_lo, 46, v2
	s_mov_b32 s0, -1
	s_mov_b32 s10, 0
	s_cbranch_vccz .LBB78_623
; %bb.622:
	v_cvt_f32_f16_e32 v5, s7
	s_lshr_b32 s0, s7, 16
	s_mov_b32 s9, -1
	v_cvt_f32_f16_e32 v4, s0
	v_cmp_o_f16_e64 vcc_lo, s0, s0
	v_bfe_u32 v7, v5, 16, 1
	s_mov_b32 s0, 0
	s_delay_alu instid0(VALU_DEP_3) | instskip(NEXT) | instid1(VALU_DEP_2)
	v_bfe_u32 v6, v4, 16, 1
	v_add_nc_u32_e32 v5, v5, v7
	s_delay_alu instid0(VALU_DEP_1) | instskip(NEXT) | instid1(VALU_DEP_1)
	v_add_nc_u32_e32 v5, 0x7fff, v5
	v_lshrrev_b32_e32 v5, 16, v5
	s_delay_alu instid0(VALU_DEP_4) | instskip(NEXT) | instid1(VALU_DEP_1)
	v_add_nc_u32_e32 v4, v4, v6
	v_add_nc_u32_e32 v4, 0x7fff, v4
	s_delay_alu instid0(VALU_DEP_1) | instskip(NEXT) | instid1(VALU_DEP_1)
	v_and_b32_e32 v4, 0xffff0000, v4
	v_cndmask_b32_e32 v4, 0x7fc00000, v4, vcc_lo
	v_cmp_o_f16_e64 vcc_lo, s7, s7
	v_cndmask_b32_e32 v5, 0x7fc0, v5, vcc_lo
	s_delay_alu instid0(VALU_DEP_1)
	v_or_b32_e32 v4, v4, v5
	global_store_b32 v[0:1], v4, off
.LBB78_623:
	s_and_b32 vcc_lo, exec_lo, s10
	s_cbranch_vccz .LBB78_628
; %bb.624:
	v_cmp_eq_u16_e32 vcc_lo, 44, v2
	s_mov_b32 s0, -1
	s_cbranch_vccz .LBB78_628
; %bb.625:
	v_cvt_f32_f16_e32 v4, s7
	v_mov_b32_e32 v5, 0xff
	s_delay_alu instid0(VALU_DEP_2) | instskip(NEXT) | instid1(VALU_DEP_1)
	v_readfirstlane_b32 s0, v4
	s_bfe_u32 s9, s0, 0x80017
	s_delay_alu instid0(SALU_CYCLE_1)
	s_cmpk_eq_i32 s9, 0xff
	s_cbranch_scc1 .LBB78_627
; %bb.626:
	s_bitcmp1_b32 s0, 22
	v_lshrrev_b32_e32 v4, 23, v4
	s_cselect_b32 s10, -1, 0
	s_and_b32 s0, s0, 0x3fffff
	s_delay_alu instid0(SALU_CYCLE_1) | instskip(NEXT) | instid1(SALU_CYCLE_1)
	s_or_b32 s0, s9, s0
	s_cmp_lg_u32 s0, 0
	s_cselect_b32 s0, -1, 0
	s_delay_alu instid0(SALU_CYCLE_1) | instskip(NEXT) | instid1(SALU_CYCLE_1)
	s_and_b32 s0, s10, s0
	v_cndmask_b32_e64 v5, 0, 1, s0
	s_delay_alu instid0(VALU_DEP_1)
	v_add_nc_u32_e32 v5, v4, v5
.LBB78_627:
	s_mov_b32 s0, 0
	s_mov_b32 s9, -1
	global_store_b8 v[0:1], v5, off
.LBB78_628:
	s_mov_b32 s10, 0
.LBB78_629:
	s_delay_alu instid0(SALU_CYCLE_1)
	s_and_b32 vcc_lo, exec_lo, s10
	s_cbranch_vccz .LBB78_632
; %bb.630:
	v_cmp_eq_u16_e32 vcc_lo, 29, v2
	s_mov_b32 s0, -1
	s_cbranch_vccz .LBB78_632
; %bb.631:
	v_cvt_f32_f16_e32 v4, s7
	v_mov_b32_e32 v5, 0
	s_mov_b32 s0, 0
	s_mov_b32 s9, -1
	s_delay_alu instid0(VALU_DEP_2)
	v_cvt_u32_f32_e32 v4, v4
	global_store_b64 v[0:1], v[4:5], off
.LBB78_632:
	s_mov_b32 s10, 0
.LBB78_633:
	s_delay_alu instid0(SALU_CYCLE_1)
	s_and_b32 vcc_lo, exec_lo, s10
	s_cbranch_vccz .LBB78_739
; %bb.634:
	v_cmp_gt_i16_e32 vcc_lo, 27, v2
	s_mov_b32 s9, -1
	s_cbranch_vccnz .LBB78_640
; %bb.635:
	v_cmp_lt_i16_e32 vcc_lo, 27, v2
	s_cbranch_vccz .LBB78_637
; %bb.636:
	v_cvt_f32_f16_e32 v4, s7
	s_mov_b32 s9, 0
	s_delay_alu instid0(VALU_DEP_1)
	v_cvt_u32_f32_e32 v4, v4
	global_store_b32 v[0:1], v4, off
.LBB78_637:
	s_and_not1_b32 vcc_lo, exec_lo, s9
	s_cbranch_vccnz .LBB78_639
; %bb.638:
	v_cvt_u16_f16_e32 v4, s7
	global_store_b16 v[0:1], v4, off
.LBB78_639:
	s_mov_b32 s9, 0
.LBB78_640:
	s_delay_alu instid0(SALU_CYCLE_1)
	s_and_not1_b32 vcc_lo, exec_lo, s9
	s_cbranch_vccnz .LBB78_738
; %bb.641:
	v_cvt_f32_f16_e32 v4, s7
	v_mov_b32_e32 v5, 0x80
	s_delay_alu instid0(VALU_DEP_2) | instskip(NEXT) | instid1(VALU_DEP_1)
	v_readfirstlane_b32 s9, v4
	s_and_b32 s10, s9, 0x7fffffff
	s_delay_alu instid0(SALU_CYCLE_1)
	s_cmp_gt_u32 s10, 0x437fffff
	s_cbranch_scc1 .LBB78_737
; %bb.642:
	s_cmp_gt_u32 s10, 0x3bffffff
	s_cbranch_scc0 .LBB78_732
; %bb.643:
	s_bfe_u32 s10, s9, 0x10014
	s_mov_b32 s11, 0
	s_add_i32 s10, s9, s10
	s_delay_alu instid0(SALU_CYCLE_1) | instskip(NEXT) | instid1(SALU_CYCLE_1)
	s_add_i32 s10, s10, 0x487ffff
	s_lshr_b32 s12, s10, 20
	s_mov_b32 s10, -1
	s_branch .LBB78_733
.LBB78_644:
	s_mov_b32 s9, 0
	s_cbranch_execz .LBB78_838
; %bb.645:
	v_cmp_gt_i16_e32 vcc_lo, 5, v2
	s_mov_b32 s0, -1
	s_cbranch_vccnz .LBB78_666
; %bb.646:
	v_cmp_gt_i16_e32 vcc_lo, 8, v2
	s_cbranch_vccnz .LBB78_656
; %bb.647:
	v_cmp_gt_i16_e32 vcc_lo, 9, v2
	s_cbranch_vccnz .LBB78_653
; %bb.648:
	v_cmp_lt_i16_e32 vcc_lo, 9, v2
	s_cbranch_vccz .LBB78_650
; %bb.649:
	s_lshr_b32 s0, s7, 16
	v_cvt_f32_f16_e32 v4, s7
	v_cvt_f32_f16_e32 v6, s0
	s_mov_b32 s0, 0
	s_delay_alu instid0(VALU_DEP_2) | instskip(NEXT) | instid1(VALU_DEP_2)
	v_cvt_f64_f32_e32 v[4:5], v4
	v_cvt_f64_f32_e32 v[6:7], v6
	global_store_b128 v[0:1], v[4:7], off
.LBB78_650:
	s_and_not1_b32 vcc_lo, exec_lo, s0
	s_cbranch_vccnz .LBB78_652
; %bb.651:
	s_lshr_b32 s0, s7, 16
	v_cvt_f32_f16_e32 v4, s7
	v_cvt_f32_f16_e32 v5, s0
	global_store_b64 v[0:1], v[4:5], off
.LBB78_652:
	s_mov_b32 s0, 0
.LBB78_653:
	s_delay_alu instid0(SALU_CYCLE_1)
	s_and_not1_b32 vcc_lo, exec_lo, s0
	s_cbranch_vccnz .LBB78_655
; %bb.654:
	v_mov_b32_e32 v4, s7
	global_store_b32 v[0:1], v4, off
.LBB78_655:
	s_mov_b32 s0, 0
.LBB78_656:
	s_delay_alu instid0(SALU_CYCLE_1)
	s_and_not1_b32 vcc_lo, exec_lo, s0
	s_cbranch_vccnz .LBB78_665
; %bb.657:
	v_cmp_gt_i16_e32 vcc_lo, 6, v2
	s_mov_b32 s0, -1
	s_cbranch_vccnz .LBB78_663
; %bb.658:
	v_cmp_lt_i16_e32 vcc_lo, 6, v2
	s_cbranch_vccz .LBB78_660
; %bb.659:
	v_cvt_f32_f16_e32 v4, s7
	s_mov_b32 s0, 0
	s_delay_alu instid0(VALU_DEP_1)
	v_cvt_f64_f32_e32 v[4:5], v4
	global_store_b64 v[0:1], v[4:5], off
.LBB78_660:
	s_and_not1_b32 vcc_lo, exec_lo, s0
	s_cbranch_vccnz .LBB78_662
; %bb.661:
	v_cvt_f32_f16_e32 v4, s7
	global_store_b32 v[0:1], v4, off
.LBB78_662:
	s_mov_b32 s0, 0
.LBB78_663:
	s_delay_alu instid0(SALU_CYCLE_1)
	s_and_not1_b32 vcc_lo, exec_lo, s0
	s_cbranch_vccnz .LBB78_665
; %bb.664:
	v_mov_b32_e32 v4, s7
	global_store_b16 v[0:1], v4, off
.LBB78_665:
	s_mov_b32 s0, 0
.LBB78_666:
	s_delay_alu instid0(SALU_CYCLE_1)
	s_and_not1_b32 vcc_lo, exec_lo, s0
	s_cbranch_vccnz .LBB78_682
; %bb.667:
	v_cmp_gt_i16_e32 vcc_lo, 2, v2
	s_mov_b32 s0, -1
	s_cbranch_vccnz .LBB78_677
; %bb.668:
	v_cmp_gt_i16_e32 vcc_lo, 3, v2
	s_cbranch_vccnz .LBB78_674
; %bb.669:
	v_cmp_lt_i16_e32 vcc_lo, 3, v2
	s_cbranch_vccz .LBB78_671
; %bb.670:
	v_cvt_f32_f16_e32 v4, s7
	s_mov_b32 s0, 0
	s_delay_alu instid0(VALU_DEP_1) | instskip(NEXT) | instid1(VALU_DEP_1)
	v_cvt_i32_f32_e32 v4, v4
	v_ashrrev_i32_e32 v5, 31, v4
	global_store_b64 v[0:1], v[4:5], off
.LBB78_671:
	s_and_not1_b32 vcc_lo, exec_lo, s0
	s_cbranch_vccnz .LBB78_673
; %bb.672:
	v_cvt_f32_f16_e32 v4, s7
	s_delay_alu instid0(VALU_DEP_1)
	v_cvt_i32_f32_e32 v4, v4
	global_store_b32 v[0:1], v4, off
.LBB78_673:
	s_mov_b32 s0, 0
.LBB78_674:
	s_delay_alu instid0(SALU_CYCLE_1)
	s_and_not1_b32 vcc_lo, exec_lo, s0
	s_cbranch_vccnz .LBB78_676
; %bb.675:
	v_cvt_i16_f16_e32 v4, s7
	global_store_b16 v[0:1], v4, off
.LBB78_676:
	s_mov_b32 s0, 0
.LBB78_677:
	s_delay_alu instid0(SALU_CYCLE_1)
	s_and_not1_b32 vcc_lo, exec_lo, s0
	s_cbranch_vccnz .LBB78_682
; %bb.678:
	v_cmp_lt_i16_e32 vcc_lo, 0, v2
	s_mov_b32 s0, -1
	s_cbranch_vccz .LBB78_680
; %bb.679:
	v_cvt_i16_f16_e32 v4, s7
	s_mov_b32 s0, 0
	global_store_b8 v[0:1], v4, off
.LBB78_680:
	s_and_not1_b32 vcc_lo, exec_lo, s0
	s_cbranch_vccnz .LBB78_682
; %bb.681:
	v_cvt_f32_f16_e32 v4, s7
	s_delay_alu instid0(VALU_DEP_1)
	v_cvt_i32_f32_e32 v4, v4
	global_store_b8 v[0:1], v4, off
.LBB78_682:
	s_branch .LBB78_839
.LBB78_683:
	s_mov_b32 s0, 0
	s_mov_b32 s4, 0
                                        ; implicit-def: $vgpr2
                                        ; implicit-def: $vgpr0_vgpr1
.LBB78_684:
	s_and_not1_b32 s1, s1, exec_lo
	s_and_b32 s5, s3, exec_lo
	s_and_b32 s0, s0, exec_lo
	;; [unrolled: 1-line block ×3, first 2 shown]
	s_or_b32 s1, s1, s5
.LBB78_685:
	s_or_b32 exec_lo, exec_lo, s2
	s_and_saveexec_b32 s2, s1
	s_cbranch_execz .LBB78_688
; %bb.686:
	; divergent unreachable
	s_or_b32 exec_lo, exec_lo, s2
	s_and_saveexec_b32 s1, s3
	s_delay_alu instid0(SALU_CYCLE_1)
	s_xor_b32 s1, exec_lo, s1
	s_cbranch_execnz .LBB78_689
.LBB78_687:
	s_or_b32 exec_lo, exec_lo, s1
	s_and_saveexec_b32 s1, s0
	s_cbranch_execnz .LBB78_690
	s_branch .LBB78_727
.LBB78_688:
	s_or_b32 exec_lo, exec_lo, s2
	s_and_saveexec_b32 s1, s3
	s_delay_alu instid0(SALU_CYCLE_1)
	s_xor_b32 s1, exec_lo, s1
	s_cbranch_execz .LBB78_687
.LBB78_689:
	s_and_b32 s2, s7, 0x7fff7fff
	s_delay_alu instid0(SALU_CYCLE_1) | instskip(SKIP_1) | instid1(SALU_CYCLE_1)
	s_cmp_lg_u32 s2, 0
	s_cselect_b32 s2, -1, 0
	v_cndmask_b32_e64 v3, 0, 1, s2
	global_store_b8 v[0:1], v3, off
	s_or_b32 exec_lo, exec_lo, s1
	s_and_saveexec_b32 s1, s0
	s_cbranch_execz .LBB78_727
.LBB78_690:
	v_cmp_gt_i16_e32 vcc_lo, 5, v2
	s_mov_b32 s0, -1
	s_cbranch_vccnz .LBB78_711
; %bb.691:
	v_cmp_gt_i16_e32 vcc_lo, 8, v2
	s_cbranch_vccnz .LBB78_701
; %bb.692:
	v_cmp_gt_i16_e32 vcc_lo, 9, v2
	s_cbranch_vccnz .LBB78_698
; %bb.693:
	v_cmp_lt_i16_e32 vcc_lo, 9, v2
	s_cbranch_vccz .LBB78_695
; %bb.694:
	s_lshr_b32 s0, s7, 16
	v_cvt_f32_f16_e32 v3, s7
	v_cvt_f32_f16_e32 v5, s0
	s_mov_b32 s0, 0
	s_delay_alu instid0(VALU_DEP_2) | instskip(NEXT) | instid1(VALU_DEP_2)
	v_cvt_f64_f32_e32 v[3:4], v3
	v_cvt_f64_f32_e32 v[5:6], v5
	global_store_b128 v[0:1], v[3:6], off
.LBB78_695:
	s_and_not1_b32 vcc_lo, exec_lo, s0
	s_cbranch_vccnz .LBB78_697
; %bb.696:
	s_lshr_b32 s0, s7, 16
	v_cvt_f32_f16_e32 v3, s7
	v_cvt_f32_f16_e32 v4, s0
	global_store_b64 v[0:1], v[3:4], off
.LBB78_697:
	s_mov_b32 s0, 0
.LBB78_698:
	s_delay_alu instid0(SALU_CYCLE_1)
	s_and_not1_b32 vcc_lo, exec_lo, s0
	s_cbranch_vccnz .LBB78_700
; %bb.699:
	v_mov_b32_e32 v3, s7
	global_store_b32 v[0:1], v3, off
.LBB78_700:
	s_mov_b32 s0, 0
.LBB78_701:
	s_delay_alu instid0(SALU_CYCLE_1)
	s_and_not1_b32 vcc_lo, exec_lo, s0
	s_cbranch_vccnz .LBB78_710
; %bb.702:
	v_cmp_gt_i16_e32 vcc_lo, 6, v2
	s_mov_b32 s0, -1
	s_cbranch_vccnz .LBB78_708
; %bb.703:
	v_cmp_lt_i16_e32 vcc_lo, 6, v2
	s_cbranch_vccz .LBB78_705
; %bb.704:
	v_cvt_f32_f16_e32 v3, s7
	s_mov_b32 s0, 0
	s_delay_alu instid0(VALU_DEP_1)
	v_cvt_f64_f32_e32 v[3:4], v3
	global_store_b64 v[0:1], v[3:4], off
.LBB78_705:
	s_and_not1_b32 vcc_lo, exec_lo, s0
	s_cbranch_vccnz .LBB78_707
; %bb.706:
	v_cvt_f32_f16_e32 v3, s7
	global_store_b32 v[0:1], v3, off
.LBB78_707:
	s_mov_b32 s0, 0
.LBB78_708:
	s_delay_alu instid0(SALU_CYCLE_1)
	s_and_not1_b32 vcc_lo, exec_lo, s0
	s_cbranch_vccnz .LBB78_710
; %bb.709:
	v_mov_b32_e32 v3, s7
	global_store_b16 v[0:1], v3, off
.LBB78_710:
	s_mov_b32 s0, 0
.LBB78_711:
	s_delay_alu instid0(SALU_CYCLE_1)
	s_and_not1_b32 vcc_lo, exec_lo, s0
	s_cbranch_vccnz .LBB78_727
; %bb.712:
	v_cmp_gt_i16_e32 vcc_lo, 2, v2
	s_mov_b32 s0, -1
	s_cbranch_vccnz .LBB78_722
; %bb.713:
	v_cmp_gt_i16_e32 vcc_lo, 3, v2
	s_cbranch_vccnz .LBB78_719
; %bb.714:
	v_cmp_lt_i16_e32 vcc_lo, 3, v2
	s_cbranch_vccz .LBB78_716
; %bb.715:
	v_cvt_f32_f16_e32 v3, s7
	s_mov_b32 s0, 0
	s_delay_alu instid0(VALU_DEP_1) | instskip(NEXT) | instid1(VALU_DEP_1)
	v_cvt_i32_f32_e32 v3, v3
	v_ashrrev_i32_e32 v4, 31, v3
	global_store_b64 v[0:1], v[3:4], off
.LBB78_716:
	s_and_not1_b32 vcc_lo, exec_lo, s0
	s_cbranch_vccnz .LBB78_718
; %bb.717:
	v_cvt_f32_f16_e32 v3, s7
	s_delay_alu instid0(VALU_DEP_1)
	v_cvt_i32_f32_e32 v3, v3
	global_store_b32 v[0:1], v3, off
.LBB78_718:
	s_mov_b32 s0, 0
.LBB78_719:
	s_delay_alu instid0(SALU_CYCLE_1)
	s_and_not1_b32 vcc_lo, exec_lo, s0
	s_cbranch_vccnz .LBB78_721
; %bb.720:
	v_cvt_i16_f16_e32 v3, s7
	global_store_b16 v[0:1], v3, off
.LBB78_721:
	s_mov_b32 s0, 0
.LBB78_722:
	s_delay_alu instid0(SALU_CYCLE_1)
	s_and_not1_b32 vcc_lo, exec_lo, s0
	s_cbranch_vccnz .LBB78_727
; %bb.723:
	v_cmp_lt_i16_e32 vcc_lo, 0, v2
	s_mov_b32 s0, -1
	s_cbranch_vccz .LBB78_725
; %bb.724:
	v_cvt_i16_f16_e32 v2, s7
	s_mov_b32 s0, 0
	global_store_b8 v[0:1], v2, off
.LBB78_725:
	s_and_not1_b32 vcc_lo, exec_lo, s0
	s_cbranch_vccnz .LBB78_727
; %bb.726:
	v_cvt_f32_f16_e32 v2, s7
	s_delay_alu instid0(VALU_DEP_1)
	v_cvt_i32_f32_e32 v2, v2
	global_store_b8 v[0:1], v2, off
	s_nop 0
	s_sendmsg sendmsg(MSG_DEALLOC_VGPRS)
	s_endpgm
.LBB78_727:
	s_nop 0
	s_sendmsg sendmsg(MSG_DEALLOC_VGPRS)
	s_endpgm
.LBB78_728:
	s_cbranch_execnz .LBB78_730
; %bb.729:
	s_or_b32 s3, s3, exec_lo
	s_cbranch_execz .LBB78_613
	s_branch .LBB78_614
.LBB78_730:
	s_trap 2
	s_sendmsg_rtn_b32 s0, sendmsg(MSG_RTN_GET_DOORBELL)
	s_mov_b32 ttmp2, m0
	s_waitcnt lgkmcnt(0)
	s_and_b32 s0, s0, 0x3ff
	s_delay_alu instid0(SALU_CYCLE_1) | instskip(NEXT) | instid1(SALU_CYCLE_1)
	s_bitset1_b32 s0, 10
	s_mov_b32 m0, s0
	s_sendmsg sendmsg(MSG_INTERRUPT)
	s_mov_b32 m0, ttmp2
.LBB78_731:                             ; =>This Inner Loop Header: Depth=1
	s_sethalt 5
	s_branch .LBB78_731
.LBB78_732:
	s_mov_b32 s11, -1
	s_mov_b32 s10, 0
                                        ; implicit-def: $sgpr12
.LBB78_733:
	v_mov_b32_e32 v4, s12
	s_and_not1_b32 vcc_lo, exec_lo, s11
                                        ; implicit-def: $sgpr11
	s_cbranch_vccnz .LBB78_735
; %bb.734:
	v_add_f32_e64 v4, 0x46000000, |s9|
	s_mov_b32 s11, 0
	s_delay_alu instid0(VALU_DEP_1) | instskip(NEXT) | instid1(VALU_DEP_1)
	v_and_b32_e32 v4, 0xff, v4
	v_cmp_ne_u32_e64 s10, 0, v4
.LBB78_735:
	v_mov_b32_e32 v5, s11
	s_delay_alu instid0(VALU_DEP_2)
	s_and_not1_b32 vcc_lo, exec_lo, s10
	s_cbranch_vccnz .LBB78_737
; %bb.736:
	s_lshr_b32 s9, s9, 24
	s_delay_alu instid0(SALU_CYCLE_1) | instskip(NEXT) | instid1(SALU_CYCLE_1)
	s_and_b32 s9, s9, 0x80
	v_or_b32_e32 v5, s9, v4
.LBB78_737:
	global_store_b8 v[0:1], v5, off
.LBB78_738:
	s_mov_b32 s9, -1
.LBB78_739:
	s_mov_b32 s10, 0
.LBB78_740:
	s_delay_alu instid0(SALU_CYCLE_1)
	s_and_b32 vcc_lo, exec_lo, s10
	s_cbranch_vccz .LBB78_834
; %bb.741:
	v_cmp_lt_i16_e32 vcc_lo, 22, v2
	s_mov_b32 s8, -1
	s_cbranch_vccz .LBB78_827
; %bb.742:
	v_cmp_gt_i16_e32 vcc_lo, 24, v2
	s_cbranch_vccnz .LBB78_814
; %bb.743:
	v_cmp_lt_i16_e32 vcc_lo, 24, v2
	s_cbranch_vccz .LBB78_801
; %bb.744:
	v_cvt_f32_f16_e32 v4, s7
	v_mov_b32_e32 v5, 0x80
	s_delay_alu instid0(VALU_DEP_2) | instskip(NEXT) | instid1(VALU_DEP_1)
	v_readfirstlane_b32 s8, v4
	s_and_b32 s9, s8, 0x7fffffff
	s_delay_alu instid0(SALU_CYCLE_1)
	s_cmp_gt_u32 s9, 0x477fffff
	s_cbranch_scc1 .LBB78_800
; %bb.745:
	s_cmp_gt_u32 s9, 0x37ffffff
	s_cbranch_scc0 .LBB78_795
; %bb.746:
	s_bfe_u32 s9, s8, 0x10015
	s_mov_b32 s10, 0
	s_add_i32 s9, s8, s9
	s_delay_alu instid0(SALU_CYCLE_1) | instskip(NEXT) | instid1(SALU_CYCLE_1)
	s_add_i32 s9, s9, 0x88fffff
	s_lshr_b32 s11, s9, 21
	s_mov_b32 s9, -1
	s_branch .LBB78_796
.LBB78_747:
	s_mov_b32 s35, 0
.LBB78_748:
	s_delay_alu instid0(SALU_CYCLE_1)
	s_and_b32 vcc_lo, exec_lo, s35
	s_cbranch_vccz .LBB78_751
; %bb.749:
	v_cmp_eq_u16_e32 vcc_lo, 29, v22
	s_mov_b32 s1, -1
	s_cbranch_vccz .LBB78_751
; %bb.750:
	s_mov_b32 s1, 0
	global_store_b64 v[10:11], v[8:9], off
.LBB78_751:
	s_mov_b32 s35, 0
.LBB78_752:
	s_delay_alu instid0(SALU_CYCLE_1)
	s_and_b32 vcc_lo, exec_lo, s35
	s_cbranch_vccz .LBB78_764
; %bb.753:
	v_cmp_gt_i16_e32 vcc_lo, 27, v22
	s_mov_b32 s0, -1
	s_cbranch_vccnz .LBB78_759
; %bb.754:
	v_cmp_lt_i16_e32 vcc_lo, 27, v22
	s_cbranch_vccz .LBB78_756
; %bb.755:
	s_mov_b32 s0, 0
	global_store_b32 v[10:11], v8, off
.LBB78_756:
	s_and_not1_b32 vcc_lo, exec_lo, s0
	s_cbranch_vccnz .LBB78_758
; %bb.757:
	global_store_b16 v[10:11], v18, off
.LBB78_758:
	s_mov_b32 s0, 0
.LBB78_759:
	s_delay_alu instid0(SALU_CYCLE_1)
	s_and_not1_b32 vcc_lo, exec_lo, s0
	s_cbranch_vccnz .LBB78_764
; %bb.760:
	v_mov_b32_e32 v8, 0x80
	s_and_not1_b32 vcc_lo, exec_lo, s25
	s_cbranch_vccnz .LBB78_763
; %bb.761:
	v_mov_b32_e32 v8, 0
	s_or_b32 s0, s22, s26
	s_delay_alu instid0(SALU_CYCLE_1)
	s_and_not1_b32 vcc_lo, exec_lo, s0
	s_cbranch_vccnz .LBB78_763
; %bb.762:
	v_cndmask_b32_e64 v8, v17, s23, s22
	s_delay_alu instid0(VALU_DEP_1)
	v_or_b32_e32 v8, v8, v16
.LBB78_763:
	global_store_b8 v[10:11], v8, off
.LBB78_764:
	s_mov_b32 s35, 0
.LBB78_765:
	s_delay_alu instid0(SALU_CYCLE_1)
	s_and_b32 vcc_lo, exec_lo, s35
	s_mov_b32 s0, 0
	s_cbranch_vccz .LBB78_786
; %bb.766:
	v_cmp_lt_i16_e32 vcc_lo, 22, v22
	s_mov_b32 s22, -1
	s_cbranch_vccz .LBB78_779
; %bb.767:
	v_cmp_gt_i16_e32 vcc_lo, 24, v22
	s_cbranch_vccnz .LBB78_776
; %bb.768:
	v_cmp_lt_i16_e32 vcc_lo, 24, v22
	s_cbranch_vccz .LBB78_773
; %bb.769:
	v_mov_b32_e32 v8, 0x80
	s_and_not1_b32 vcc_lo, exec_lo, s19
	s_cbranch_vccnz .LBB78_772
; %bb.770:
	v_mov_b32_e32 v8, 0
	s_or_b32 s19, s16, s20
	s_delay_alu instid0(SALU_CYCLE_1)
	s_and_not1_b32 vcc_lo, exec_lo, s19
	s_cbranch_vccnz .LBB78_772
; %bb.771:
	v_cndmask_b32_e64 v8, v15, s17, s16
	s_delay_alu instid0(VALU_DEP_1)
	v_or_b32_e32 v8, v8, v16
.LBB78_772:
	s_mov_b32 s22, 0
	global_store_b8 v[10:11], v8, off
.LBB78_773:
	s_and_b32 vcc_lo, exec_lo, s22
	s_cbranch_vccz .LBB78_775
; %bb.774:
	s_and_b32 s14, s14, exec_lo
	s_cselect_b32 s14, s24, s15
	s_and_b32 s12, s12, exec_lo
	s_cselect_b32 s12, s18, s14
	s_delay_alu instid0(SALU_CYCLE_1)
	v_or_b32_e32 v8, s12, v16
	global_store_b8 v[10:11], v8, off
.LBB78_775:
	s_mov_b32 s22, 0
.LBB78_776:
	s_delay_alu instid0(SALU_CYCLE_1)
	s_and_not1_b32 vcc_lo, exec_lo, s22
	s_cbranch_vccnz .LBB78_778
; %bb.777:
	s_and_b32 s10, s10, exec_lo
	s_cselect_b32 s10, s21, s11
	s_and_b32 s9, s9, exec_lo
	s_cselect_b32 s9, s13, s10
	s_delay_alu instid0(SALU_CYCLE_1)
	v_or_b32_e32 v8, s9, v16
	global_store_b8 v[10:11], v8, off
.LBB78_778:
	s_mov_b32 s22, 0
.LBB78_779:
	s_delay_alu instid0(SALU_CYCLE_1)
	s_and_not1_b32 vcc_lo, exec_lo, s22
	s_mov_b32 s9, 0
	s_cbranch_vccnz .LBB78_787
; %bb.780:
	v_cmp_lt_i16_e32 vcc_lo, 14, v22
	s_mov_b32 s9, -1
	s_cbranch_vccz .LBB78_784
; %bb.781:
	v_cmp_eq_u16_e32 vcc_lo, 15, v22
	s_mov_b32 s1, -1
	s_cbranch_vccz .LBB78_783
; %bb.782:
	s_mov_b32 s1, 0
	global_store_b16 v[10:11], v14, off
.LBB78_783:
	s_mov_b32 s9, 0
.LBB78_784:
	s_delay_alu instid0(SALU_CYCLE_1)
	s_and_b32 vcc_lo, exec_lo, s9
	s_mov_b32 s9, 0
	s_cbranch_vccz .LBB78_787
; %bb.785:
	v_cmp_ne_u16_e32 vcc_lo, 11, v22
	s_and_not1_b32 s1, s1, exec_lo
	s_mov_b32 s9, -1
	s_and_b32 s10, vcc_lo, exec_lo
	s_delay_alu instid0(SALU_CYCLE_1)
	s_or_b32 s1, s1, s10
	s_branch .LBB78_787
.LBB78_786:
	s_mov_b32 s9, 0
.LBB78_787:
	s_and_b32 s35, s0, exec_lo
	s_and_not1_b32 s0, s34, exec_lo
	s_and_b32 s10, s1, exec_lo
	s_and_b32 s1, s9, exec_lo
	s_or_b32 s36, s0, s10
.LBB78_788:
	s_or_b32 exec_lo, exec_lo, s27
	s_delay_alu instid0(SALU_CYCLE_1)
	s_and_not1_b32 s0, s34, exec_lo
	s_and_b32 s9, s36, exec_lo
	s_and_b32 s35, s35, exec_lo
	;; [unrolled: 1-line block ×3, first 2 shown]
	s_or_b32 s34, s0, s9
.LBB78_789:
	s_or_b32 exec_lo, exec_lo, s33
	s_delay_alu instid0(SALU_CYCLE_1)
	s_and_not1_b32 s0, s30, exec_lo
	s_and_b32 s9, s34, exec_lo
	s_and_b32 s35, s35, exec_lo
	;; [unrolled: 1-line block ×3, first 2 shown]
	s_or_b32 s30, s0, s9
.LBB78_790:
	s_or_b32 exec_lo, exec_lo, s31
	s_delay_alu instid0(SALU_CYCLE_1)
	s_and_not1_b32 s0, s28, exec_lo
	s_and_b32 s9, s30, exec_lo
	s_and_b32 s1, s35, exec_lo
	;; [unrolled: 1-line block ×3, first 2 shown]
	s_or_b32 s28, s0, s9
	s_or_b32 exec_lo, exec_lo, s29
	s_mov_b32 s0, 0
	s_and_saveexec_b32 s9, s28
	s_cbranch_execz .LBB78_110
.LBB78_791:
	s_cbranch_execnz .LBB78_793
; %bb.792:
	s_mov_b32 s0, exec_lo
	s_and_not1_b32 s30, s30, exec_lo
	s_or_b32 exec_lo, exec_lo, s9
	s_and_saveexec_b32 s9, s30
	s_delay_alu instid0(SALU_CYCLE_1)
	s_xor_b32 s9, exec_lo, s9
	s_cbranch_execnz .LBB78_111
	s_branch .LBB78_112
.LBB78_793:
	s_trap 2
	s_sendmsg_rtn_b32 s0, sendmsg(MSG_RTN_GET_DOORBELL)
	s_mov_b32 ttmp2, m0
	s_waitcnt lgkmcnt(0)
	s_and_b32 s0, s0, 0x3ff
	s_delay_alu instid0(SALU_CYCLE_1) | instskip(NEXT) | instid1(SALU_CYCLE_1)
	s_bitset1_b32 s0, 10
	s_mov_b32 m0, s0
	s_sendmsg sendmsg(MSG_INTERRUPT)
	s_mov_b32 m0, ttmp2
.LBB78_794:                             ; =>This Inner Loop Header: Depth=1
	s_sethalt 5
	s_branch .LBB78_794
.LBB78_795:
	s_mov_b32 s10, -1
	s_mov_b32 s9, 0
                                        ; implicit-def: $sgpr11
.LBB78_796:
	v_mov_b32_e32 v4, s11
	s_and_not1_b32 vcc_lo, exec_lo, s10
                                        ; implicit-def: $sgpr10
	s_cbranch_vccnz .LBB78_798
; %bb.797:
	v_add_f32_e64 v4, 0x42800000, |s8|
	s_mov_b32 s10, 0
	s_delay_alu instid0(VALU_DEP_1) | instskip(NEXT) | instid1(VALU_DEP_1)
	v_and_b32_e32 v4, 0xff, v4
	v_cmp_ne_u32_e64 s9, 0, v4
.LBB78_798:
	v_mov_b32_e32 v5, s10
	s_delay_alu instid0(VALU_DEP_2)
	s_and_not1_b32 vcc_lo, exec_lo, s9
	s_cbranch_vccnz .LBB78_800
; %bb.799:
	s_lshr_b32 s8, s8, 24
	s_delay_alu instid0(SALU_CYCLE_1) | instskip(NEXT) | instid1(SALU_CYCLE_1)
	s_and_b32 s8, s8, 0x80
	v_or_b32_e32 v5, s8, v4
.LBB78_800:
	s_mov_b32 s8, 0
	global_store_b8 v[0:1], v5, off
.LBB78_801:
	s_and_b32 vcc_lo, exec_lo, s8
	s_cbranch_vccz .LBB78_813
; %bb.802:
	v_cvt_f32_f16_e32 v4, s7
	s_delay_alu instid0(VALU_DEP_1) | instskip(NEXT) | instid1(VALU_DEP_1)
	v_readfirstlane_b32 s8, v4
	s_and_b32 s9, s8, 0x7fffffff
	s_delay_alu instid0(SALU_CYCLE_1)
	s_cmp_lt_u32 s9, 0x43f00000
	s_cbranch_scc0 .LBB78_805
; %bb.803:
	s_cmp_gt_u32 s9, 0x3c7fffff
	s_cbranch_scc0 .LBB78_806
; %bb.804:
	s_bfe_u32 s10, s8, 0x10014
	s_delay_alu instid0(SALU_CYCLE_1) | instskip(NEXT) | instid1(SALU_CYCLE_1)
	s_add_i32 s10, s8, s10
	s_add_i32 s10, s10, 0x407ffff
	s_delay_alu instid0(SALU_CYCLE_1)
	s_and_b32 s11, s10, 0xff00000
	s_lshr_b32 s10, s10, 20
	s_cmp_lg_u32 s11, 0x7f00000
	s_cselect_b32 s11, s10, 0x7e
	s_mov_b32 s10, 0
	s_branch .LBB78_807
.LBB78_805:
	s_mov_b32 s10, -1
                                        ; implicit-def: $vgpr5
	s_branch .LBB78_810
.LBB78_806:
	s_mov_b32 s10, -1
                                        ; implicit-def: $sgpr11
.LBB78_807:
	v_mov_b32_e32 v5, s11
	s_and_not1_b32 vcc_lo, exec_lo, s10
	s_cbranch_vccnz .LBB78_809
; %bb.808:
	v_add_f32_e64 v5, 0x46800000, |v4|
.LBB78_809:
	s_mov_b32 s10, 0
.LBB78_810:
	s_delay_alu instid0(SALU_CYCLE_1)
	s_and_not1_b32 vcc_lo, exec_lo, s10
	s_cbranch_vccnz .LBB78_812
; %bb.811:
	s_cmp_gt_u32 s9, 0x7f800000
	s_movk_i32 s9, 0x7f
	s_delay_alu instid0(SALU_CYCLE_1) | instskip(NEXT) | instid1(SALU_CYCLE_1)
	s_cselect_b32 s9, s9, 0x7e
	v_mov_b32_e32 v5, s9
.LBB78_812:
	s_lshr_b32 s8, s8, 24
	s_delay_alu instid0(SALU_CYCLE_1)
	s_and_b32 s8, s8, 0x80
	s_delay_alu instid0(VALU_DEP_1) | instid1(SALU_CYCLE_1)
	v_or_b32_e32 v4, s8, v5
	global_store_b8 v[0:1], v4, off
.LBB78_813:
	s_mov_b32 s8, 0
.LBB78_814:
	s_delay_alu instid0(SALU_CYCLE_1)
	s_and_not1_b32 vcc_lo, exec_lo, s8
	s_cbranch_vccnz .LBB78_826
; %bb.815:
	v_cvt_f32_f16_e32 v4, s7
	s_delay_alu instid0(VALU_DEP_1) | instskip(NEXT) | instid1(VALU_DEP_1)
	v_readfirstlane_b32 s8, v4
	s_and_b32 s9, s8, 0x7fffffff
	s_delay_alu instid0(SALU_CYCLE_1)
	s_cmp_lt_u32 s9, 0x47800000
	s_cbranch_scc0 .LBB78_818
; %bb.816:
	s_cmp_gt_u32 s9, 0x387fffff
	s_cbranch_scc0 .LBB78_819
; %bb.817:
	s_bfe_u32 s10, s8, 0x10015
	s_delay_alu instid0(SALU_CYCLE_1) | instskip(NEXT) | instid1(SALU_CYCLE_1)
	s_add_i32 s10, s8, s10
	s_add_i32 s10, s10, 0x80fffff
	s_delay_alu instid0(SALU_CYCLE_1)
	s_lshr_b32 s11, s10, 21
	s_mov_b32 s10, 0
	s_branch .LBB78_820
.LBB78_818:
	s_mov_b32 s10, -1
                                        ; implicit-def: $vgpr5
	s_branch .LBB78_823
.LBB78_819:
	s_mov_b32 s10, -1
                                        ; implicit-def: $sgpr11
.LBB78_820:
	v_mov_b32_e32 v5, s11
	s_and_not1_b32 vcc_lo, exec_lo, s10
	s_cbranch_vccnz .LBB78_822
; %bb.821:
	v_add_f32_e64 v5, 0x43000000, |v4|
.LBB78_822:
	s_mov_b32 s10, 0
.LBB78_823:
	s_delay_alu instid0(SALU_CYCLE_1)
	s_and_not1_b32 vcc_lo, exec_lo, s10
	s_cbranch_vccnz .LBB78_825
; %bb.824:
	s_cmp_gt_u32 s9, 0x7f800000
	s_movk_i32 s9, 0x7f
	s_delay_alu instid0(SALU_CYCLE_1) | instskip(NEXT) | instid1(SALU_CYCLE_1)
	s_cselect_b32 s9, s9, 0x7c
	v_mov_b32_e32 v5, s9
.LBB78_825:
	s_lshr_b32 s8, s8, 24
	s_delay_alu instid0(SALU_CYCLE_1)
	s_and_b32 s8, s8, 0x80
	s_delay_alu instid0(VALU_DEP_1) | instid1(SALU_CYCLE_1)
	v_or_b32_e32 v4, s8, v5
	global_store_b8 v[0:1], v4, off
.LBB78_826:
	s_mov_b32 s8, 0
	s_mov_b32 s9, -1
.LBB78_827:
	s_and_not1_b32 vcc_lo, exec_lo, s8
	s_mov_b32 s8, 0
	s_cbranch_vccnz .LBB78_834
; %bb.828:
	v_cmp_lt_i16_e32 vcc_lo, 14, v2
	s_mov_b32 s8, -1
	s_cbranch_vccz .LBB78_832
; %bb.829:
	v_cmp_eq_u16_e32 vcc_lo, 15, v2
	s_mov_b32 s0, -1
	s_cbranch_vccz .LBB78_831
; %bb.830:
	v_cvt_f32_f16_e32 v4, s7
	v_cmp_o_f16_e64 vcc_lo, s7, s7
	s_mov_b32 s0, 0
	s_mov_b32 s9, -1
	s_delay_alu instid0(VALU_DEP_2) | instskip(NEXT) | instid1(VALU_DEP_1)
	v_bfe_u32 v5, v4, 16, 1
	v_add_nc_u32_e32 v4, v4, v5
	s_delay_alu instid0(VALU_DEP_1) | instskip(NEXT) | instid1(VALU_DEP_1)
	v_add_nc_u32_e32 v4, 0x7fff, v4
	v_lshrrev_b32_e32 v4, 16, v4
	s_delay_alu instid0(VALU_DEP_1)
	v_cndmask_b32_e32 v4, 0x7fc0, v4, vcc_lo
	global_store_b16 v[0:1], v4, off
.LBB78_831:
	s_mov_b32 s8, 0
.LBB78_832:
	s_delay_alu instid0(SALU_CYCLE_1)
	s_and_b32 vcc_lo, exec_lo, s8
	s_mov_b32 s8, 0
	s_cbranch_vccz .LBB78_834
; %bb.833:
	v_cmp_ne_u16_e64 s0, 11, v2
	s_mov_b32 s8, -1
.LBB78_834:
	s_delay_alu instid0(VALU_DEP_1)
	s_and_b32 vcc_lo, exec_lo, s0
	s_cbranch_vccnz .LBB78_869
; %bb.835:
	s_and_not1_b32 vcc_lo, exec_lo, s8
	s_cbranch_vccnz .LBB78_837
.LBB78_836:
	s_and_b32 s0, s7, 0x7fff7fff
	s_mov_b32 s9, -1
	s_cmp_lg_u32 s0, 0
	s_cselect_b32 s0, -1, 0
	s_delay_alu instid0(SALU_CYCLE_1)
	v_cndmask_b32_e64 v4, 0, 1, s0
	global_store_b8 v[0:1], v4, off
.LBB78_837:
.LBB78_838:
	s_and_not1_b32 vcc_lo, exec_lo, s9
	s_cbranch_vccnz .LBB78_683
.LBB78_839:
	v_add_nc_u32_e32 v0, s6, v3
	v_cmp_gt_i16_e32 vcc_lo, 11, v2
	s_delay_alu instid0(VALU_DEP_2) | instskip(SKIP_1) | instid1(VALU_DEP_1)
	v_ashrrev_i32_e32 v1, 31, v0
	v_add_co_u32 v0, s0, s4, v0
	v_add_co_ci_u32_e64 v1, s0, s5, v1, s0
	s_cbranch_vccnz .LBB78_868
; %bb.840:
	v_cmp_lt_i16_e32 vcc_lo, 25, v2
	s_mov_b32 s5, -1
	s_mov_b32 s4, 0
	s_mov_b32 s0, 0
	s_cbranch_vccz .LBB78_880
; %bb.841:
	v_cmp_lt_i16_e32 vcc_lo, 28, v2
	s_cbranch_vccz .LBB78_857
; %bb.842:
	v_cmp_lt_i16_e32 vcc_lo, 43, v2
	s_cbranch_vccz .LBB78_853
; %bb.843:
	v_cmp_lt_i16_e32 vcc_lo, 45, v2
	s_cbranch_vccz .LBB78_847
; %bb.844:
	v_cmp_eq_u16_e32 vcc_lo, 46, v2
	s_mov_b32 s0, -1
	s_cbranch_vccz .LBB78_846
; %bb.845:
	v_cvt_f32_f16_e32 v4, s7
	s_lshr_b32 s0, s7, 16
	s_delay_alu instid0(SALU_CYCLE_1) | instskip(SKIP_1) | instid1(VALU_DEP_3)
	v_cvt_f32_f16_e32 v3, s0
	v_cmp_o_f16_e64 vcc_lo, s0, s0
	v_bfe_u32 v6, v4, 16, 1
	s_mov_b32 s0, 0
	s_delay_alu instid0(VALU_DEP_3) | instskip(NEXT) | instid1(VALU_DEP_2)
	v_bfe_u32 v5, v3, 16, 1
	v_add_nc_u32_e32 v4, v4, v6
	s_delay_alu instid0(VALU_DEP_1) | instskip(NEXT) | instid1(VALU_DEP_1)
	v_add_nc_u32_e32 v4, 0x7fff, v4
	v_lshrrev_b32_e32 v4, 16, v4
	s_delay_alu instid0(VALU_DEP_4) | instskip(NEXT) | instid1(VALU_DEP_1)
	v_add_nc_u32_e32 v3, v3, v5
	v_add_nc_u32_e32 v3, 0x7fff, v3
	s_delay_alu instid0(VALU_DEP_1) | instskip(NEXT) | instid1(VALU_DEP_1)
	v_and_b32_e32 v3, 0xffff0000, v3
	v_cndmask_b32_e32 v3, 0x7fc00000, v3, vcc_lo
	v_cmp_o_f16_e64 vcc_lo, s7, s7
	v_cndmask_b32_e32 v4, 0x7fc0, v4, vcc_lo
	s_delay_alu instid0(VALU_DEP_1)
	v_or_b32_e32 v3, v3, v4
	global_store_b32 v[0:1], v3, off
.LBB78_846:
	s_mov_b32 s5, 0
.LBB78_847:
	s_delay_alu instid0(SALU_CYCLE_1)
	s_and_b32 vcc_lo, exec_lo, s5
	s_cbranch_vccz .LBB78_852
; %bb.848:
	v_cmp_eq_u16_e32 vcc_lo, 44, v2
	s_mov_b32 s0, -1
	s_cbranch_vccz .LBB78_852
; %bb.849:
	v_cvt_f32_f16_e32 v3, s7
	v_mov_b32_e32 v4, 0xff
	s_delay_alu instid0(VALU_DEP_2) | instskip(NEXT) | instid1(VALU_DEP_1)
	v_readfirstlane_b32 s0, v3
	s_bfe_u32 s5, s0, 0x80017
	s_delay_alu instid0(SALU_CYCLE_1)
	s_cmpk_eq_i32 s5, 0xff
	s_cbranch_scc1 .LBB78_851
; %bb.850:
	s_bitcmp1_b32 s0, 22
	v_lshrrev_b32_e32 v3, 23, v3
	s_cselect_b32 s6, -1, 0
	s_and_b32 s0, s0, 0x3fffff
	s_delay_alu instid0(SALU_CYCLE_1) | instskip(NEXT) | instid1(SALU_CYCLE_1)
	s_or_b32 s0, s5, s0
	s_cmp_lg_u32 s0, 0
	s_cselect_b32 s0, -1, 0
	s_delay_alu instid0(SALU_CYCLE_1) | instskip(NEXT) | instid1(SALU_CYCLE_1)
	s_and_b32 s0, s6, s0
	v_cndmask_b32_e64 v4, 0, 1, s0
	s_delay_alu instid0(VALU_DEP_1)
	v_add_nc_u32_e32 v4, v3, v4
.LBB78_851:
	s_mov_b32 s0, 0
	global_store_b8 v[0:1], v4, off
.LBB78_852:
	s_mov_b32 s5, 0
.LBB78_853:
	s_delay_alu instid0(SALU_CYCLE_1)
	s_and_b32 vcc_lo, exec_lo, s5
	s_cbranch_vccz .LBB78_856
; %bb.854:
	v_cmp_eq_u16_e32 vcc_lo, 29, v2
	s_mov_b32 s0, -1
	s_cbranch_vccz .LBB78_856
; %bb.855:
	v_cvt_f32_f16_e32 v3, s7
	v_mov_b32_e32 v4, 0
	s_mov_b32 s0, 0
	s_delay_alu instid0(VALU_DEP_2)
	v_cvt_u32_f32_e32 v3, v3
	global_store_b64 v[0:1], v[3:4], off
.LBB78_856:
	s_mov_b32 s5, 0
.LBB78_857:
	s_delay_alu instid0(SALU_CYCLE_1)
	s_and_b32 vcc_lo, exec_lo, s5
	s_cbranch_vccz .LBB78_879
; %bb.858:
	v_cmp_gt_i16_e32 vcc_lo, 27, v2
	s_mov_b32 s5, -1
	s_cbranch_vccnz .LBB78_864
; %bb.859:
	v_cmp_lt_i16_e32 vcc_lo, 27, v2
	s_cbranch_vccz .LBB78_861
; %bb.860:
	v_cvt_f32_f16_e32 v3, s7
	s_mov_b32 s5, 0
	s_delay_alu instid0(VALU_DEP_1)
	v_cvt_u32_f32_e32 v3, v3
	global_store_b32 v[0:1], v3, off
.LBB78_861:
	s_and_not1_b32 vcc_lo, exec_lo, s5
	s_cbranch_vccnz .LBB78_863
; %bb.862:
	v_cvt_u16_f16_e32 v3, s7
	global_store_b16 v[0:1], v3, off
.LBB78_863:
	s_mov_b32 s5, 0
.LBB78_864:
	s_delay_alu instid0(SALU_CYCLE_1)
	s_and_not1_b32 vcc_lo, exec_lo, s5
	s_cbranch_vccnz .LBB78_879
; %bb.865:
	v_cvt_f32_f16_e32 v3, s7
	v_mov_b32_e32 v4, 0x80
	s_delay_alu instid0(VALU_DEP_2) | instskip(NEXT) | instid1(VALU_DEP_1)
	v_readfirstlane_b32 s5, v3
	s_and_b32 s6, s5, 0x7fffffff
	s_delay_alu instid0(SALU_CYCLE_1)
	s_cmp_gt_u32 s6, 0x437fffff
	s_cbranch_scc1 .LBB78_878
; %bb.866:
	s_cmp_gt_u32 s6, 0x3bffffff
	s_cbranch_scc0 .LBB78_873
; %bb.867:
	s_bfe_u32 s6, s5, 0x10014
	s_mov_b32 s8, 0
	s_add_i32 s6, s5, s6
	s_delay_alu instid0(SALU_CYCLE_1) | instskip(NEXT) | instid1(SALU_CYCLE_1)
	s_add_i32 s6, s6, 0x487ffff
	s_lshr_b32 s9, s6, 20
	s_mov_b32 s6, -1
	s_branch .LBB78_874
.LBB78_868:
	s_mov_b32 s4, 0
	s_mov_b32 s0, -1
	s_branch .LBB78_684
.LBB78_869:
	s_cbranch_execnz .LBB78_871
; %bb.870:
	s_or_b32 s3, s3, exec_lo
	s_cbranch_execz .LBB78_836
	s_branch .LBB78_837
.LBB78_871:
	s_trap 2
	s_sendmsg_rtn_b32 s0, sendmsg(MSG_RTN_GET_DOORBELL)
	s_mov_b32 ttmp2, m0
	s_waitcnt lgkmcnt(0)
	s_and_b32 s0, s0, 0x3ff
	s_delay_alu instid0(SALU_CYCLE_1) | instskip(NEXT) | instid1(SALU_CYCLE_1)
	s_bitset1_b32 s0, 10
	s_mov_b32 m0, s0
	s_sendmsg sendmsg(MSG_INTERRUPT)
	s_mov_b32 m0, ttmp2
.LBB78_872:                             ; =>This Inner Loop Header: Depth=1
	s_sethalt 5
	s_branch .LBB78_872
.LBB78_873:
	s_mov_b32 s8, -1
	s_mov_b32 s6, 0
                                        ; implicit-def: $sgpr9
.LBB78_874:
	v_mov_b32_e32 v3, s9
	s_and_not1_b32 vcc_lo, exec_lo, s8
                                        ; implicit-def: $sgpr8
	s_cbranch_vccnz .LBB78_876
; %bb.875:
	v_add_f32_e64 v3, 0x46000000, |s5|
	s_mov_b32 s8, 0
	s_delay_alu instid0(VALU_DEP_1) | instskip(NEXT) | instid1(VALU_DEP_1)
	v_and_b32_e32 v3, 0xff, v3
	v_cmp_ne_u32_e64 s6, 0, v3
.LBB78_876:
	v_mov_b32_e32 v4, s8
	s_delay_alu instid0(VALU_DEP_2)
	s_and_not1_b32 vcc_lo, exec_lo, s6
	s_cbranch_vccnz .LBB78_878
; %bb.877:
	s_lshr_b32 s5, s5, 24
	s_delay_alu instid0(SALU_CYCLE_1) | instskip(NEXT) | instid1(SALU_CYCLE_1)
	s_and_b32 s5, s5, 0x80
	v_or_b32_e32 v4, s5, v3
.LBB78_878:
	global_store_b8 v[0:1], v4, off
.LBB78_879:
	s_mov_b32 s5, 0
.LBB78_880:
	s_delay_alu instid0(SALU_CYCLE_1)
	s_and_b32 vcc_lo, exec_lo, s5
	s_cbranch_vccz .LBB78_926
; %bb.881:
	v_cmp_lt_i16_e32 vcc_lo, 22, v2
	s_mov_b32 s4, -1
	s_cbranch_vccz .LBB78_919
; %bb.882:
	v_cmp_gt_i16_e32 vcc_lo, 24, v2
	s_cbranch_vccnz .LBB78_906
; %bb.883:
	v_cmp_lt_i16_e32 vcc_lo, 24, v2
	s_cbranch_vccz .LBB78_893
; %bb.884:
	v_cvt_f32_f16_e32 v3, s7
	v_mov_b32_e32 v4, 0x80
	s_delay_alu instid0(VALU_DEP_2) | instskip(NEXT) | instid1(VALU_DEP_1)
	v_readfirstlane_b32 s4, v3
	s_and_b32 s5, s4, 0x7fffffff
	s_delay_alu instid0(SALU_CYCLE_1)
	s_cmp_gt_u32 s5, 0x477fffff
	s_cbranch_scc1 .LBB78_892
; %bb.885:
	s_cmp_gt_u32 s5, 0x37ffffff
	s_cbranch_scc0 .LBB78_887
; %bb.886:
	s_bfe_u32 s5, s4, 0x10015
	s_mov_b32 s6, 0
	s_add_i32 s5, s4, s5
	s_delay_alu instid0(SALU_CYCLE_1) | instskip(NEXT) | instid1(SALU_CYCLE_1)
	s_add_i32 s5, s5, 0x88fffff
	s_lshr_b32 s8, s5, 21
	s_mov_b32 s5, -1
	s_branch .LBB78_888
.LBB78_887:
	s_mov_b32 s6, -1
	s_mov_b32 s5, 0
                                        ; implicit-def: $sgpr8
.LBB78_888:
	v_mov_b32_e32 v3, s8
	s_and_not1_b32 vcc_lo, exec_lo, s6
                                        ; implicit-def: $sgpr6
	s_cbranch_vccnz .LBB78_890
; %bb.889:
	v_add_f32_e64 v3, 0x42800000, |s4|
	s_mov_b32 s6, 0
	s_delay_alu instid0(VALU_DEP_1) | instskip(NEXT) | instid1(VALU_DEP_1)
	v_and_b32_e32 v3, 0xff, v3
	v_cmp_ne_u32_e64 s5, 0, v3
.LBB78_890:
	v_mov_b32_e32 v4, s6
	s_delay_alu instid0(VALU_DEP_2)
	s_and_not1_b32 vcc_lo, exec_lo, s5
	s_cbranch_vccnz .LBB78_892
; %bb.891:
	s_lshr_b32 s4, s4, 24
	s_delay_alu instid0(SALU_CYCLE_1) | instskip(NEXT) | instid1(SALU_CYCLE_1)
	s_and_b32 s4, s4, 0x80
	v_or_b32_e32 v4, s4, v3
.LBB78_892:
	s_mov_b32 s4, 0
	global_store_b8 v[0:1], v4, off
.LBB78_893:
	s_and_b32 vcc_lo, exec_lo, s4
	s_cbranch_vccz .LBB78_905
; %bb.894:
	v_cvt_f32_f16_e32 v3, s7
	s_delay_alu instid0(VALU_DEP_1) | instskip(NEXT) | instid1(VALU_DEP_1)
	v_readfirstlane_b32 s4, v3
	s_and_b32 s5, s4, 0x7fffffff
	s_delay_alu instid0(SALU_CYCLE_1)
	s_cmp_lt_u32 s5, 0x43f00000
	s_cbranch_scc0 .LBB78_897
; %bb.895:
	s_cmp_gt_u32 s5, 0x3c7fffff
	s_cbranch_scc0 .LBB78_898
; %bb.896:
	s_bfe_u32 s6, s4, 0x10014
	s_delay_alu instid0(SALU_CYCLE_1) | instskip(NEXT) | instid1(SALU_CYCLE_1)
	s_add_i32 s6, s4, s6
	s_add_i32 s6, s6, 0x407ffff
	s_delay_alu instid0(SALU_CYCLE_1)
	s_and_b32 s8, s6, 0xff00000
	s_lshr_b32 s6, s6, 20
	s_cmp_lg_u32 s8, 0x7f00000
	s_cselect_b32 s8, s6, 0x7e
	s_mov_b32 s6, 0
	s_branch .LBB78_899
.LBB78_897:
	s_mov_b32 s6, -1
                                        ; implicit-def: $vgpr4
	s_branch .LBB78_902
.LBB78_898:
	s_mov_b32 s6, -1
                                        ; implicit-def: $sgpr8
.LBB78_899:
	v_mov_b32_e32 v4, s8
	s_and_not1_b32 vcc_lo, exec_lo, s6
	s_cbranch_vccnz .LBB78_901
; %bb.900:
	v_add_f32_e64 v4, 0x46800000, |v3|
.LBB78_901:
	s_mov_b32 s6, 0
.LBB78_902:
	s_delay_alu instid0(SALU_CYCLE_1)
	s_and_not1_b32 vcc_lo, exec_lo, s6
	s_cbranch_vccnz .LBB78_904
; %bb.903:
	s_cmp_gt_u32 s5, 0x7f800000
	s_movk_i32 s5, 0x7f
	s_delay_alu instid0(SALU_CYCLE_1) | instskip(NEXT) | instid1(SALU_CYCLE_1)
	s_cselect_b32 s5, s5, 0x7e
	v_mov_b32_e32 v4, s5
.LBB78_904:
	s_lshr_b32 s4, s4, 24
	s_delay_alu instid0(SALU_CYCLE_1)
	s_and_b32 s4, s4, 0x80
	s_delay_alu instid0(VALU_DEP_1) | instid1(SALU_CYCLE_1)
	v_or_b32_e32 v3, s4, v4
	global_store_b8 v[0:1], v3, off
.LBB78_905:
	s_mov_b32 s4, 0
.LBB78_906:
	s_delay_alu instid0(SALU_CYCLE_1)
	s_and_not1_b32 vcc_lo, exec_lo, s4
	s_cbranch_vccnz .LBB78_918
; %bb.907:
	v_cvt_f32_f16_e32 v3, s7
	s_delay_alu instid0(VALU_DEP_1) | instskip(NEXT) | instid1(VALU_DEP_1)
	v_readfirstlane_b32 s4, v3
	s_and_b32 s5, s4, 0x7fffffff
	s_delay_alu instid0(SALU_CYCLE_1)
	s_cmp_lt_u32 s5, 0x47800000
	s_cbranch_scc0 .LBB78_910
; %bb.908:
	s_cmp_gt_u32 s5, 0x387fffff
	s_cbranch_scc0 .LBB78_911
; %bb.909:
	s_bfe_u32 s6, s4, 0x10015
	s_delay_alu instid0(SALU_CYCLE_1) | instskip(NEXT) | instid1(SALU_CYCLE_1)
	s_add_i32 s6, s4, s6
	s_add_i32 s6, s6, 0x80fffff
	s_delay_alu instid0(SALU_CYCLE_1)
	s_lshr_b32 s8, s6, 21
	s_mov_b32 s6, 0
	s_branch .LBB78_912
.LBB78_910:
	s_mov_b32 s6, -1
                                        ; implicit-def: $vgpr4
	s_branch .LBB78_915
.LBB78_911:
	s_mov_b32 s6, -1
                                        ; implicit-def: $sgpr8
.LBB78_912:
	v_mov_b32_e32 v4, s8
	s_and_not1_b32 vcc_lo, exec_lo, s6
	s_cbranch_vccnz .LBB78_914
; %bb.913:
	v_add_f32_e64 v4, 0x43000000, |v3|
.LBB78_914:
	s_mov_b32 s6, 0
.LBB78_915:
	s_delay_alu instid0(SALU_CYCLE_1)
	s_and_not1_b32 vcc_lo, exec_lo, s6
	s_cbranch_vccnz .LBB78_917
; %bb.916:
	s_cmp_gt_u32 s5, 0x7f800000
	s_movk_i32 s5, 0x7f
	s_delay_alu instid0(SALU_CYCLE_1) | instskip(NEXT) | instid1(SALU_CYCLE_1)
	s_cselect_b32 s5, s5, 0x7c
	v_mov_b32_e32 v4, s5
.LBB78_917:
	s_lshr_b32 s4, s4, 24
	s_delay_alu instid0(SALU_CYCLE_1)
	s_and_b32 s4, s4, 0x80
	s_delay_alu instid0(VALU_DEP_1) | instid1(SALU_CYCLE_1)
	v_or_b32_e32 v3, s4, v4
	global_store_b8 v[0:1], v3, off
.LBB78_918:
	s_mov_b32 s4, 0
.LBB78_919:
	s_delay_alu instid0(SALU_CYCLE_1)
	s_and_not1_b32 vcc_lo, exec_lo, s4
	s_mov_b32 s4, 0
	s_cbranch_vccnz .LBB78_926
; %bb.920:
	v_cmp_lt_i16_e32 vcc_lo, 14, v2
	s_mov_b32 s4, -1
	s_cbranch_vccz .LBB78_924
; %bb.921:
	v_cmp_eq_u16_e32 vcc_lo, 15, v2
	s_mov_b32 s0, -1
	s_cbranch_vccz .LBB78_923
; %bb.922:
	v_cvt_f32_f16_e32 v3, s7
	v_cmp_o_f16_e64 vcc_lo, s7, s7
	s_mov_b32 s0, 0
	s_delay_alu instid0(VALU_DEP_2) | instskip(NEXT) | instid1(VALU_DEP_1)
	v_bfe_u32 v4, v3, 16, 1
	v_add_nc_u32_e32 v3, v3, v4
	s_delay_alu instid0(VALU_DEP_1) | instskip(NEXT) | instid1(VALU_DEP_1)
	v_add_nc_u32_e32 v3, 0x7fff, v3
	v_lshrrev_b32_e32 v3, 16, v3
	s_delay_alu instid0(VALU_DEP_1)
	v_cndmask_b32_e32 v3, 0x7fc0, v3, vcc_lo
	global_store_b16 v[0:1], v3, off
.LBB78_923:
	s_mov_b32 s4, 0
.LBB78_924:
	s_delay_alu instid0(SALU_CYCLE_1)
	s_and_b32 vcc_lo, exec_lo, s4
	s_mov_b32 s4, 0
	s_cbranch_vccz .LBB78_926
; %bb.925:
	v_cmp_ne_u16_e64 s0, 11, v2
	s_mov_b32 s4, -1
.LBB78_926:
	s_delay_alu instid0(VALU_DEP_1)
	s_and_b32 vcc_lo, exec_lo, s0
	s_cbranch_vccnz .LBB78_928
.LBB78_927:
	s_mov_b32 s0, 0
	s_branch .LBB78_684
.LBB78_928:
	s_cbranch_execnz .LBB78_930
; %bb.929:
	s_mov_b32 s4, 0
	s_or_b32 s3, s3, exec_lo
	s_branch .LBB78_927
.LBB78_930:
	s_trap 2
	s_sendmsg_rtn_b32 s0, sendmsg(MSG_RTN_GET_DOORBELL)
	s_mov_b32 ttmp2, m0
	s_waitcnt lgkmcnt(0)
	s_and_b32 s0, s0, 0x3ff
	s_delay_alu instid0(SALU_CYCLE_1) | instskip(NEXT) | instid1(SALU_CYCLE_1)
	s_bitset1_b32 s0, 10
	s_mov_b32 m0, s0
	s_sendmsg sendmsg(MSG_INTERRUPT)
	s_mov_b32 m0, ttmp2
.LBB78_931:                             ; =>This Inner Loop Header: Depth=1
	s_sethalt 5
	s_branch .LBB78_931
	.section	.rodata,"a",@progbits
	.p2align	6, 0x0
	.amdhsa_kernel _ZN2at6native32elementwise_kernel_manual_unrollILi128ELi4EZNS0_15gpu_kernel_implINS0_11FillFunctorIN3c107complexINS4_4HalfEEEEEEEvRNS_18TensorIteratorBaseERKT_EUlibE_EEviT1_
		.amdhsa_group_segment_fixed_size 0
		.amdhsa_private_segment_fixed_size 0
		.amdhsa_kernarg_size 32
		.amdhsa_user_sgpr_count 15
		.amdhsa_user_sgpr_dispatch_ptr 0
		.amdhsa_user_sgpr_queue_ptr 0
		.amdhsa_user_sgpr_kernarg_segment_ptr 1
		.amdhsa_user_sgpr_dispatch_id 0
		.amdhsa_user_sgpr_private_segment_size 0
		.amdhsa_wavefront_size32 1
		.amdhsa_uses_dynamic_stack 0
		.amdhsa_enable_private_segment 0
		.amdhsa_system_sgpr_workgroup_id_x 1
		.amdhsa_system_sgpr_workgroup_id_y 0
		.amdhsa_system_sgpr_workgroup_id_z 0
		.amdhsa_system_sgpr_workgroup_info 0
		.amdhsa_system_vgpr_workitem_id 0
		.amdhsa_next_free_vgpr 24
		.amdhsa_next_free_sgpr 37
		.amdhsa_reserve_vcc 1
		.amdhsa_float_round_mode_32 0
		.amdhsa_float_round_mode_16_64 0
		.amdhsa_float_denorm_mode_32 3
		.amdhsa_float_denorm_mode_16_64 3
		.amdhsa_dx10_clamp 1
		.amdhsa_ieee_mode 1
		.amdhsa_fp16_overflow 0
		.amdhsa_workgroup_processor_mode 1
		.amdhsa_memory_ordered 1
		.amdhsa_forward_progress 0
		.amdhsa_shared_vgpr_count 0
		.amdhsa_exception_fp_ieee_invalid_op 0
		.amdhsa_exception_fp_denorm_src 0
		.amdhsa_exception_fp_ieee_div_zero 0
		.amdhsa_exception_fp_ieee_overflow 0
		.amdhsa_exception_fp_ieee_underflow 0
		.amdhsa_exception_fp_ieee_inexact 0
		.amdhsa_exception_int_div_zero 0
	.end_amdhsa_kernel
	.section	.text._ZN2at6native32elementwise_kernel_manual_unrollILi128ELi4EZNS0_15gpu_kernel_implINS0_11FillFunctorIN3c107complexINS4_4HalfEEEEEEEvRNS_18TensorIteratorBaseERKT_EUlibE_EEviT1_,"axG",@progbits,_ZN2at6native32elementwise_kernel_manual_unrollILi128ELi4EZNS0_15gpu_kernel_implINS0_11FillFunctorIN3c107complexINS4_4HalfEEEEEEEvRNS_18TensorIteratorBaseERKT_EUlibE_EEviT1_,comdat
.Lfunc_end78:
	.size	_ZN2at6native32elementwise_kernel_manual_unrollILi128ELi4EZNS0_15gpu_kernel_implINS0_11FillFunctorIN3c107complexINS4_4HalfEEEEEEEvRNS_18TensorIteratorBaseERKT_EUlibE_EEviT1_, .Lfunc_end78-_ZN2at6native32elementwise_kernel_manual_unrollILi128ELi4EZNS0_15gpu_kernel_implINS0_11FillFunctorIN3c107complexINS4_4HalfEEEEEEEvRNS_18TensorIteratorBaseERKT_EUlibE_EEviT1_
                                        ; -- End function
	.section	.AMDGPU.csdata,"",@progbits
; Kernel info:
; codeLenInByte = 14252
; NumSgprs: 39
; NumVgprs: 24
; ScratchSize: 0
; MemoryBound: 0
; FloatMode: 240
; IeeeMode: 1
; LDSByteSize: 0 bytes/workgroup (compile time only)
; SGPRBlocks: 4
; VGPRBlocks: 2
; NumSGPRsForWavesPerEU: 39
; NumVGPRsForWavesPerEU: 24
; Occupancy: 16
; WaveLimiterHint : 0
; COMPUTE_PGM_RSRC2:SCRATCH_EN: 0
; COMPUTE_PGM_RSRC2:USER_SGPR: 15
; COMPUTE_PGM_RSRC2:TRAP_HANDLER: 0
; COMPUTE_PGM_RSRC2:TGID_X_EN: 1
; COMPUTE_PGM_RSRC2:TGID_Y_EN: 0
; COMPUTE_PGM_RSRC2:TGID_Z_EN: 0
; COMPUTE_PGM_RSRC2:TIDIG_COMP_CNT: 0
	.section	.text._ZN2at6native32elementwise_kernel_manual_unrollILi128ELi4EZNS0_15gpu_kernel_implINS0_11FillFunctorIN3c107complexINS4_4HalfEEEEEEEvRNS_18TensorIteratorBaseERKT_EUlibE0_EEviT1_,"axG",@progbits,_ZN2at6native32elementwise_kernel_manual_unrollILi128ELi4EZNS0_15gpu_kernel_implINS0_11FillFunctorIN3c107complexINS4_4HalfEEEEEEEvRNS_18TensorIteratorBaseERKT_EUlibE0_EEviT1_,comdat
	.protected	_ZN2at6native32elementwise_kernel_manual_unrollILi128ELi4EZNS0_15gpu_kernel_implINS0_11FillFunctorIN3c107complexINS4_4HalfEEEEEEEvRNS_18TensorIteratorBaseERKT_EUlibE0_EEviT1_ ; -- Begin function _ZN2at6native32elementwise_kernel_manual_unrollILi128ELi4EZNS0_15gpu_kernel_implINS0_11FillFunctorIN3c107complexINS4_4HalfEEEEEEEvRNS_18TensorIteratorBaseERKT_EUlibE0_EEviT1_
	.globl	_ZN2at6native32elementwise_kernel_manual_unrollILi128ELi4EZNS0_15gpu_kernel_implINS0_11FillFunctorIN3c107complexINS4_4HalfEEEEEEEvRNS_18TensorIteratorBaseERKT_EUlibE0_EEviT1_
	.p2align	8
	.type	_ZN2at6native32elementwise_kernel_manual_unrollILi128ELi4EZNS0_15gpu_kernel_implINS0_11FillFunctorIN3c107complexINS4_4HalfEEEEEEEvRNS_18TensorIteratorBaseERKT_EUlibE0_EEviT1_,@function
_ZN2at6native32elementwise_kernel_manual_unrollILi128ELi4EZNS0_15gpu_kernel_implINS0_11FillFunctorIN3c107complexINS4_4HalfEEEEEEEvRNS_18TensorIteratorBaseERKT_EUlibE0_EEviT1_: ; @_ZN2at6native32elementwise_kernel_manual_unrollILi128ELi4EZNS0_15gpu_kernel_implINS0_11FillFunctorIN3c107complexINS4_4HalfEEEEEEEvRNS_18TensorIteratorBaseERKT_EUlibE0_EEviT1_
; %bb.0:
	s_clause 0x1
	s_load_b32 s22, s[0:1], 0x8
	s_load_b32 s46, s[0:1], 0x0
	v_lshl_or_b32 v13, s15, 9, v0
	s_or_b32 s0, s0, 8
	s_mov_b32 s18, -1
	s_mov_b32 s3, 0
	s_mov_b32 s6, 0
	v_or_b32_e32 v4, 0x180, v13
	s_mov_b32 s2, exec_lo
	s_waitcnt lgkmcnt(0)
	s_add_i32 s23, s22, -1
	s_delay_alu instid0(SALU_CYCLE_1)
	s_cmp_gt_u32 s23, 1
	s_cselect_b32 s24, -1, 0
	v_cmpx_le_i32_e64 s46, v4
	s_xor_b32 s25, exec_lo, s2
	s_cbranch_execz .LBB79_159
; %bb.1:
	s_load_b128 s[4:7], s[0:1], 0x108
	s_cmp_lg_u32 s22, 0
	s_mov_b32 s51, 0
	s_cselect_b32 s48, -1, 0
	s_add_u32 s16, s0, 0xc4
	s_addc_u32 s17, s1, 0
	s_min_u32 s47, s23, 15
	s_cmp_gt_u32 s22, 1
	s_mov_b32 s49, 0
	s_cselect_b32 s45, -1, 0
	s_mov_b32 s50, exec_lo
	v_mov_b32_e32 v9, 0
	s_waitcnt lgkmcnt(0)
	v_cvt_f32_f16_e32 v6, s6
	v_cvt_u16_f16_e32 v19, s6
	s_delay_alu instid0(VALU_DEP_2)
	v_bfe_u32 v4, v6, 23, 8
	v_and_b32_e32 v0, 0x3fffff, v6
	v_and_b32_e32 v1, 0x400000, v6
	v_readfirstlane_b32 s8, v6
	v_add_f32_e64 v18, 0x46000000, |v6|
	v_add_f32_e64 v16, 0x42800000, |v6|
	v_or_b32_e32 v0, v4, v0
	v_cmp_ne_u32_e32 vcc_lo, 0, v1
	s_and_b32 s9, s8, 0x7fffffff
	v_readfirstlane_b32 s10, v18
	v_bfe_u32 v5, v6, 16, 1
	v_cmp_ne_u32_e64 s2, 0, v0
	v_cvt_f64_f32_e32 v[0:1], v6
	v_lshrrev_b32_e32 v11, 23, v6
	v_lshrrev_b32_e32 v14, 24, v6
	v_add_nc_u32_e32 v5, v6, v5
	s_and_b32 s2, vcc_lo, s2
	s_cmp_lt_u32 s9, 0x43800000
	v_cmp_o_f16_e64 vcc_lo, s6, s6
	s_cselect_b32 s43, -1, 0
	s_cmp_gt_u32 s9, 0x3bffffff
	v_add_nc_u32_e32 v5, 0x7fff, v5
	s_cselect_b32 s40, -1, 0
	s_bfe_u32 s11, s8, 0x10014
	s_and_b32 s10, s10, 0xff
	s_add_i32 s11, s8, s11
	v_lshrrev_b32_e32 v5, 16, v5
	s_add_i32 s12, s11, 0x487ffff
	v_cndmask_b32_e64 v12, 0, 1, s2
	s_lshr_b32 s41, s12, 20
	s_cmp_lg_u32 s10, 0
	v_readfirstlane_b32 s10, v16
	s_cselect_b32 s44, -1, 0
	s_cmp_gt_u32 s9, 0x477fffff
	v_cmp_eq_u32_e64 s2, 0xff, v4
	s_cselect_b32 s26, -1, 0
	s_cmp_lt_u32 s9, 0x47800000
	v_add_nc_u32_e32 v20, v11, v12
	s_cselect_b32 s37, -1, 0
	s_cmp_gt_u32 s9, 0x37ffffff
	v_add_f32_e64 v11, 0x43000000, |v6|
	s_cselect_b32 s34, -1, 0
	s_bfe_u32 s12, s8, 0x10015
	s_and_b32 s10, s10, 0xff
	s_add_i32 s8, s8, s12
	v_cvt_u32_f32_e32 v8, v6
	s_add_i32 s12, s8, 0x88fffff
	v_and_b32_e32 v17, 0x80, v14
	s_lshr_b32 s35, s12, 21
	s_cmp_lg_u32 s10, 0
	s_load_b64 s[12:13], s[0:1], 0xc4
	s_cselect_b32 s38, -1, 0
	s_cmp_gt_u32 s9, 0x43efffff
	v_readfirstlane_b32 s39, v11
	s_cselect_b32 s29, -1, 0
	s_cmp_lt_u32 s9, 0x3c800000
	v_cvt_i16_f16_e32 v12, s6
	s_cselect_b32 s31, -1, 0
	s_add_i32 s11, s11, 0x407ffff
	v_cndmask_b32_e32 v15, 0x7fc0, v5, vcc_lo
	s_and_b32 s10, s11, 0xff00000
	s_lshr_b32 s11, s11, 20
	s_cmp_lg_u32 s10, 0x7f00000
	s_movk_i32 s10, 0x7f
	s_cselect_b32 s33, s11, 0x7e
	s_cmp_lt_u32 s9, 0x38800000
	s_cselect_b32 s27, -1, 0
	s_add_i32 s8, s8, 0x80fffff
	s_delay_alu instid0(SALU_CYCLE_1)
	s_lshr_b32 s28, s8, 21
	s_cmp_gt_u32 s9, 0x7f800000
	s_movk_i32 s8, 0x7c
	s_cselect_b32 s36, s10, 0x7e
	s_cselect_b32 s30, 0x7f, s8
	s_and_b32 s8, s6, 0x7fff7fff
	s_delay_alu instid0(SALU_CYCLE_1)
	s_cmp_lg_u32 s8, 0
	s_clause 0x1
	s_load_b128 s[8:11], s[0:1], 0x4
	s_load_b64 s[14:15], s[0:1], 0x14
	s_cselect_b32 s19, -1, 0
	s_lshr_b32 s20, s6, 16
	v_cndmask_b32_e64 v14, 0, 1, s19
	v_cvt_f32_f16_e32 v7, s20
	v_cmp_o_f16_e64 vcc_lo, s20, s20
	s_delay_alu instid0(VALU_DEP_2) | instskip(SKIP_1) | instid1(VALU_DEP_1)
	v_cvt_f64_f32_e32 v[2:3], v7
	v_bfe_u32 v10, v7, 16, 1
	v_add_nc_u32_e32 v10, v7, v10
	s_delay_alu instid0(VALU_DEP_1) | instskip(SKIP_1) | instid1(VALU_DEP_2)
	v_add_nc_u32_e32 v4, 0x7fff, v10
	v_add_f32_e64 v10, 0x46800000, |v6|
	v_and_b32_e32 v4, 0xffff0000, v4
	s_delay_alu instid0(VALU_DEP_2) | instskip(NEXT) | instid1(VALU_DEP_2)
	v_readfirstlane_b32 s42, v10
	v_cndmask_b32_e32 v5, 0x7fc00000, v4, vcc_lo
	v_cvt_i32_f32_e32 v4, v6
	s_delay_alu instid0(VALU_DEP_2) | instskip(NEXT) | instid1(VALU_DEP_2)
	v_or_b32_e32 v21, v5, v15
	v_ashrrev_i32_e32 v5, 31, v4
	v_cmpx_gt_i32_e64 s46, v13
	s_cbranch_execz .LBB79_110
; %bb.2:
	s_and_not1_b32 vcc_lo, exec_lo, s24
	s_cbranch_vccnz .LBB79_7
; %bb.3:
	v_mov_b32_e32 v10, 0
	s_and_not1_b32 vcc_lo, exec_lo, s48
	s_cbranch_vccnz .LBB79_12
; %bb.4:
	s_add_i32 s52, s47, 1
	s_cmp_eq_u32 s23, 2
	s_cbranch_scc1 .LBB79_8
; %bb.5:
	v_dual_mov_b32 v10, 0 :: v_dual_mov_b32 v11, v13
	s_and_b32 s49, s52, 28
	s_mov_b32 s53, 0
	s_mov_b64 s[18:19], s[0:1]
	s_mov_b64 s[20:21], s[16:17]
.LBB79_6:                               ; =>This Inner Loop Header: Depth=1
	s_clause 0x1
	s_load_b256 s[56:63], s[18:19], 0x4
	s_load_b128 s[64:67], s[18:19], 0x24
	s_load_b128 s[68:71], s[20:21], 0x0
	s_add_u32 s18, s18, 48
	s_addc_u32 s19, s19, 0
	s_add_i32 s53, s53, 4
	s_add_u32 s20, s20, 16
	s_addc_u32 s21, s21, 0
	s_cmp_lg_u32 s49, s53
	s_waitcnt lgkmcnt(0)
	v_mul_hi_u32 v22, s57, v11
	s_delay_alu instid0(VALU_DEP_1) | instskip(NEXT) | instid1(VALU_DEP_1)
	v_add_nc_u32_e32 v22, v11, v22
	v_lshrrev_b32_e32 v22, s58, v22
	s_delay_alu instid0(VALU_DEP_1) | instskip(SKIP_1) | instid1(VALU_DEP_2)
	v_mul_hi_u32 v23, s60, v22
	v_mul_lo_u32 v26, v22, s56
	v_add_nc_u32_e32 v23, v22, v23
	s_delay_alu instid0(VALU_DEP_2) | instskip(NEXT) | instid1(VALU_DEP_2)
	v_sub_nc_u32_e32 v26, v11, v26
	v_lshrrev_b32_e32 v23, s61, v23
	s_delay_alu instid0(VALU_DEP_2) | instskip(NEXT) | instid1(VALU_DEP_2)
	v_mul_lo_u32 v26, v26, s68
	v_mul_hi_u32 v24, s63, v23
	v_mul_lo_u32 v27, v23, s59
	s_delay_alu instid0(VALU_DEP_2) | instskip(NEXT) | instid1(VALU_DEP_2)
	v_add_nc_u32_e32 v24, v23, v24
	v_sub_nc_u32_e32 v22, v22, v27
	s_delay_alu instid0(VALU_DEP_2) | instskip(NEXT) | instid1(VALU_DEP_2)
	v_lshrrev_b32_e32 v24, s64, v24
	v_mul_lo_u32 v22, v22, s69
	s_delay_alu instid0(VALU_DEP_2) | instskip(NEXT) | instid1(VALU_DEP_2)
	v_mul_hi_u32 v25, s66, v24
	v_add3_u32 v10, v26, v10, v22
	s_delay_alu instid0(VALU_DEP_2) | instskip(NEXT) | instid1(VALU_DEP_1)
	v_add_nc_u32_e32 v25, v24, v25
	v_lshrrev_b32_e32 v11, s67, v25
	v_mul_lo_u32 v25, v24, s62
	s_delay_alu instid0(VALU_DEP_2) | instskip(NEXT) | instid1(VALU_DEP_2)
	v_mul_lo_u32 v28, v11, s65
	v_sub_nc_u32_e32 v23, v23, v25
	s_delay_alu instid0(VALU_DEP_2) | instskip(NEXT) | instid1(VALU_DEP_2)
	v_sub_nc_u32_e32 v24, v24, v28
	v_mul_lo_u32 v23, v23, s70
	s_delay_alu instid0(VALU_DEP_2) | instskip(NEXT) | instid1(VALU_DEP_1)
	v_mul_lo_u32 v24, v24, s71
	v_add3_u32 v10, v23, v10, v24
	s_cbranch_scc1 .LBB79_6
	s_branch .LBB79_9
.LBB79_7:
                                        ; implicit-def: $vgpr10
	s_and_not1_b32 vcc_lo, exec_lo, s18
	s_cbranch_vccz .LBB79_13
	s_branch .LBB79_15
.LBB79_8:
	v_mov_b32_e32 v11, v13
.LBB79_9:
	s_and_b32 s52, s52, 3
	s_delay_alu instid0(SALU_CYCLE_1)
	s_cmp_eq_u32 s52, 0
	s_cbranch_scc1 .LBB79_12
; %bb.10:
	s_lshl_b32 s18, s49, 2
	s_mul_i32 s20, s49, 12
	s_add_u32 s18, s18, s0
	s_addc_u32 s19, s1, 0
	s_add_u32 s18, s18, 0xc4
	s_addc_u32 s19, s19, 0
	;; [unrolled: 2-line block ×3, first 2 shown]
	.p2align	6
.LBB79_11:                              ; =>This Inner Loop Header: Depth=1
	s_clause 0x1
	s_load_b64 s[54:55], s[20:21], 0x4
	s_load_b32 s49, s[20:21], 0xc
	s_load_b32 s53, s[18:19], 0x0
	s_add_u32 s20, s20, 12
	s_addc_u32 s21, s21, 0
	s_add_u32 s18, s18, 4
	s_addc_u32 s19, s19, 0
	s_add_i32 s52, s52, -1
	s_delay_alu instid0(SALU_CYCLE_1) | instskip(SKIP_2) | instid1(VALU_DEP_1)
	s_cmp_lg_u32 s52, 0
	s_waitcnt lgkmcnt(0)
	v_mul_hi_u32 v22, s55, v11
	v_add_nc_u32_e32 v22, v11, v22
	s_delay_alu instid0(VALU_DEP_1) | instskip(NEXT) | instid1(VALU_DEP_1)
	v_lshrrev_b32_e32 v24, s49, v22
	v_mul_lo_u32 v22, v24, s54
	s_delay_alu instid0(VALU_DEP_1) | instskip(NEXT) | instid1(VALU_DEP_1)
	v_sub_nc_u32_e32 v11, v11, v22
	v_mad_u64_u32 v[22:23], null, v11, s53, v[10:11]
	s_delay_alu instid0(VALU_DEP_1)
	v_dual_mov_b32 v11, v24 :: v_dual_mov_b32 v10, v22
	s_cbranch_scc1 .LBB79_11
.LBB79_12:
	s_cbranch_execnz .LBB79_15
.LBB79_13:
	s_waitcnt lgkmcnt(0)
	v_mul_hi_u32 v10, s9, v13
	s_and_not1_b32 vcc_lo, exec_lo, s45
	s_delay_alu instid0(VALU_DEP_1) | instskip(NEXT) | instid1(VALU_DEP_1)
	v_add_nc_u32_e32 v10, v13, v10
	v_lshrrev_b32_e32 v11, s10, v10
	s_delay_alu instid0(VALU_DEP_1) | instskip(NEXT) | instid1(VALU_DEP_1)
	v_mul_lo_u32 v10, v11, s8
	v_sub_nc_u32_e32 v10, v13, v10
	s_delay_alu instid0(VALU_DEP_1)
	v_mul_lo_u32 v10, v10, s12
	s_cbranch_vccnz .LBB79_15
; %bb.14:
	v_mul_hi_u32 v22, s14, v11
	s_delay_alu instid0(VALU_DEP_1) | instskip(NEXT) | instid1(VALU_DEP_1)
	v_add_nc_u32_e32 v22, v11, v22
	v_lshrrev_b32_e32 v22, s15, v22
	s_delay_alu instid0(VALU_DEP_1) | instskip(NEXT) | instid1(VALU_DEP_1)
	v_mul_lo_u32 v22, v22, s11
	v_sub_nc_u32_e32 v11, v11, v22
	s_delay_alu instid0(VALU_DEP_1) | instskip(NEXT) | instid1(VALU_DEP_1)
	v_mad_u64_u32 v[22:23], null, v11, s13, v[10:11]
	v_mov_b32_e32 v10, v22
.LBB79_15:
	v_and_b32_e64 v22, 0xff, s7
	s_delay_alu instid0(VALU_DEP_2) | instskip(NEXT) | instid1(VALU_DEP_1)
	v_add_co_u32 v10, s19, s4, v10
	v_add_co_ci_u32_e64 v11, null, s5, 0, s19
	s_delay_alu instid0(VALU_DEP_3)
	v_cmp_gt_i16_e32 vcc_lo, 11, v22
	s_mov_b32 s18, 0
	s_mov_b32 s20, -1
	s_mov_b32 s19, 0
	s_cbranch_vccnz .LBB79_69
; %bb.16:
	v_cmp_lt_i16_e32 vcc_lo, 25, v22
	s_cbranch_vccz .LBB79_44
; %bb.17:
	v_cmp_lt_i16_e32 vcc_lo, 28, v22
	s_cbranch_vccz .LBB79_30
	;; [unrolled: 3-line block ×4, first 2 shown]
; %bb.20:
	v_cmp_eq_u16_e32 vcc_lo, 46, v22
	s_mov_b32 s20, 0
	s_mov_b32 s18, -1
	s_cbranch_vccz .LBB79_22
; %bb.21:
	s_mov_b32 s19, -1
	s_mov_b32 s18, 0
	global_store_b32 v[10:11], v21, off
.LBB79_22:
	s_and_b32 vcc_lo, exec_lo, s20
	s_cbranch_vccz .LBB79_25
; %bb.23:
	v_cmp_eq_u16_e32 vcc_lo, 44, v22
	s_mov_b32 s18, -1
	s_cbranch_vccz .LBB79_25
; %bb.24:
	v_cndmask_b32_e64 v23, v20, 0xff, s2
	s_mov_b32 s19, -1
	s_mov_b32 s18, 0
	global_store_b8 v[10:11], v23, off
.LBB79_25:
	s_mov_b32 s20, 0
.LBB79_26:
	s_delay_alu instid0(SALU_CYCLE_1)
	s_and_b32 vcc_lo, exec_lo, s20
	s_cbranch_vccz .LBB79_29
; %bb.27:
	v_cmp_eq_u16_e32 vcc_lo, 29, v22
	s_mov_b32 s18, -1
	s_cbranch_vccz .LBB79_29
; %bb.28:
	s_mov_b32 s19, -1
	s_mov_b32 s18, 0
	global_store_b64 v[10:11], v[8:9], off
.LBB79_29:
	s_mov_b32 s20, 0
.LBB79_30:
	s_delay_alu instid0(SALU_CYCLE_1)
	s_and_b32 vcc_lo, exec_lo, s20
	s_cbranch_vccz .LBB79_43
; %bb.31:
	v_cmp_gt_i16_e32 vcc_lo, 27, v22
	s_mov_b32 s19, -1
	s_cbranch_vccnz .LBB79_37
; %bb.32:
	v_cmp_lt_i16_e32 vcc_lo, 27, v22
	s_cbranch_vccz .LBB79_34
; %bb.33:
	s_mov_b32 s19, 0
	global_store_b32 v[10:11], v8, off
.LBB79_34:
	s_and_not1_b32 vcc_lo, exec_lo, s19
	s_cbranch_vccnz .LBB79_36
; %bb.35:
	global_store_b16 v[10:11], v19, off
.LBB79_36:
	s_mov_b32 s19, 0
.LBB79_37:
	s_delay_alu instid0(SALU_CYCLE_1)
	s_and_not1_b32 vcc_lo, exec_lo, s19
	s_cbranch_vccnz .LBB79_42
; %bb.38:
	v_mov_b32_e32 v23, 0x80
	s_and_not1_b32 vcc_lo, exec_lo, s43
	s_cbranch_vccnz .LBB79_41
; %bb.39:
	v_mov_b32_e32 v23, 0
	s_or_b32 s19, s40, s44
	s_delay_alu instid0(SALU_CYCLE_1)
	s_and_not1_b32 vcc_lo, exec_lo, s19
	s_cbranch_vccnz .LBB79_41
; %bb.40:
	v_cndmask_b32_e64 v23, v18, s41, s40
	s_delay_alu instid0(VALU_DEP_1)
	v_or_b32_e32 v23, v23, v17
.LBB79_41:
	global_store_b8 v[10:11], v23, off
.LBB79_42:
	s_mov_b32 s19, -1
.LBB79_43:
	s_mov_b32 s20, 0
.LBB79_44:
	s_delay_alu instid0(SALU_CYCLE_1)
	s_and_b32 vcc_lo, exec_lo, s20
	s_cbranch_vccz .LBB79_66
; %bb.45:
	v_cmp_lt_i16_e32 vcc_lo, 22, v22
	s_mov_b32 s20, -1
	s_cbranch_vccz .LBB79_58
; %bb.46:
	v_cmp_gt_i16_e32 vcc_lo, 24, v22
	s_mov_b32 s19, -1
	s_cbranch_vccnz .LBB79_55
; %bb.47:
	v_cmp_lt_i16_e32 vcc_lo, 24, v22
	s_cbranch_vccz .LBB79_52
; %bb.48:
	v_mov_b32_e32 v23, 0x80
	s_and_not1_b32 vcc_lo, exec_lo, s37
	s_cbranch_vccnz .LBB79_51
; %bb.49:
	v_mov_b32_e32 v23, 0
	s_or_b32 s19, s34, s38
	s_delay_alu instid0(SALU_CYCLE_1)
	s_and_not1_b32 vcc_lo, exec_lo, s19
	s_cbranch_vccnz .LBB79_51
; %bb.50:
	v_cndmask_b32_e64 v23, v16, s35, s34
	s_delay_alu instid0(VALU_DEP_1)
	v_or_b32_e32 v23, v23, v17
.LBB79_51:
	s_mov_b32 s19, 0
	global_store_b8 v[10:11], v23, off
.LBB79_52:
	s_and_b32 vcc_lo, exec_lo, s19
	s_cbranch_vccz .LBB79_54
; %bb.53:
	s_and_b32 s19, s31, exec_lo
	s_cselect_b32 s19, s42, s33
	s_and_b32 s20, s29, exec_lo
	s_cselect_b32 s19, s36, s19
	s_delay_alu instid0(SALU_CYCLE_1)
	v_or_b32_e32 v23, s19, v17
	global_store_b8 v[10:11], v23, off
.LBB79_54:
	s_mov_b32 s19, 0
.LBB79_55:
	s_delay_alu instid0(SALU_CYCLE_1)
	s_and_not1_b32 vcc_lo, exec_lo, s19
	s_cbranch_vccnz .LBB79_57
; %bb.56:
	s_and_b32 s19, s27, exec_lo
	s_cselect_b32 s19, s39, s28
	s_and_b32 s20, s26, exec_lo
	s_cselect_b32 s19, s30, s19
	s_delay_alu instid0(SALU_CYCLE_1)
	v_or_b32_e32 v23, s19, v17
	global_store_b8 v[10:11], v23, off
.LBB79_57:
	s_mov_b32 s20, 0
	s_mov_b32 s19, -1
.LBB79_58:
	s_and_not1_b32 vcc_lo, exec_lo, s20
	s_cbranch_vccnz .LBB79_66
; %bb.59:
	v_cmp_lt_i16_e32 vcc_lo, 14, v22
	s_mov_b32 s20, -1
	s_cbranch_vccz .LBB79_63
; %bb.60:
	v_cmp_eq_u16_e32 vcc_lo, 15, v22
	s_mov_b32 s18, -1
	s_cbranch_vccz .LBB79_62
; %bb.61:
	s_mov_b32 s19, -1
	s_mov_b32 s18, 0
	global_store_b16 v[10:11], v15, off
.LBB79_62:
	s_mov_b32 s20, 0
.LBB79_63:
	s_delay_alu instid0(SALU_CYCLE_1)
	s_and_b32 vcc_lo, exec_lo, s20
	s_cbranch_vccz .LBB79_66
; %bb.64:
	v_cmp_eq_u16_e32 vcc_lo, 11, v22
	s_mov_b32 s18, -1
	s_cbranch_vccz .LBB79_66
; %bb.65:
	s_mov_b32 s19, -1
	s_mov_b32 s18, 0
	global_store_b8 v[10:11], v14, off
.LBB79_66:
.LBB79_67:
	s_and_not1_b32 vcc_lo, exec_lo, s19
	s_cbranch_vccnz .LBB79_108
.LBB79_68:
	v_add_nc_u32_e32 v13, 0x80, v13
	s_mov_b32 s19, -1
	s_branch .LBB79_109
.LBB79_69:
	s_and_b32 vcc_lo, exec_lo, s20
	s_cbranch_vccz .LBB79_67
; %bb.70:
	v_cmp_gt_i16_e32 vcc_lo, 5, v22
	s_mov_b32 s19, -1
	s_cbranch_vccnz .LBB79_91
; %bb.71:
	v_cmp_gt_i16_e32 vcc_lo, 8, v22
	s_cbranch_vccnz .LBB79_81
; %bb.72:
	v_cmp_gt_i16_e32 vcc_lo, 9, v22
	s_cbranch_vccnz .LBB79_78
; %bb.73:
	v_cmp_lt_i16_e32 vcc_lo, 9, v22
	s_cbranch_vccz .LBB79_75
; %bb.74:
	s_mov_b32 s19, 0
	global_store_b128 v[10:11], v[0:3], off
.LBB79_75:
	s_and_not1_b32 vcc_lo, exec_lo, s19
	s_cbranch_vccnz .LBB79_77
; %bb.76:
	global_store_b64 v[10:11], v[6:7], off
.LBB79_77:
	s_mov_b32 s19, 0
.LBB79_78:
	s_delay_alu instid0(SALU_CYCLE_1)
	s_and_not1_b32 vcc_lo, exec_lo, s19
	s_cbranch_vccnz .LBB79_80
; %bb.79:
	v_mov_b32_e32 v23, s6
	global_store_b32 v[10:11], v23, off
.LBB79_80:
	s_mov_b32 s19, 0
.LBB79_81:
	s_delay_alu instid0(SALU_CYCLE_1)
	s_and_not1_b32 vcc_lo, exec_lo, s19
	s_cbranch_vccnz .LBB79_90
; %bb.82:
	v_cmp_gt_i16_e32 vcc_lo, 6, v22
	s_mov_b32 s19, -1
	s_cbranch_vccnz .LBB79_88
; %bb.83:
	v_cmp_lt_i16_e32 vcc_lo, 6, v22
	s_cbranch_vccz .LBB79_85
; %bb.84:
	s_mov_b32 s19, 0
	global_store_b64 v[10:11], v[0:1], off
.LBB79_85:
	s_and_not1_b32 vcc_lo, exec_lo, s19
	s_cbranch_vccnz .LBB79_87
; %bb.86:
	global_store_b32 v[10:11], v6, off
.LBB79_87:
	s_mov_b32 s19, 0
.LBB79_88:
	s_delay_alu instid0(SALU_CYCLE_1)
	s_and_not1_b32 vcc_lo, exec_lo, s19
	s_cbranch_vccnz .LBB79_90
; %bb.89:
	v_mov_b32_e32 v23, s6
	global_store_b16 v[10:11], v23, off
.LBB79_90:
	s_mov_b32 s19, 0
.LBB79_91:
	s_delay_alu instid0(SALU_CYCLE_1)
	s_and_not1_b32 vcc_lo, exec_lo, s19
	s_cbranch_vccnz .LBB79_107
; %bb.92:
	v_cmp_gt_i16_e32 vcc_lo, 2, v22
	s_mov_b32 s19, -1
	s_cbranch_vccnz .LBB79_102
; %bb.93:
	v_cmp_gt_i16_e32 vcc_lo, 3, v22
	s_cbranch_vccnz .LBB79_99
; %bb.94:
	v_cmp_lt_i16_e32 vcc_lo, 3, v22
	s_cbranch_vccz .LBB79_96
; %bb.95:
	s_mov_b32 s19, 0
	global_store_b64 v[10:11], v[4:5], off
.LBB79_96:
	s_and_not1_b32 vcc_lo, exec_lo, s19
	s_cbranch_vccnz .LBB79_98
; %bb.97:
	global_store_b32 v[10:11], v4, off
.LBB79_98:
	s_mov_b32 s19, 0
.LBB79_99:
	s_delay_alu instid0(SALU_CYCLE_1)
	s_and_not1_b32 vcc_lo, exec_lo, s19
	s_cbranch_vccnz .LBB79_101
; %bb.100:
	global_store_b16 v[10:11], v12, off
.LBB79_101:
	s_mov_b32 s19, 0
.LBB79_102:
	s_delay_alu instid0(SALU_CYCLE_1)
	s_and_not1_b32 vcc_lo, exec_lo, s19
	s_cbranch_vccnz .LBB79_107
; %bb.103:
	v_cmp_lt_i16_e32 vcc_lo, 0, v22
	s_mov_b32 s19, -1
	s_cbranch_vccz .LBB79_105
; %bb.104:
	s_mov_b32 s19, 0
	global_store_b8 v[10:11], v12, off
.LBB79_105:
	s_and_not1_b32 vcc_lo, exec_lo, s19
	s_cbranch_vccnz .LBB79_107
; %bb.106:
	global_store_b8 v[10:11], v4, off
.LBB79_107:
	s_branch .LBB79_68
.LBB79_108:
	s_mov_b32 s19, 0
                                        ; implicit-def: $vgpr13
.LBB79_109:
	s_and_b32 s49, s18, exec_lo
	s_or_not1_b32 s18, s19, exec_lo
.LBB79_110:
	s_or_b32 exec_lo, exec_lo, s50
	s_mov_b32 s19, 0
                                        ; implicit-def: $vgpr22
                                        ; implicit-def: $vgpr10_vgpr11
	s_and_saveexec_b32 s50, s18
	s_cbranch_execz .LBB79_117
; %bb.111:
	s_mov_b32 s20, -1
	s_mov_b32 s51, s49
	s_mov_b32 s52, exec_lo
	v_cmpx_gt_i32_e64 s46, v13
	s_cbranch_execz .LBB79_364
; %bb.112:
	s_and_not1_b32 vcc_lo, exec_lo, s24
	s_cbranch_vccnz .LBB79_219
; %bb.113:
	v_mov_b32_e32 v10, 0
	s_and_not1_b32 vcc_lo, exec_lo, s48
	s_cbranch_vccnz .LBB79_226
; %bb.114:
	s_add_i32 s53, s47, 1
	s_cmp_eq_u32 s23, 2
	s_mov_b32 s51, 0
	s_cbranch_scc1 .LBB79_222
; %bb.115:
	v_dual_mov_b32 v10, 0 :: v_dual_mov_b32 v11, v13
	s_and_b32 s51, s53, 28
	s_mov_b32 s54, 0
	s_mov_b64 s[18:19], s[0:1]
	s_mov_b64 s[20:21], s[16:17]
.LBB79_116:                             ; =>This Inner Loop Header: Depth=1
	s_clause 0x1
	s_load_b256 s[56:63], s[18:19], 0x4
	s_load_b128 s[64:67], s[18:19], 0x24
	s_load_b128 s[68:71], s[20:21], 0x0
	s_add_u32 s18, s18, 48
	s_addc_u32 s19, s19, 0
	s_add_i32 s54, s54, 4
	s_add_u32 s20, s20, 16
	s_addc_u32 s21, s21, 0
	s_cmp_eq_u32 s51, s54
	s_waitcnt lgkmcnt(0)
	v_mul_hi_u32 v22, s57, v11
	s_delay_alu instid0(VALU_DEP_1) | instskip(NEXT) | instid1(VALU_DEP_1)
	v_add_nc_u32_e32 v22, v11, v22
	v_lshrrev_b32_e32 v22, s58, v22
	s_delay_alu instid0(VALU_DEP_1) | instskip(SKIP_1) | instid1(VALU_DEP_2)
	v_mul_hi_u32 v23, s60, v22
	v_mul_lo_u32 v26, v22, s56
	v_add_nc_u32_e32 v23, v22, v23
	s_delay_alu instid0(VALU_DEP_2) | instskip(NEXT) | instid1(VALU_DEP_2)
	v_sub_nc_u32_e32 v26, v11, v26
	v_lshrrev_b32_e32 v23, s61, v23
	s_delay_alu instid0(VALU_DEP_2) | instskip(NEXT) | instid1(VALU_DEP_2)
	v_mul_lo_u32 v26, v26, s68
	v_mul_hi_u32 v24, s63, v23
	v_mul_lo_u32 v27, v23, s59
	s_delay_alu instid0(VALU_DEP_2) | instskip(NEXT) | instid1(VALU_DEP_2)
	v_add_nc_u32_e32 v24, v23, v24
	v_sub_nc_u32_e32 v22, v22, v27
	s_delay_alu instid0(VALU_DEP_2) | instskip(NEXT) | instid1(VALU_DEP_2)
	v_lshrrev_b32_e32 v24, s64, v24
	v_mul_lo_u32 v22, v22, s69
	s_delay_alu instid0(VALU_DEP_2) | instskip(NEXT) | instid1(VALU_DEP_2)
	v_mul_hi_u32 v25, s66, v24
	v_add3_u32 v10, v26, v10, v22
	s_delay_alu instid0(VALU_DEP_2) | instskip(NEXT) | instid1(VALU_DEP_1)
	v_add_nc_u32_e32 v25, v24, v25
	v_lshrrev_b32_e32 v11, s67, v25
	v_mul_lo_u32 v25, v24, s62
	s_delay_alu instid0(VALU_DEP_2) | instskip(NEXT) | instid1(VALU_DEP_2)
	v_mul_lo_u32 v28, v11, s65
	v_sub_nc_u32_e32 v23, v23, v25
	s_delay_alu instid0(VALU_DEP_2) | instskip(NEXT) | instid1(VALU_DEP_2)
	v_sub_nc_u32_e32 v24, v24, v28
	v_mul_lo_u32 v23, v23, s70
	s_delay_alu instid0(VALU_DEP_2) | instskip(NEXT) | instid1(VALU_DEP_1)
	v_mul_lo_u32 v24, v24, s71
	v_add3_u32 v10, v23, v10, v24
	s_cbranch_scc0 .LBB79_116
	s_branch .LBB79_223
.LBB79_117:
	s_or_b32 exec_lo, exec_lo, s50
	s_mov_b32 s2, 0
	s_and_saveexec_b32 s4, s49
	s_cbranch_execnz .LBB79_682
.LBB79_118:
	s_or_b32 exec_lo, exec_lo, s4
	s_and_saveexec_b32 s4, s51
	s_delay_alu instid0(SALU_CYCLE_1)
	s_xor_b32 s4, exec_lo, s4
	s_cbranch_execz .LBB79_120
.LBB79_119:
	global_store_b8 v[10:11], v14, off
.LBB79_120:
	s_or_b32 exec_lo, exec_lo, s4
	s_and_saveexec_b32 s4, s19
	s_delay_alu instid0(SALU_CYCLE_1)
	s_xor_b32 s4, exec_lo, s4
	s_cbranch_execz .LBB79_158
; %bb.121:
	v_cmp_gt_i16_e32 vcc_lo, 5, v22
	s_mov_b32 s5, -1
	s_cbranch_vccnz .LBB79_142
; %bb.122:
	v_cmp_gt_i16_e32 vcc_lo, 8, v22
	s_cbranch_vccnz .LBB79_132
; %bb.123:
	v_cmp_gt_i16_e32 vcc_lo, 9, v22
	s_cbranch_vccnz .LBB79_129
; %bb.124:
	v_cmp_lt_i16_e32 vcc_lo, 9, v22
	s_cbranch_vccz .LBB79_126
; %bb.125:
	s_mov_b32 s5, 0
	global_store_b128 v[10:11], v[0:3], off
.LBB79_126:
	s_and_not1_b32 vcc_lo, exec_lo, s5
	s_cbranch_vccnz .LBB79_128
; %bb.127:
	global_store_b64 v[10:11], v[6:7], off
.LBB79_128:
	s_mov_b32 s5, 0
.LBB79_129:
	s_delay_alu instid0(SALU_CYCLE_1)
	s_and_not1_b32 vcc_lo, exec_lo, s5
	s_cbranch_vccnz .LBB79_131
; %bb.130:
	v_mov_b32_e32 v2, s6
	global_store_b32 v[10:11], v2, off
.LBB79_131:
	s_mov_b32 s5, 0
.LBB79_132:
	s_delay_alu instid0(SALU_CYCLE_1)
	s_and_not1_b32 vcc_lo, exec_lo, s5
	s_cbranch_vccnz .LBB79_141
; %bb.133:
	v_cmp_gt_i16_e32 vcc_lo, 6, v22
	s_mov_b32 s5, -1
	s_cbranch_vccnz .LBB79_139
; %bb.134:
	v_cmp_lt_i16_e32 vcc_lo, 6, v22
	s_cbranch_vccz .LBB79_136
; %bb.135:
	s_mov_b32 s5, 0
	global_store_b64 v[10:11], v[0:1], off
.LBB79_136:
	s_and_not1_b32 vcc_lo, exec_lo, s5
	s_cbranch_vccnz .LBB79_138
; %bb.137:
	global_store_b32 v[10:11], v6, off
.LBB79_138:
	s_mov_b32 s5, 0
.LBB79_139:
	s_delay_alu instid0(SALU_CYCLE_1)
	s_and_not1_b32 vcc_lo, exec_lo, s5
	s_cbranch_vccnz .LBB79_141
; %bb.140:
	v_mov_b32_e32 v0, s6
	global_store_b16 v[10:11], v0, off
.LBB79_141:
	s_mov_b32 s5, 0
.LBB79_142:
	s_delay_alu instid0(SALU_CYCLE_1)
	s_and_not1_b32 vcc_lo, exec_lo, s5
	s_cbranch_vccnz .LBB79_158
; %bb.143:
	v_cmp_gt_i16_e32 vcc_lo, 2, v22
	s_mov_b32 s5, -1
	s_cbranch_vccnz .LBB79_153
; %bb.144:
	v_cmp_gt_i16_e32 vcc_lo, 3, v22
	s_cbranch_vccnz .LBB79_150
; %bb.145:
	v_cmp_lt_i16_e32 vcc_lo, 3, v22
	s_cbranch_vccz .LBB79_147
; %bb.146:
	s_mov_b32 s5, 0
	global_store_b64 v[10:11], v[4:5], off
.LBB79_147:
	s_and_not1_b32 vcc_lo, exec_lo, s5
	s_cbranch_vccnz .LBB79_149
; %bb.148:
	global_store_b32 v[10:11], v4, off
.LBB79_149:
	s_mov_b32 s5, 0
.LBB79_150:
	s_delay_alu instid0(SALU_CYCLE_1)
	s_and_not1_b32 vcc_lo, exec_lo, s5
	s_cbranch_vccnz .LBB79_152
; %bb.151:
	global_store_b16 v[10:11], v12, off
.LBB79_152:
	s_mov_b32 s5, 0
.LBB79_153:
	s_delay_alu instid0(SALU_CYCLE_1)
	s_and_not1_b32 vcc_lo, exec_lo, s5
	s_cbranch_vccnz .LBB79_158
; %bb.154:
	v_cmp_lt_i16_e32 vcc_lo, 0, v22
	s_mov_b32 s5, -1
	s_cbranch_vccz .LBB79_156
; %bb.155:
	s_mov_b32 s5, 0
	global_store_b8 v[10:11], v12, off
.LBB79_156:
	s_and_not1_b32 vcc_lo, exec_lo, s5
	s_cbranch_vccnz .LBB79_158
; %bb.157:
	global_store_b8 v[10:11], v4, off
.LBB79_158:
	s_or_b32 exec_lo, exec_lo, s4
	s_delay_alu instid0(SALU_CYCLE_1)
	s_and_b32 s6, s2, exec_lo
                                        ; implicit-def: $vgpr4
                                        ; implicit-def: $vgpr13
.LBB79_159:
	s_or_saveexec_b32 s7, s25
	s_waitcnt lgkmcnt(0)
	s_mov_b32 s8, 0
                                        ; implicit-def: $sgpr4
                                        ; implicit-def: $vgpr0_vgpr1
                                        ; implicit-def: $sgpr2
	s_xor_b32 exec_lo, exec_lo, s7
	s_cbranch_execz .LBB79_912
; %bb.160:
	v_cndmask_b32_e64 v0, 0, 1, s24
	s_and_not1_b32 vcc_lo, exec_lo, s24
	s_cbranch_vccnz .LBB79_166
; %bb.161:
	v_mov_b32_e32 v3, 0
	s_cmp_eq_u32 s22, 0
	s_cbranch_scc1 .LBB79_170
; %bb.162:
	s_min_u32 s9, s23, 15
	v_mov_b32_e32 v3, 0
	s_add_i32 s9, s9, 1
	s_cmp_eq_u32 s23, 2
	s_mov_b32 s10, 0
	s_cbranch_scc1 .LBB79_167
; %bb.163:
	v_mov_b32_e32 v3, 0
	v_mov_b32_e32 v1, v13
	s_add_u32 s2, s0, 0xc4
	s_addc_u32 s3, s1, 0
	s_and_b32 s10, s9, 28
	s_mov_b32 s11, 0
	s_mov_b64 s[4:5], s[0:1]
.LBB79_164:                             ; =>This Inner Loop Header: Depth=1
	s_clause 0x1
	s_load_b256 s[12:19], s[4:5], 0x4
	s_load_b128 s[24:27], s[4:5], 0x24
	s_load_b128 s[28:31], s[2:3], 0x0
	s_add_u32 s4, s4, 48
	s_addc_u32 s5, s5, 0
	s_add_i32 s11, s11, 4
	s_add_u32 s2, s2, 16
	s_addc_u32 s3, s3, 0
	s_cmp_lg_u32 s10, s11
	s_waitcnt lgkmcnt(0)
	v_mul_hi_u32 v2, s13, v1
	s_delay_alu instid0(VALU_DEP_1) | instskip(NEXT) | instid1(VALU_DEP_1)
	v_add_nc_u32_e32 v2, v1, v2
	v_lshrrev_b32_e32 v2, s14, v2
	s_delay_alu instid0(VALU_DEP_1) | instskip(SKIP_1) | instid1(VALU_DEP_2)
	v_mul_hi_u32 v5, s16, v2
	v_mul_lo_u32 v8, v2, s12
	v_add_nc_u32_e32 v5, v2, v5
	s_delay_alu instid0(VALU_DEP_2) | instskip(NEXT) | instid1(VALU_DEP_2)
	v_sub_nc_u32_e32 v8, v1, v8
	v_lshrrev_b32_e32 v5, s17, v5
	s_delay_alu instid0(VALU_DEP_2) | instskip(NEXT) | instid1(VALU_DEP_2)
	v_mul_lo_u32 v8, v8, s28
	v_mul_hi_u32 v6, s19, v5
	v_mul_lo_u32 v9, v5, s15
	s_delay_alu instid0(VALU_DEP_2) | instskip(NEXT) | instid1(VALU_DEP_2)
	v_add_nc_u32_e32 v6, v5, v6
	v_sub_nc_u32_e32 v2, v2, v9
	s_delay_alu instid0(VALU_DEP_2) | instskip(NEXT) | instid1(VALU_DEP_2)
	v_lshrrev_b32_e32 v6, s24, v6
	v_mul_lo_u32 v2, v2, s29
	s_delay_alu instid0(VALU_DEP_2) | instskip(NEXT) | instid1(VALU_DEP_2)
	v_mul_hi_u32 v7, s26, v6
	v_add3_u32 v2, v8, v3, v2
	s_delay_alu instid0(VALU_DEP_2) | instskip(NEXT) | instid1(VALU_DEP_1)
	v_add_nc_u32_e32 v7, v6, v7
	v_lshrrev_b32_e32 v1, s27, v7
	v_mul_lo_u32 v7, v6, s18
	s_delay_alu instid0(VALU_DEP_2) | instskip(NEXT) | instid1(VALU_DEP_2)
	v_mul_lo_u32 v10, v1, s25
	v_sub_nc_u32_e32 v5, v5, v7
	s_delay_alu instid0(VALU_DEP_2) | instskip(NEXT) | instid1(VALU_DEP_2)
	v_sub_nc_u32_e32 v6, v6, v10
	v_mul_lo_u32 v5, v5, s30
	s_delay_alu instid0(VALU_DEP_2) | instskip(NEXT) | instid1(VALU_DEP_1)
	v_mul_lo_u32 v6, v6, s31
	v_add3_u32 v3, v5, v2, v6
	s_cbranch_scc1 .LBB79_164
; %bb.165:
	s_and_b32 s9, s9, 3
	s_delay_alu instid0(SALU_CYCLE_1)
	s_cmp_eq_u32 s9, 0
	s_cbranch_scc0 .LBB79_168
	s_branch .LBB79_170
.LBB79_166:
	s_mov_b32 s8, -1
                                        ; implicit-def: $vgpr3
	s_branch .LBB79_170
.LBB79_167:
	v_mov_b32_e32 v1, v13
	s_and_b32 s9, s9, 3
	s_delay_alu instid0(SALU_CYCLE_1)
	s_cmp_eq_u32 s9, 0
	s_cbranch_scc1 .LBB79_170
.LBB79_168:
	s_lshl_b32 s2, s10, 2
	s_mul_i32 s4, s10, 12
	s_add_u32 s2, s2, s0
	s_addc_u32 s3, 0, s1
	s_add_u32 s2, s2, 0xc4
	s_addc_u32 s3, s3, 0
	;; [unrolled: 2-line block ×3, first 2 shown]
	.p2align	6
.LBB79_169:                             ; =>This Inner Loop Header: Depth=1
	s_clause 0x1
	s_load_b64 s[10:11], s[4:5], 0x4
	s_load_b32 s12, s[4:5], 0xc
	s_add_u32 s4, s4, 12
	s_addc_u32 s5, s5, 0
	s_waitcnt lgkmcnt(0)
	v_mul_hi_u32 v2, s11, v1
	s_load_b32 s11, s[2:3], 0x0
	s_add_u32 s2, s2, 4
	s_addc_u32 s3, s3, 0
	s_add_i32 s9, s9, -1
	s_delay_alu instid0(SALU_CYCLE_1) | instskip(NEXT) | instid1(VALU_DEP_1)
	s_cmp_lg_u32 s9, 0
	v_add_nc_u32_e32 v2, v1, v2
	s_delay_alu instid0(VALU_DEP_1) | instskip(NEXT) | instid1(VALU_DEP_1)
	v_lshrrev_b32_e32 v2, s12, v2
	v_mul_lo_u32 v5, v2, s10
	s_delay_alu instid0(VALU_DEP_1) | instskip(SKIP_1) | instid1(VALU_DEP_1)
	v_sub_nc_u32_e32 v1, v1, v5
	s_waitcnt lgkmcnt(0)
	v_mad_u64_u32 v[5:6], null, v1, s11, v[3:4]
	v_mov_b32_e32 v1, v2
	s_delay_alu instid0(VALU_DEP_2)
	v_mov_b32_e32 v3, v5
	s_cbranch_scc1 .LBB79_169
.LBB79_170:
	s_and_not1_b32 vcc_lo, exec_lo, s8
	s_cbranch_vccnz .LBB79_173
; %bb.171:
	s_clause 0x1
	s_load_b128 s[8:11], s[0:1], 0x4
	s_load_b32 s2, s[0:1], 0xc4
	s_cmp_lt_u32 s22, 2
	s_waitcnt lgkmcnt(0)
	v_mul_hi_u32 v1, s9, v13
	s_delay_alu instid0(VALU_DEP_1) | instskip(NEXT) | instid1(VALU_DEP_1)
	v_add_nc_u32_e32 v1, v13, v1
	v_lshrrev_b32_e32 v1, s10, v1
	s_delay_alu instid0(VALU_DEP_1) | instskip(NEXT) | instid1(VALU_DEP_1)
	v_mul_lo_u32 v2, v1, s8
	v_sub_nc_u32_e32 v2, v13, v2
	s_delay_alu instid0(VALU_DEP_1)
	v_mul_lo_u32 v3, v2, s2
	s_cbranch_scc1 .LBB79_173
; %bb.172:
	s_clause 0x1
	s_load_b128 s[8:11], s[0:1], 0x10
	s_load_b32 s2, s[0:1], 0xc8
	s_waitcnt lgkmcnt(0)
	v_mul_hi_u32 v2, s9, v1
	s_delay_alu instid0(VALU_DEP_1) | instskip(NEXT) | instid1(VALU_DEP_1)
	v_add_nc_u32_e32 v2, v1, v2
	v_lshrrev_b32_e32 v2, s10, v2
	s_delay_alu instid0(VALU_DEP_1) | instskip(NEXT) | instid1(VALU_DEP_1)
	v_mul_lo_u32 v2, v2, s8
	v_sub_nc_u32_e32 v5, v1, v2
	s_delay_alu instid0(VALU_DEP_1) | instskip(NEXT) | instid1(VALU_DEP_1)
	v_mad_u64_u32 v[1:2], null, v5, s2, v[3:4]
	v_mov_b32_e32 v3, v1
.LBB79_173:
	v_cmp_ne_u32_e32 vcc_lo, 1, v0
	v_add_nc_u32_e32 v1, 0x80, v13
	s_cbranch_vccnz .LBB79_179
; %bb.174:
	v_mov_b32_e32 v2, 0
	s_cmp_eq_u32 s22, 0
	s_mov_b32 s8, 0
	s_cbranch_scc1 .LBB79_183
; %bb.175:
	s_min_u32 s9, s23, 15
	v_mov_b32_e32 v2, 0
	s_add_i32 s9, s9, 1
	s_cmp_eq_u32 s23, 2
	s_mov_b32 s10, 0
	s_cbranch_scc1 .LBB79_180
; %bb.176:
	v_dual_mov_b32 v2, 0 :: v_dual_mov_b32 v5, v1
	s_add_u32 s2, s0, 0xc4
	s_addc_u32 s3, s1, 0
	s_and_b32 s10, s9, 28
	s_mov_b32 s11, 0
	s_mov_b64 s[4:5], s[0:1]
.LBB79_177:                             ; =>This Inner Loop Header: Depth=1
	s_clause 0x1
	s_load_b256 s[12:19], s[4:5], 0x4
	s_load_b128 s[24:27], s[4:5], 0x24
	s_load_b128 s[28:31], s[2:3], 0x0
	s_add_u32 s4, s4, 48
	s_addc_u32 s5, s5, 0
	s_add_i32 s11, s11, 4
	s_add_u32 s2, s2, 16
	s_addc_u32 s3, s3, 0
	s_cmp_lg_u32 s10, s11
	s_waitcnt lgkmcnt(0)
	v_mul_hi_u32 v6, s13, v5
	s_delay_alu instid0(VALU_DEP_1) | instskip(NEXT) | instid1(VALU_DEP_1)
	v_add_nc_u32_e32 v6, v5, v6
	v_lshrrev_b32_e32 v6, s14, v6
	s_delay_alu instid0(VALU_DEP_1) | instskip(SKIP_1) | instid1(VALU_DEP_2)
	v_mul_hi_u32 v7, s16, v6
	v_mul_lo_u32 v10, v6, s12
	v_add_nc_u32_e32 v7, v6, v7
	s_delay_alu instid0(VALU_DEP_2) | instskip(NEXT) | instid1(VALU_DEP_2)
	v_sub_nc_u32_e32 v10, v5, v10
	v_lshrrev_b32_e32 v7, s17, v7
	s_delay_alu instid0(VALU_DEP_2) | instskip(NEXT) | instid1(VALU_DEP_2)
	v_mul_lo_u32 v10, v10, s28
	v_mul_hi_u32 v8, s19, v7
	v_mul_lo_u32 v11, v7, s15
	s_delay_alu instid0(VALU_DEP_2) | instskip(NEXT) | instid1(VALU_DEP_2)
	v_add_nc_u32_e32 v8, v7, v8
	v_sub_nc_u32_e32 v6, v6, v11
	s_delay_alu instid0(VALU_DEP_2) | instskip(NEXT) | instid1(VALU_DEP_2)
	v_lshrrev_b32_e32 v8, s24, v8
	v_mul_lo_u32 v6, v6, s29
	s_delay_alu instid0(VALU_DEP_2) | instskip(NEXT) | instid1(VALU_DEP_2)
	v_mul_hi_u32 v9, s26, v8
	v_add3_u32 v2, v10, v2, v6
	s_delay_alu instid0(VALU_DEP_2) | instskip(NEXT) | instid1(VALU_DEP_1)
	v_add_nc_u32_e32 v9, v8, v9
	v_lshrrev_b32_e32 v5, s27, v9
	v_mul_lo_u32 v9, v8, s18
	s_delay_alu instid0(VALU_DEP_2) | instskip(NEXT) | instid1(VALU_DEP_2)
	v_mul_lo_u32 v12, v5, s25
	v_sub_nc_u32_e32 v7, v7, v9
	s_delay_alu instid0(VALU_DEP_2) | instskip(NEXT) | instid1(VALU_DEP_2)
	v_sub_nc_u32_e32 v8, v8, v12
	v_mul_lo_u32 v7, v7, s30
	s_delay_alu instid0(VALU_DEP_2) | instskip(NEXT) | instid1(VALU_DEP_1)
	v_mul_lo_u32 v8, v8, s31
	v_add3_u32 v2, v7, v2, v8
	s_cbranch_scc1 .LBB79_177
; %bb.178:
	s_and_b32 s9, s9, 3
	s_delay_alu instid0(SALU_CYCLE_1)
	s_cmp_eq_u32 s9, 0
	s_cbranch_scc0 .LBB79_181
	s_branch .LBB79_183
.LBB79_179:
	s_mov_b32 s8, -1
                                        ; implicit-def: $vgpr2
	s_branch .LBB79_183
.LBB79_180:
	v_mov_b32_e32 v5, v1
	s_and_b32 s9, s9, 3
	s_delay_alu instid0(SALU_CYCLE_1)
	s_cmp_eq_u32 s9, 0
	s_cbranch_scc1 .LBB79_183
.LBB79_181:
	s_lshl_b32 s2, s10, 2
	s_mul_i32 s4, s10, 12
	s_add_u32 s2, s2, s0
	s_addc_u32 s3, 0, s1
	s_add_u32 s2, s2, 0xc4
	s_addc_u32 s3, s3, 0
	;; [unrolled: 2-line block ×3, first 2 shown]
	.p2align	6
.LBB79_182:                             ; =>This Inner Loop Header: Depth=1
	s_clause 0x1
	s_load_b64 s[10:11], s[4:5], 0x4
	s_load_b32 s12, s[4:5], 0xc
	s_add_u32 s4, s4, 12
	s_addc_u32 s5, s5, 0
	s_waitcnt lgkmcnt(0)
	v_mul_hi_u32 v6, s11, v5
	s_load_b32 s11, s[2:3], 0x0
	s_add_u32 s2, s2, 4
	s_addc_u32 s3, s3, 0
	s_add_i32 s9, s9, -1
	s_delay_alu instid0(SALU_CYCLE_1) | instskip(NEXT) | instid1(VALU_DEP_1)
	s_cmp_lg_u32 s9, 0
	v_add_nc_u32_e32 v6, v5, v6
	s_delay_alu instid0(VALU_DEP_1) | instskip(NEXT) | instid1(VALU_DEP_1)
	v_lshrrev_b32_e32 v8, s12, v6
	v_mul_lo_u32 v6, v8, s10
	s_delay_alu instid0(VALU_DEP_1) | instskip(SKIP_1) | instid1(VALU_DEP_1)
	v_sub_nc_u32_e32 v5, v5, v6
	s_waitcnt lgkmcnt(0)
	v_mad_u64_u32 v[6:7], null, v5, s11, v[2:3]
	s_delay_alu instid0(VALU_DEP_1)
	v_dual_mov_b32 v5, v8 :: v_dual_mov_b32 v2, v6
	s_cbranch_scc1 .LBB79_182
.LBB79_183:
	s_and_not1_b32 vcc_lo, exec_lo, s8
	s_cbranch_vccnz .LBB79_186
; %bb.184:
	s_clause 0x1
	s_load_b128 s[8:11], s[0:1], 0x4
	s_load_b32 s2, s[0:1], 0xc4
	s_cmp_lt_u32 s22, 2
	s_waitcnt lgkmcnt(0)
	v_mul_hi_u32 v2, s9, v1
	s_delay_alu instid0(VALU_DEP_1) | instskip(NEXT) | instid1(VALU_DEP_1)
	v_add_nc_u32_e32 v2, v1, v2
	v_lshrrev_b32_e32 v5, s10, v2
	s_delay_alu instid0(VALU_DEP_1) | instskip(NEXT) | instid1(VALU_DEP_1)
	v_mul_lo_u32 v2, v5, s8
	v_sub_nc_u32_e32 v1, v1, v2
	s_delay_alu instid0(VALU_DEP_1)
	v_mul_lo_u32 v2, v1, s2
	s_cbranch_scc1 .LBB79_186
; %bb.185:
	s_clause 0x1
	s_load_b128 s[8:11], s[0:1], 0x10
	s_load_b32 s2, s[0:1], 0xc8
	s_waitcnt lgkmcnt(0)
	v_mul_hi_u32 v1, s9, v5
	s_delay_alu instid0(VALU_DEP_1) | instskip(NEXT) | instid1(VALU_DEP_1)
	v_add_nc_u32_e32 v1, v5, v1
	v_lshrrev_b32_e32 v1, s10, v1
	s_delay_alu instid0(VALU_DEP_1) | instskip(NEXT) | instid1(VALU_DEP_1)
	v_mul_lo_u32 v1, v1, s8
	v_sub_nc_u32_e32 v1, v5, v1
	s_delay_alu instid0(VALU_DEP_1) | instskip(NEXT) | instid1(VALU_DEP_1)
	v_mad_u64_u32 v[5:6], null, v1, s2, v[2:3]
	v_mov_b32_e32 v2, v5
.LBB79_186:
	v_cmp_ne_u32_e32 vcc_lo, 1, v0
	v_add_nc_u32_e32 v5, 0x100, v13
	s_cbranch_vccnz .LBB79_192
; %bb.187:
	v_mov_b32_e32 v1, 0
	s_cmp_eq_u32 s22, 0
	s_mov_b32 s8, 0
	s_cbranch_scc1 .LBB79_196
; %bb.188:
	s_min_u32 s9, s23, 15
	v_mov_b32_e32 v1, 0
	s_add_i32 s9, s9, 1
	s_cmp_eq_u32 s23, 2
	s_mov_b32 s10, 0
	s_cbranch_scc1 .LBB79_193
; %bb.189:
	v_dual_mov_b32 v1, 0 :: v_dual_mov_b32 v6, v5
	s_add_u32 s2, s0, 0xc4
	s_addc_u32 s3, s1, 0
	s_and_b32 s10, s9, 28
	s_mov_b32 s11, 0
	s_mov_b64 s[4:5], s[0:1]
.LBB79_190:                             ; =>This Inner Loop Header: Depth=1
	s_clause 0x1
	s_load_b256 s[12:19], s[4:5], 0x4
	s_load_b128 s[24:27], s[4:5], 0x24
	s_load_b128 s[28:31], s[2:3], 0x0
	s_add_u32 s4, s4, 48
	s_addc_u32 s5, s5, 0
	s_add_i32 s11, s11, 4
	s_add_u32 s2, s2, 16
	s_addc_u32 s3, s3, 0
	s_cmp_lg_u32 s10, s11
	s_waitcnt lgkmcnt(0)
	v_mul_hi_u32 v7, s13, v6
	s_delay_alu instid0(VALU_DEP_1) | instskip(NEXT) | instid1(VALU_DEP_1)
	v_add_nc_u32_e32 v7, v6, v7
	v_lshrrev_b32_e32 v7, s14, v7
	s_delay_alu instid0(VALU_DEP_1) | instskip(SKIP_1) | instid1(VALU_DEP_2)
	v_mul_hi_u32 v8, s16, v7
	v_mul_lo_u32 v11, v7, s12
	v_add_nc_u32_e32 v8, v7, v8
	s_delay_alu instid0(VALU_DEP_2) | instskip(NEXT) | instid1(VALU_DEP_2)
	v_sub_nc_u32_e32 v11, v6, v11
	v_lshrrev_b32_e32 v8, s17, v8
	s_delay_alu instid0(VALU_DEP_2) | instskip(NEXT) | instid1(VALU_DEP_2)
	v_mul_lo_u32 v11, v11, s28
	v_mul_hi_u32 v9, s19, v8
	v_mul_lo_u32 v12, v8, s15
	s_delay_alu instid0(VALU_DEP_2) | instskip(NEXT) | instid1(VALU_DEP_2)
	v_add_nc_u32_e32 v9, v8, v9
	v_sub_nc_u32_e32 v7, v7, v12
	s_delay_alu instid0(VALU_DEP_2) | instskip(NEXT) | instid1(VALU_DEP_2)
	v_lshrrev_b32_e32 v9, s24, v9
	v_mul_lo_u32 v7, v7, s29
	s_delay_alu instid0(VALU_DEP_2) | instskip(NEXT) | instid1(VALU_DEP_2)
	v_mul_hi_u32 v10, s26, v9
	v_add3_u32 v1, v11, v1, v7
	s_delay_alu instid0(VALU_DEP_2) | instskip(NEXT) | instid1(VALU_DEP_1)
	v_add_nc_u32_e32 v10, v9, v10
	v_lshrrev_b32_e32 v6, s27, v10
	v_mul_lo_u32 v10, v9, s18
	s_delay_alu instid0(VALU_DEP_2) | instskip(NEXT) | instid1(VALU_DEP_2)
	v_mul_lo_u32 v13, v6, s25
	v_sub_nc_u32_e32 v8, v8, v10
	s_delay_alu instid0(VALU_DEP_2) | instskip(NEXT) | instid1(VALU_DEP_2)
	v_sub_nc_u32_e32 v9, v9, v13
	v_mul_lo_u32 v8, v8, s30
	s_delay_alu instid0(VALU_DEP_2) | instskip(NEXT) | instid1(VALU_DEP_1)
	v_mul_lo_u32 v9, v9, s31
	v_add3_u32 v1, v8, v1, v9
	s_cbranch_scc1 .LBB79_190
; %bb.191:
	s_and_b32 s9, s9, 3
	s_delay_alu instid0(SALU_CYCLE_1)
	s_cmp_eq_u32 s9, 0
	s_cbranch_scc0 .LBB79_194
	s_branch .LBB79_196
.LBB79_192:
	s_mov_b32 s8, -1
                                        ; implicit-def: $vgpr1
	s_branch .LBB79_196
.LBB79_193:
	v_mov_b32_e32 v6, v5
	s_and_b32 s9, s9, 3
	s_delay_alu instid0(SALU_CYCLE_1)
	s_cmp_eq_u32 s9, 0
	s_cbranch_scc1 .LBB79_196
.LBB79_194:
	s_lshl_b32 s2, s10, 2
	s_mul_i32 s4, s10, 12
	s_add_u32 s2, s2, s0
	s_addc_u32 s3, 0, s1
	s_add_u32 s2, s2, 0xc4
	s_addc_u32 s3, s3, 0
	;; [unrolled: 2-line block ×3, first 2 shown]
	.p2align	6
.LBB79_195:                             ; =>This Inner Loop Header: Depth=1
	s_clause 0x1
	s_load_b64 s[10:11], s[4:5], 0x4
	s_load_b32 s12, s[4:5], 0xc
	s_add_u32 s4, s4, 12
	s_addc_u32 s5, s5, 0
	s_waitcnt lgkmcnt(0)
	v_mul_hi_u32 v7, s11, v6
	s_load_b32 s11, s[2:3], 0x0
	s_add_u32 s2, s2, 4
	s_addc_u32 s3, s3, 0
	s_add_i32 s9, s9, -1
	s_delay_alu instid0(SALU_CYCLE_1) | instskip(NEXT) | instid1(VALU_DEP_1)
	s_cmp_lg_u32 s9, 0
	v_add_nc_u32_e32 v7, v6, v7
	s_delay_alu instid0(VALU_DEP_1) | instskip(NEXT) | instid1(VALU_DEP_1)
	v_lshrrev_b32_e32 v9, s12, v7
	v_mul_lo_u32 v7, v9, s10
	s_delay_alu instid0(VALU_DEP_1) | instskip(SKIP_1) | instid1(VALU_DEP_1)
	v_sub_nc_u32_e32 v6, v6, v7
	s_waitcnt lgkmcnt(0)
	v_mad_u64_u32 v[7:8], null, v6, s11, v[1:2]
	s_delay_alu instid0(VALU_DEP_1)
	v_dual_mov_b32 v6, v9 :: v_dual_mov_b32 v1, v7
	s_cbranch_scc1 .LBB79_195
.LBB79_196:
	s_and_not1_b32 vcc_lo, exec_lo, s8
	s_cbranch_vccnz .LBB79_199
; %bb.197:
	s_clause 0x1
	s_load_b128 s[8:11], s[0:1], 0x4
	s_load_b32 s2, s[0:1], 0xc4
	s_cmp_lt_u32 s22, 2
	s_waitcnt lgkmcnt(0)
	v_mul_hi_u32 v1, s9, v5
	s_delay_alu instid0(VALU_DEP_1) | instskip(NEXT) | instid1(VALU_DEP_1)
	v_add_nc_u32_e32 v1, v5, v1
	v_lshrrev_b32_e32 v6, s10, v1
	s_delay_alu instid0(VALU_DEP_1) | instskip(NEXT) | instid1(VALU_DEP_1)
	v_mul_lo_u32 v1, v6, s8
	v_sub_nc_u32_e32 v1, v5, v1
	s_delay_alu instid0(VALU_DEP_1)
	v_mul_lo_u32 v1, v1, s2
	s_cbranch_scc1 .LBB79_199
; %bb.198:
	s_clause 0x1
	s_load_b128 s[8:11], s[0:1], 0x10
	s_load_b32 s2, s[0:1], 0xc8
	s_waitcnt lgkmcnt(0)
	v_mul_hi_u32 v5, s9, v6
	s_delay_alu instid0(VALU_DEP_1) | instskip(NEXT) | instid1(VALU_DEP_1)
	v_add_nc_u32_e32 v5, v6, v5
	v_lshrrev_b32_e32 v5, s10, v5
	s_delay_alu instid0(VALU_DEP_1) | instskip(NEXT) | instid1(VALU_DEP_1)
	v_mul_lo_u32 v5, v5, s8
	v_sub_nc_u32_e32 v7, v6, v5
	s_delay_alu instid0(VALU_DEP_1) | instskip(NEXT) | instid1(VALU_DEP_1)
	v_mad_u64_u32 v[5:6], null, v7, s2, v[1:2]
	v_mov_b32_e32 v1, v5
.LBB79_199:
	v_cmp_ne_u32_e32 vcc_lo, 1, v0
	s_cbranch_vccnz .LBB79_205
; %bb.200:
	v_mov_b32_e32 v0, 0
	s_cmp_eq_u32 s22, 0
	s_mov_b32 s8, 0
	s_cbranch_scc1 .LBB79_209
; %bb.201:
	s_min_u32 s9, s23, 15
	v_mov_b32_e32 v0, 0
	s_add_i32 s9, s9, 1
	s_cmp_eq_u32 s23, 2
	s_mov_b32 s10, 0
	s_cbranch_scc1 .LBB79_206
; %bb.202:
	v_dual_mov_b32 v0, 0 :: v_dual_mov_b32 v5, v4
	s_add_u32 s2, s0, 0xc4
	s_addc_u32 s3, s1, 0
	s_and_b32 s10, s9, 28
	s_mov_b32 s11, 0
	s_mov_b64 s[4:5], s[0:1]
.LBB79_203:                             ; =>This Inner Loop Header: Depth=1
	s_clause 0x1
	s_load_b256 s[12:19], s[4:5], 0x4
	s_load_b128 s[24:27], s[4:5], 0x24
	s_load_b128 s[28:31], s[2:3], 0x0
	s_add_u32 s4, s4, 48
	s_addc_u32 s5, s5, 0
	s_add_i32 s11, s11, 4
	s_add_u32 s2, s2, 16
	s_addc_u32 s3, s3, 0
	s_cmp_lg_u32 s10, s11
	s_waitcnt lgkmcnt(0)
	v_mul_hi_u32 v6, s13, v5
	s_delay_alu instid0(VALU_DEP_1) | instskip(NEXT) | instid1(VALU_DEP_1)
	v_add_nc_u32_e32 v6, v5, v6
	v_lshrrev_b32_e32 v6, s14, v6
	s_delay_alu instid0(VALU_DEP_1) | instskip(SKIP_1) | instid1(VALU_DEP_2)
	v_mul_hi_u32 v7, s16, v6
	v_mul_lo_u32 v10, v6, s12
	v_add_nc_u32_e32 v7, v6, v7
	s_delay_alu instid0(VALU_DEP_2) | instskip(NEXT) | instid1(VALU_DEP_2)
	v_sub_nc_u32_e32 v10, v5, v10
	v_lshrrev_b32_e32 v7, s17, v7
	s_delay_alu instid0(VALU_DEP_2) | instskip(NEXT) | instid1(VALU_DEP_2)
	v_mul_lo_u32 v10, v10, s28
	v_mul_hi_u32 v8, s19, v7
	v_mul_lo_u32 v11, v7, s15
	s_delay_alu instid0(VALU_DEP_2) | instskip(NEXT) | instid1(VALU_DEP_2)
	v_add_nc_u32_e32 v8, v7, v8
	v_sub_nc_u32_e32 v6, v6, v11
	s_delay_alu instid0(VALU_DEP_2) | instskip(NEXT) | instid1(VALU_DEP_2)
	v_lshrrev_b32_e32 v8, s24, v8
	v_mul_lo_u32 v6, v6, s29
	s_delay_alu instid0(VALU_DEP_2) | instskip(NEXT) | instid1(VALU_DEP_2)
	v_mul_hi_u32 v9, s26, v8
	v_add3_u32 v0, v10, v0, v6
	s_delay_alu instid0(VALU_DEP_2) | instskip(NEXT) | instid1(VALU_DEP_1)
	v_add_nc_u32_e32 v9, v8, v9
	v_lshrrev_b32_e32 v5, s27, v9
	v_mul_lo_u32 v9, v8, s18
	s_delay_alu instid0(VALU_DEP_2) | instskip(NEXT) | instid1(VALU_DEP_2)
	v_mul_lo_u32 v12, v5, s25
	v_sub_nc_u32_e32 v7, v7, v9
	s_delay_alu instid0(VALU_DEP_2) | instskip(NEXT) | instid1(VALU_DEP_2)
	v_sub_nc_u32_e32 v8, v8, v12
	v_mul_lo_u32 v7, v7, s30
	s_delay_alu instid0(VALU_DEP_2) | instskip(NEXT) | instid1(VALU_DEP_1)
	v_mul_lo_u32 v8, v8, s31
	v_add3_u32 v0, v7, v0, v8
	s_cbranch_scc1 .LBB79_203
; %bb.204:
	s_and_b32 s9, s9, 3
	s_delay_alu instid0(SALU_CYCLE_1)
	s_cmp_eq_u32 s9, 0
	s_cbranch_scc0 .LBB79_207
	s_branch .LBB79_209
.LBB79_205:
	s_mov_b32 s8, -1
                                        ; implicit-def: $vgpr0
	s_branch .LBB79_209
.LBB79_206:
	v_mov_b32_e32 v5, v4
	s_and_b32 s9, s9, 3
	s_delay_alu instid0(SALU_CYCLE_1)
	s_cmp_eq_u32 s9, 0
	s_cbranch_scc1 .LBB79_209
.LBB79_207:
	s_lshl_b32 s2, s10, 2
	s_mul_i32 s4, s10, 12
	s_add_u32 s2, s2, s0
	s_addc_u32 s3, 0, s1
	s_add_u32 s2, s2, 0xc4
	s_addc_u32 s3, s3, 0
	;; [unrolled: 2-line block ×3, first 2 shown]
	.p2align	6
.LBB79_208:                             ; =>This Inner Loop Header: Depth=1
	s_clause 0x1
	s_load_b64 s[10:11], s[4:5], 0x4
	s_load_b32 s12, s[4:5], 0xc
	s_add_u32 s4, s4, 12
	s_addc_u32 s5, s5, 0
	s_waitcnt lgkmcnt(0)
	v_mul_hi_u32 v6, s11, v5
	s_load_b32 s11, s[2:3], 0x0
	s_add_u32 s2, s2, 4
	s_addc_u32 s3, s3, 0
	s_add_i32 s9, s9, -1
	s_delay_alu instid0(SALU_CYCLE_1) | instskip(NEXT) | instid1(VALU_DEP_1)
	s_cmp_lg_u32 s9, 0
	v_add_nc_u32_e32 v6, v5, v6
	s_delay_alu instid0(VALU_DEP_1) | instskip(NEXT) | instid1(VALU_DEP_1)
	v_lshrrev_b32_e32 v8, s12, v6
	v_mul_lo_u32 v6, v8, s10
	s_delay_alu instid0(VALU_DEP_1) | instskip(SKIP_1) | instid1(VALU_DEP_1)
	v_sub_nc_u32_e32 v5, v5, v6
	s_waitcnt lgkmcnt(0)
	v_mad_u64_u32 v[6:7], null, v5, s11, v[0:1]
	s_delay_alu instid0(VALU_DEP_1)
	v_dual_mov_b32 v5, v8 :: v_dual_mov_b32 v0, v6
	s_cbranch_scc1 .LBB79_208
.LBB79_209:
	s_and_not1_b32 vcc_lo, exec_lo, s8
	s_cbranch_vccnz .LBB79_212
; %bb.210:
	s_clause 0x1
	s_load_b128 s[8:11], s[0:1], 0x4
	s_load_b32 s2, s[0:1], 0xc4
	s_cmp_lt_u32 s22, 2
	s_waitcnt lgkmcnt(0)
	v_mul_hi_u32 v0, s9, v4
	s_delay_alu instid0(VALU_DEP_1) | instskip(NEXT) | instid1(VALU_DEP_1)
	v_add_nc_u32_e32 v0, v4, v0
	v_lshrrev_b32_e32 v5, s10, v0
	s_delay_alu instid0(VALU_DEP_1) | instskip(NEXT) | instid1(VALU_DEP_1)
	v_mul_lo_u32 v0, v5, s8
	v_sub_nc_u32_e32 v0, v4, v0
	s_delay_alu instid0(VALU_DEP_1)
	v_mul_lo_u32 v0, v0, s2
	s_cbranch_scc1 .LBB79_212
; %bb.211:
	s_clause 0x1
	s_load_b128 s[8:11], s[0:1], 0x10
	s_load_b32 s2, s[0:1], 0xc8
	s_waitcnt lgkmcnt(0)
	v_mul_hi_u32 v4, s9, v5
	s_delay_alu instid0(VALU_DEP_1) | instskip(NEXT) | instid1(VALU_DEP_1)
	v_add_nc_u32_e32 v4, v5, v4
	v_lshrrev_b32_e32 v4, s10, v4
	s_delay_alu instid0(VALU_DEP_1) | instskip(NEXT) | instid1(VALU_DEP_1)
	v_mul_lo_u32 v4, v4, s8
	v_sub_nc_u32_e32 v6, v5, v4
	s_delay_alu instid0(VALU_DEP_1) | instskip(NEXT) | instid1(VALU_DEP_1)
	v_mad_u64_u32 v[4:5], null, v6, s2, v[0:1]
	v_mov_b32_e32 v0, v4
.LBB79_212:
	s_load_b128 s[0:3], s[0:1], 0x108
	s_mov_b32 s8, 0
	s_waitcnt lgkmcnt(0)
	s_and_b32 s4, s3, 0xff
	v_add_co_u32 v3, s5, s0, v3
	v_cmp_lt_i16_e64 s3, s4, 11
	v_add_co_ci_u32_e64 v4, null, s1, 0, s5
	s_mov_b32 s5, -1
	s_delay_alu instid0(VALU_DEP_2)
	s_and_b32 vcc_lo, exec_lo, s3
	s_mov_b32 s3, s6
	s_cbranch_vccnz .LBB79_473
; %bb.213:
	v_cmp_gt_i16_e64 s3, s4, 25
	s_mov_b32 s9, -1
	s_mov_b32 s5, 0
	s_delay_alu instid0(VALU_DEP_1)
	s_and_b32 vcc_lo, exec_lo, s3
	s_mov_b32 s3, 0
	s_cbranch_vccz .LBB79_308
; %bb.214:
	v_cmp_gt_i16_e64 s3, s4, 28
	s_delay_alu instid0(VALU_DEP_1)
	s_and_b32 vcc_lo, exec_lo, s3
	s_cbranch_vccz .LBB79_220
; %bb.215:
	v_cmp_gt_i16_e64 s3, s4, 43
	s_delay_alu instid0(VALU_DEP_1)
	s_and_b32 vcc_lo, exec_lo, s3
	;; [unrolled: 5-line block ×3, first 2 shown]
	s_cbranch_vccz .LBB79_278
; %bb.217:
	v_cmp_eq_u16_e64 s8, s4, 46
	s_mov_b32 s3, -1
	s_mov_b32 s9, 0
	s_delay_alu instid0(VALU_DEP_1)
	s_and_b32 vcc_lo, exec_lo, s8
	s_mov_b32 s8, 0
	s_cbranch_vccz .LBB79_279
; %bb.218:
	v_cvt_f32_f16_e32 v6, s2
	s_lshr_b32 s3, s2, 16
	s_mov_b32 s8, -1
	v_cvt_f32_f16_e32 v5, s3
	v_cmp_o_f16_e64 vcc_lo, s3, s3
	v_bfe_u32 v8, v6, 16, 1
	s_mov_b32 s3, 0
	s_delay_alu instid0(VALU_DEP_3) | instskip(NEXT) | instid1(VALU_DEP_2)
	v_bfe_u32 v7, v5, 16, 1
	v_add_nc_u32_e32 v6, v6, v8
	s_delay_alu instid0(VALU_DEP_1) | instskip(NEXT) | instid1(VALU_DEP_1)
	v_add_nc_u32_e32 v6, 0x7fff, v6
	v_lshrrev_b32_e32 v6, 16, v6
	s_delay_alu instid0(VALU_DEP_4) | instskip(NEXT) | instid1(VALU_DEP_1)
	v_add_nc_u32_e32 v5, v5, v7
	v_add_nc_u32_e32 v5, 0x7fff, v5
	s_delay_alu instid0(VALU_DEP_1) | instskip(NEXT) | instid1(VALU_DEP_1)
	v_and_b32_e32 v5, 0xffff0000, v5
	v_cndmask_b32_e32 v5, 0x7fc00000, v5, vcc_lo
	v_cmp_o_f16_e64 vcc_lo, s2, s2
	v_cndmask_b32_e32 v6, 0x7fc0, v6, vcc_lo
	s_delay_alu instid0(VALU_DEP_1)
	v_or_b32_e32 v5, v5, v6
	global_store_b32 v[3:4], v5, off
	s_branch .LBB79_279
.LBB79_219:
                                        ; implicit-def: $vgpr10
	s_branch .LBB79_227
.LBB79_220:
	s_mov_b32 s3, 0
	s_branch .LBB79_288
.LBB79_221:
	s_mov_b32 s3, 0
	s_and_b32 vcc_lo, exec_lo, s9
	s_cbranch_vccnz .LBB79_285
	s_branch .LBB79_287
.LBB79_222:
	v_mov_b32_e32 v11, v13
.LBB79_223:
	s_and_b32 s53, s53, 3
	s_delay_alu instid0(SALU_CYCLE_1)
	s_cmp_eq_u32 s53, 0
	s_cbranch_scc1 .LBB79_226
; %bb.224:
	s_lshl_b32 s18, s51, 2
	s_mul_i32 s20, s51, 12
	s_add_u32 s18, s18, s0
	s_addc_u32 s19, s1, 0
	s_add_u32 s18, s18, 0xc4
	s_addc_u32 s19, s19, 0
	;; [unrolled: 2-line block ×3, first 2 shown]
	.p2align	6
.LBB79_225:                             ; =>This Inner Loop Header: Depth=1
	s_clause 0x1
	s_load_b64 s[54:55], s[20:21], 0x4
	s_load_b32 s51, s[20:21], 0xc
	s_add_u32 s20, s20, 12
	s_addc_u32 s21, s21, 0
	s_waitcnt lgkmcnt(0)
	v_mul_hi_u32 v22, s55, v11
	s_load_b32 s55, s[18:19], 0x0
	s_add_u32 s18, s18, 4
	s_addc_u32 s19, s19, 0
	s_add_i32 s53, s53, -1
	s_delay_alu instid0(SALU_CYCLE_1) | instskip(NEXT) | instid1(VALU_DEP_1)
	s_cmp_lg_u32 s53, 0
	v_add_nc_u32_e32 v22, v11, v22
	s_delay_alu instid0(VALU_DEP_1) | instskip(NEXT) | instid1(VALU_DEP_1)
	v_lshrrev_b32_e32 v24, s51, v22
	v_mul_lo_u32 v22, v24, s54
	s_delay_alu instid0(VALU_DEP_1) | instskip(SKIP_1) | instid1(VALU_DEP_1)
	v_sub_nc_u32_e32 v11, v11, v22
	s_waitcnt lgkmcnt(0)
	v_mad_u64_u32 v[22:23], null, v11, s55, v[10:11]
	s_delay_alu instid0(VALU_DEP_1)
	v_dual_mov_b32 v11, v24 :: v_dual_mov_b32 v10, v22
	s_cbranch_scc1 .LBB79_225
.LBB79_226:
	s_cbranch_execnz .LBB79_229
.LBB79_227:
	s_waitcnt lgkmcnt(0)
	v_mul_hi_u32 v10, s9, v13
	s_and_not1_b32 vcc_lo, exec_lo, s45
	s_delay_alu instid0(VALU_DEP_1) | instskip(NEXT) | instid1(VALU_DEP_1)
	v_add_nc_u32_e32 v10, v13, v10
	v_lshrrev_b32_e32 v11, s10, v10
	s_delay_alu instid0(VALU_DEP_1) | instskip(NEXT) | instid1(VALU_DEP_1)
	v_mul_lo_u32 v10, v11, s8
	v_sub_nc_u32_e32 v10, v13, v10
	s_delay_alu instid0(VALU_DEP_1)
	v_mul_lo_u32 v10, v10, s12
	s_cbranch_vccnz .LBB79_229
; %bb.228:
	v_mul_hi_u32 v22, s14, v11
	s_delay_alu instid0(VALU_DEP_1) | instskip(NEXT) | instid1(VALU_DEP_1)
	v_add_nc_u32_e32 v22, v11, v22
	v_lshrrev_b32_e32 v22, s15, v22
	s_delay_alu instid0(VALU_DEP_1) | instskip(NEXT) | instid1(VALU_DEP_1)
	v_mul_lo_u32 v22, v22, s11
	v_sub_nc_u32_e32 v11, v11, v22
	s_delay_alu instid0(VALU_DEP_1) | instskip(NEXT) | instid1(VALU_DEP_1)
	v_mad_u64_u32 v[22:23], null, v11, s13, v[10:11]
	v_mov_b32_e32 v10, v22
.LBB79_229:
	v_and_b32_e64 v22, 0xff, s7
	s_delay_alu instid0(VALU_DEP_2) | instskip(NEXT) | instid1(VALU_DEP_1)
	v_add_co_u32 v10, s18, s4, v10
	v_add_co_ci_u32_e64 v11, null, s5, 0, s18
	s_delay_alu instid0(VALU_DEP_3)
	v_cmp_gt_i16_e32 vcc_lo, 11, v22
	s_mov_b32 s19, 0
	s_mov_b32 s20, -1
	s_mov_b32 s18, s49
	s_cbranch_vccnz .LBB79_236
; %bb.230:
	v_cmp_lt_i16_e32 vcc_lo, 25, v22
	s_cbranch_vccz .LBB79_276
; %bb.231:
	v_cmp_lt_i16_e32 vcc_lo, 28, v22
	s_cbranch_vccz .LBB79_277
	;; [unrolled: 3-line block ×4, first 2 shown]
; %bb.234:
	v_cmp_eq_u16_e32 vcc_lo, 46, v22
	s_mov_b32 s20, 0
	s_mov_b32 s18, -1
	s_cbranch_vccz .LBB79_316
; %bb.235:
	s_mov_b32 s19, -1
	s_mov_b32 s18, 0
	global_store_b32 v[10:11], v21, off
	s_branch .LBB79_316
.LBB79_236:
	s_and_b32 vcc_lo, exec_lo, s20
	s_cbranch_vccz .LBB79_361
; %bb.237:
	v_cmp_gt_i16_e32 vcc_lo, 5, v22
	s_mov_b32 s19, -1
	s_cbranch_vccnz .LBB79_258
; %bb.238:
	v_cmp_gt_i16_e32 vcc_lo, 8, v22
	s_cbranch_vccnz .LBB79_248
; %bb.239:
	v_cmp_gt_i16_e32 vcc_lo, 9, v22
	s_cbranch_vccnz .LBB79_245
; %bb.240:
	v_cmp_lt_i16_e32 vcc_lo, 9, v22
	s_cbranch_vccz .LBB79_242
; %bb.241:
	s_mov_b32 s19, 0
	global_store_b128 v[10:11], v[0:3], off
.LBB79_242:
	s_and_not1_b32 vcc_lo, exec_lo, s19
	s_cbranch_vccnz .LBB79_244
; %bb.243:
	global_store_b64 v[10:11], v[6:7], off
.LBB79_244:
	s_mov_b32 s19, 0
.LBB79_245:
	s_delay_alu instid0(SALU_CYCLE_1)
	s_and_not1_b32 vcc_lo, exec_lo, s19
	s_cbranch_vccnz .LBB79_247
; %bb.246:
	v_mov_b32_e32 v23, s6
	global_store_b32 v[10:11], v23, off
.LBB79_247:
	s_mov_b32 s19, 0
.LBB79_248:
	s_delay_alu instid0(SALU_CYCLE_1)
	s_and_not1_b32 vcc_lo, exec_lo, s19
	s_cbranch_vccnz .LBB79_257
; %bb.249:
	v_cmp_gt_i16_e32 vcc_lo, 6, v22
	s_mov_b32 s19, -1
	s_cbranch_vccnz .LBB79_255
; %bb.250:
	v_cmp_lt_i16_e32 vcc_lo, 6, v22
	s_cbranch_vccz .LBB79_252
; %bb.251:
	s_mov_b32 s19, 0
	global_store_b64 v[10:11], v[0:1], off
.LBB79_252:
	s_and_not1_b32 vcc_lo, exec_lo, s19
	s_cbranch_vccnz .LBB79_254
; %bb.253:
	global_store_b32 v[10:11], v6, off
.LBB79_254:
	s_mov_b32 s19, 0
.LBB79_255:
	s_delay_alu instid0(SALU_CYCLE_1)
	s_and_not1_b32 vcc_lo, exec_lo, s19
	s_cbranch_vccnz .LBB79_257
; %bb.256:
	v_mov_b32_e32 v23, s6
	global_store_b16 v[10:11], v23, off
.LBB79_257:
	s_mov_b32 s19, 0
.LBB79_258:
	s_delay_alu instid0(SALU_CYCLE_1)
	s_and_not1_b32 vcc_lo, exec_lo, s19
	s_cbranch_vccnz .LBB79_274
; %bb.259:
	v_cmp_gt_i16_e32 vcc_lo, 2, v22
	s_mov_b32 s19, -1
	s_cbranch_vccnz .LBB79_269
; %bb.260:
	v_cmp_gt_i16_e32 vcc_lo, 3, v22
	s_cbranch_vccnz .LBB79_266
; %bb.261:
	v_cmp_lt_i16_e32 vcc_lo, 3, v22
	s_cbranch_vccz .LBB79_263
; %bb.262:
	s_mov_b32 s19, 0
	global_store_b64 v[10:11], v[4:5], off
.LBB79_263:
	s_and_not1_b32 vcc_lo, exec_lo, s19
	s_cbranch_vccnz .LBB79_265
; %bb.264:
	global_store_b32 v[10:11], v4, off
.LBB79_265:
	s_mov_b32 s19, 0
.LBB79_266:
	s_delay_alu instid0(SALU_CYCLE_1)
	s_and_not1_b32 vcc_lo, exec_lo, s19
	s_cbranch_vccnz .LBB79_268
; %bb.267:
	global_store_b16 v[10:11], v12, off
.LBB79_268:
	s_mov_b32 s19, 0
.LBB79_269:
	s_delay_alu instid0(SALU_CYCLE_1)
	s_and_not1_b32 vcc_lo, exec_lo, s19
	s_cbranch_vccnz .LBB79_274
; %bb.270:
	v_cmp_lt_i16_e32 vcc_lo, 0, v22
	s_mov_b32 s19, -1
	s_cbranch_vccz .LBB79_272
; %bb.271:
	s_mov_b32 s19, 0
	global_store_b8 v[10:11], v12, off
.LBB79_272:
	s_and_not1_b32 vcc_lo, exec_lo, s19
	s_cbranch_vccnz .LBB79_274
; %bb.273:
	global_store_b8 v[10:11], v4, off
.LBB79_274:
	s_branch .LBB79_362
.LBB79_275:
	s_mov_b32 s19, 0
                                        ; implicit-def: $vgpr13
	s_branch .LBB79_363
.LBB79_276:
	s_mov_b32 s18, s49
	s_branch .LBB79_338
.LBB79_277:
	s_mov_b32 s18, s49
	s_branch .LBB79_324
.LBB79_278:
	s_mov_b32 s3, 0
.LBB79_279:
	s_and_b32 vcc_lo, exec_lo, s9
	s_cbranch_vccz .LBB79_284
; %bb.280:
	v_cmp_eq_u16_e64 s3, s4, 44
	s_delay_alu instid0(VALU_DEP_1)
	s_and_b32 vcc_lo, exec_lo, s3
	s_mov_b32 s3, -1
	s_cbranch_vccz .LBB79_284
; %bb.281:
	v_cvt_f32_f16_e32 v5, s2
	v_mov_b32_e32 v6, 0xff
	s_delay_alu instid0(VALU_DEP_2) | instskip(NEXT) | instid1(VALU_DEP_1)
	v_readfirstlane_b32 s3, v5
	s_bfe_u32 s8, s3, 0x80017
	s_delay_alu instid0(SALU_CYCLE_1)
	s_cmpk_eq_i32 s8, 0xff
	s_cbranch_scc1 .LBB79_283
; %bb.282:
	s_bitcmp1_b32 s3, 22
	v_lshrrev_b32_e32 v5, 23, v5
	s_cselect_b32 s9, -1, 0
	s_and_b32 s3, s3, 0x3fffff
	s_delay_alu instid0(SALU_CYCLE_1) | instskip(NEXT) | instid1(SALU_CYCLE_1)
	s_or_b32 s3, s8, s3
	s_cmp_lg_u32 s3, 0
	s_cselect_b32 s3, -1, 0
	s_delay_alu instid0(SALU_CYCLE_1) | instskip(NEXT) | instid1(SALU_CYCLE_1)
	s_and_b32 s3, s9, s3
	v_cndmask_b32_e64 v6, 0, 1, s3
	s_delay_alu instid0(VALU_DEP_1)
	v_add_nc_u32_e32 v6, v5, v6
.LBB79_283:
	s_mov_b32 s3, 0
	s_mov_b32 s8, -1
	global_store_b8 v[3:4], v6, off
.LBB79_284:
	s_branch .LBB79_287
.LBB79_285:
	v_cmp_eq_u16_e64 s3, s4, 29
	s_delay_alu instid0(VALU_DEP_1)
	s_and_b32 vcc_lo, exec_lo, s3
	s_mov_b32 s3, -1
	s_cbranch_vccz .LBB79_287
; %bb.286:
	v_cvt_f32_f16_e32 v5, s2
	v_mov_b32_e32 v6, 0
	s_mov_b32 s3, 0
	s_mov_b32 s8, -1
	s_mov_b32 s9, 0
	v_cvt_u32_f32_e32 v5, v5
	global_store_b64 v[3:4], v[5:6], off
	s_branch .LBB79_288
.LBB79_287:
	s_mov_b32 s9, 0
.LBB79_288:
	s_delay_alu instid0(SALU_CYCLE_1)
	s_and_b32 vcc_lo, exec_lo, s9
	s_cbranch_vccz .LBB79_307
; %bb.289:
	v_cmp_lt_i16_e64 s8, s4, 27
	s_delay_alu instid0(VALU_DEP_1)
	s_and_b32 vcc_lo, exec_lo, s8
	s_mov_b32 s8, -1
	s_cbranch_vccnz .LBB79_295
; %bb.290:
	v_cmp_gt_i16_e64 s8, s4, 27
	s_delay_alu instid0(VALU_DEP_1)
	s_and_b32 vcc_lo, exec_lo, s8
	s_mov_b32 s8, -1
	s_cbranch_vccz .LBB79_292
; %bb.291:
	v_cvt_f32_f16_e32 v5, s2
	s_mov_b32 s8, 0
	s_delay_alu instid0(VALU_DEP_1)
	v_cvt_u32_f32_e32 v5, v5
	global_store_b32 v[3:4], v5, off
.LBB79_292:
	s_and_not1_b32 vcc_lo, exec_lo, s8
	s_cbranch_vccnz .LBB79_294
; %bb.293:
	v_cvt_u16_f16_e32 v5, s2
	global_store_b16 v[3:4], v5, off
.LBB79_294:
	s_mov_b32 s8, 0
.LBB79_295:
	s_delay_alu instid0(SALU_CYCLE_1)
	s_and_not1_b32 vcc_lo, exec_lo, s8
	s_cbranch_vccnz .LBB79_306
; %bb.296:
	v_cvt_f32_f16_e32 v5, s2
	v_mov_b32_e32 v6, 0x80
	s_delay_alu instid0(VALU_DEP_2) | instskip(NEXT) | instid1(VALU_DEP_1)
	v_readfirstlane_b32 s8, v5
	s_and_b32 s9, s8, 0x7fffffff
	s_delay_alu instid0(SALU_CYCLE_1)
	s_cmp_gt_u32 s9, 0x437fffff
	s_cbranch_scc1 .LBB79_305
; %bb.297:
	s_cmp_gt_u32 s9, 0x3bffffff
	s_cbranch_scc0 .LBB79_300
; %bb.298:
	s_bfe_u32 s9, s8, 0x10014
	s_mov_b32 s10, 0
	s_add_i32 s9, s8, s9
	s_delay_alu instid0(SALU_CYCLE_1) | instskip(NEXT) | instid1(SALU_CYCLE_1)
	s_add_i32 s9, s9, 0x487ffff
	s_lshr_b32 s11, s9, 20
	s_mov_b32 s9, -1
	s_branch .LBB79_301
.LBB79_299:
	s_mov_b32 s18, s49
	s_branch .LBB79_320
.LBB79_300:
	s_mov_b32 s10, -1
	s_mov_b32 s9, 0
                                        ; implicit-def: $sgpr11
.LBB79_301:
	v_mov_b32_e32 v5, s11
	s_and_not1_b32 vcc_lo, exec_lo, s10
                                        ; implicit-def: $sgpr10
	s_cbranch_vccnz .LBB79_303
; %bb.302:
	v_add_f32_e64 v5, 0x46000000, |s8|
	s_mov_b32 s10, 0
	s_delay_alu instid0(VALU_DEP_1) | instskip(NEXT) | instid1(VALU_DEP_1)
	v_and_b32_e32 v5, 0xff, v5
	v_cmp_ne_u32_e64 s9, 0, v5
.LBB79_303:
	v_mov_b32_e32 v6, s10
	s_delay_alu instid0(VALU_DEP_2)
	s_and_not1_b32 vcc_lo, exec_lo, s9
	s_cbranch_vccnz .LBB79_305
; %bb.304:
	s_lshr_b32 s8, s8, 24
	s_delay_alu instid0(SALU_CYCLE_1) | instskip(NEXT) | instid1(SALU_CYCLE_1)
	s_and_b32 s8, s8, 0x80
	v_or_b32_e32 v6, s8, v5
.LBB79_305:
	global_store_b8 v[3:4], v6, off
.LBB79_306:
	s_mov_b32 s8, -1
.LBB79_307:
	s_mov_b32 s9, 0
.LBB79_308:
	s_delay_alu instid0(SALU_CYCLE_1)
	s_and_b32 vcc_lo, exec_lo, s9
	s_cbranch_vccz .LBB79_469
; %bb.309:
	v_cmp_gt_i16_e64 s5, s4, 22
	s_delay_alu instid0(VALU_DEP_1)
	s_and_b32 vcc_lo, exec_lo, s5
	s_mov_b32 s5, -1
	s_cbranch_vccz .LBB79_462
; %bb.310:
	v_cmp_lt_i16_e64 s5, s4, 24
	s_delay_alu instid0(VALU_DEP_1)
	s_and_b32 vcc_lo, exec_lo, s5
	s_mov_b32 s5, -1
	s_cbranch_vccnz .LBB79_449
; %bb.311:
	v_cmp_gt_i16_e64 s5, s4, 24
	s_delay_alu instid0(VALU_DEP_1)
	s_and_b32 vcc_lo, exec_lo, s5
	s_mov_b32 s5, -1
	s_cbranch_vccz .LBB79_436
; %bb.312:
	v_cvt_f32_f16_e32 v5, s2
	v_mov_b32_e32 v6, 0x80
	s_delay_alu instid0(VALU_DEP_2) | instskip(NEXT) | instid1(VALU_DEP_1)
	v_readfirstlane_b32 s5, v5
	s_and_b32 s8, s5, 0x7fffffff
	s_delay_alu instid0(SALU_CYCLE_1)
	s_cmp_gt_u32 s8, 0x477fffff
	s_cbranch_scc1 .LBB79_435
; %bb.313:
	s_cmp_gt_u32 s8, 0x37ffffff
	s_cbranch_scc0 .LBB79_430
; %bb.314:
	s_bfe_u32 s8, s5, 0x10015
	s_mov_b32 s9, 0
	s_add_i32 s8, s5, s8
	s_delay_alu instid0(SALU_CYCLE_1) | instskip(NEXT) | instid1(SALU_CYCLE_1)
	s_add_i32 s8, s8, 0x88fffff
	s_lshr_b32 s10, s8, 21
	s_mov_b32 s8, -1
	s_branch .LBB79_431
.LBB79_315:
	s_mov_b32 s18, s49
.LBB79_316:
	s_and_b32 vcc_lo, exec_lo, s20
	s_cbranch_vccz .LBB79_319
; %bb.317:
	v_cmp_eq_u16_e32 vcc_lo, 44, v22
	s_mov_b32 s18, -1
	s_cbranch_vccz .LBB79_319
; %bb.318:
	v_cndmask_b32_e64 v23, v20, 0xff, s2
	s_mov_b32 s19, -1
	s_mov_b32 s18, 0
	global_store_b8 v[10:11], v23, off
.LBB79_319:
	s_mov_b32 s20, 0
.LBB79_320:
	s_delay_alu instid0(SALU_CYCLE_1)
	s_and_b32 vcc_lo, exec_lo, s20
	s_cbranch_vccz .LBB79_323
; %bb.321:
	v_cmp_eq_u16_e32 vcc_lo, 29, v22
	s_mov_b32 s18, -1
	s_cbranch_vccz .LBB79_323
; %bb.322:
	s_mov_b32 s19, -1
	s_mov_b32 s18, 0
	global_store_b64 v[10:11], v[8:9], off
.LBB79_323:
	s_mov_b32 s20, 0
.LBB79_324:
	s_delay_alu instid0(SALU_CYCLE_1)
	s_and_b32 vcc_lo, exec_lo, s20
	s_cbranch_vccz .LBB79_337
; %bb.325:
	v_cmp_gt_i16_e32 vcc_lo, 27, v22
	s_mov_b32 s19, -1
	s_cbranch_vccnz .LBB79_331
; %bb.326:
	v_cmp_lt_i16_e32 vcc_lo, 27, v22
	s_cbranch_vccz .LBB79_328
; %bb.327:
	s_mov_b32 s19, 0
	global_store_b32 v[10:11], v8, off
.LBB79_328:
	s_and_not1_b32 vcc_lo, exec_lo, s19
	s_cbranch_vccnz .LBB79_330
; %bb.329:
	global_store_b16 v[10:11], v19, off
.LBB79_330:
	s_mov_b32 s19, 0
.LBB79_331:
	s_delay_alu instid0(SALU_CYCLE_1)
	s_and_not1_b32 vcc_lo, exec_lo, s19
	s_cbranch_vccnz .LBB79_336
; %bb.332:
	v_mov_b32_e32 v23, 0x80
	s_and_not1_b32 vcc_lo, exec_lo, s43
	s_cbranch_vccnz .LBB79_335
; %bb.333:
	v_mov_b32_e32 v23, 0
	s_or_b32 s19, s40, s44
	s_delay_alu instid0(SALU_CYCLE_1)
	s_and_not1_b32 vcc_lo, exec_lo, s19
	s_cbranch_vccnz .LBB79_335
; %bb.334:
	v_cndmask_b32_e64 v23, v18, s41, s40
	s_delay_alu instid0(VALU_DEP_1)
	v_or_b32_e32 v23, v23, v17
.LBB79_335:
	global_store_b8 v[10:11], v23, off
.LBB79_336:
	s_mov_b32 s19, -1
.LBB79_337:
	s_mov_b32 s20, 0
.LBB79_338:
	s_delay_alu instid0(SALU_CYCLE_1)
	s_and_b32 vcc_lo, exec_lo, s20
	s_cbranch_vccz .LBB79_360
; %bb.339:
	v_cmp_lt_i16_e32 vcc_lo, 22, v22
	s_mov_b32 s20, -1
	s_cbranch_vccz .LBB79_352
; %bb.340:
	v_cmp_gt_i16_e32 vcc_lo, 24, v22
	s_mov_b32 s19, -1
	s_cbranch_vccnz .LBB79_349
; %bb.341:
	v_cmp_lt_i16_e32 vcc_lo, 24, v22
	s_cbranch_vccz .LBB79_346
; %bb.342:
	v_mov_b32_e32 v23, 0x80
	s_and_not1_b32 vcc_lo, exec_lo, s37
	s_cbranch_vccnz .LBB79_345
; %bb.343:
	v_mov_b32_e32 v23, 0
	s_or_b32 s19, s34, s38
	s_delay_alu instid0(SALU_CYCLE_1)
	s_and_not1_b32 vcc_lo, exec_lo, s19
	s_cbranch_vccnz .LBB79_345
; %bb.344:
	v_cndmask_b32_e64 v23, v16, s35, s34
	s_delay_alu instid0(VALU_DEP_1)
	v_or_b32_e32 v23, v23, v17
.LBB79_345:
	s_mov_b32 s19, 0
	global_store_b8 v[10:11], v23, off
.LBB79_346:
	s_and_b32 vcc_lo, exec_lo, s19
	s_cbranch_vccz .LBB79_348
; %bb.347:
	s_and_b32 s19, s31, exec_lo
	s_cselect_b32 s19, s42, s33
	s_and_b32 s20, s29, exec_lo
	s_cselect_b32 s19, s36, s19
	s_delay_alu instid0(SALU_CYCLE_1)
	v_or_b32_e32 v23, s19, v17
	global_store_b8 v[10:11], v23, off
.LBB79_348:
	s_mov_b32 s19, 0
.LBB79_349:
	s_delay_alu instid0(SALU_CYCLE_1)
	s_and_not1_b32 vcc_lo, exec_lo, s19
	s_cbranch_vccnz .LBB79_351
; %bb.350:
	s_and_b32 s19, s27, exec_lo
	s_cselect_b32 s19, s39, s28
	s_and_b32 s20, s26, exec_lo
	s_cselect_b32 s19, s30, s19
	s_delay_alu instid0(SALU_CYCLE_1)
	v_or_b32_e32 v23, s19, v17
	global_store_b8 v[10:11], v23, off
.LBB79_351:
	s_mov_b32 s20, 0
	s_mov_b32 s19, -1
.LBB79_352:
	s_and_not1_b32 vcc_lo, exec_lo, s20
	s_cbranch_vccnz .LBB79_360
; %bb.353:
	v_cmp_lt_i16_e32 vcc_lo, 14, v22
	s_mov_b32 s20, -1
	s_cbranch_vccz .LBB79_357
; %bb.354:
	v_cmp_eq_u16_e32 vcc_lo, 15, v22
	s_mov_b32 s18, -1
	s_cbranch_vccz .LBB79_356
; %bb.355:
	s_mov_b32 s19, -1
	s_mov_b32 s18, 0
	global_store_b16 v[10:11], v15, off
.LBB79_356:
	s_mov_b32 s20, 0
.LBB79_357:
	s_delay_alu instid0(SALU_CYCLE_1)
	s_and_b32 vcc_lo, exec_lo, s20
	s_cbranch_vccz .LBB79_360
; %bb.358:
	v_cmp_eq_u16_e32 vcc_lo, 11, v22
	s_mov_b32 s18, -1
	s_cbranch_vccz .LBB79_360
; %bb.359:
	s_mov_b32 s19, -1
	s_mov_b32 s18, 0
	global_store_b8 v[10:11], v14, off
.LBB79_360:
.LBB79_361:
	s_and_not1_b32 vcc_lo, exec_lo, s19
	s_cbranch_vccnz .LBB79_275
.LBB79_362:
	v_add_nc_u32_e32 v13, 0x80, v13
	s_mov_b32 s19, -1
.LBB79_363:
	s_and_not1_b32 s20, s49, exec_lo
	s_and_b32 s18, s18, exec_lo
	s_delay_alu instid0(SALU_CYCLE_1)
	s_or_b32 s51, s20, s18
	s_or_not1_b32 s20, s19, exec_lo
.LBB79_364:
	s_or_b32 exec_lo, exec_lo, s52
	s_mov_b32 s18, 0
	s_mov_b32 s19, 0
                                        ; implicit-def: $vgpr22
                                        ; implicit-def: $vgpr10_vgpr11
	s_and_saveexec_b32 s52, s20
	s_cbranch_execz .LBB79_681
; %bb.365:
	s_mov_b32 s54, -1
	s_mov_b32 s20, s51
	s_mov_b32 s53, exec_lo
	v_cmpx_gt_i32_e64 s46, v13
	s_cbranch_execz .LBB79_612
; %bb.366:
	s_and_not1_b32 vcc_lo, exec_lo, s24
	s_cbranch_vccnz .LBB79_371
; %bb.367:
	v_mov_b32_e32 v10, 0
	s_and_not1_b32 vcc_lo, exec_lo, s48
	s_cbranch_vccnz .LBB79_376
; %bb.368:
	s_add_i32 s55, s47, 1
	s_cmp_eq_u32 s23, 2
	s_mov_b32 s54, 0
	s_cbranch_scc1 .LBB79_372
; %bb.369:
	v_dual_mov_b32 v10, 0 :: v_dual_mov_b32 v11, v13
	s_and_b32 s54, s55, 28
	s_mov_b32 s56, 0
	s_mov_b64 s[18:19], s[0:1]
	s_mov_b64 s[20:21], s[16:17]
.LBB79_370:                             ; =>This Inner Loop Header: Depth=1
	s_clause 0x1
	s_load_b256 s[60:67], s[18:19], 0x4
	s_load_b128 s[68:71], s[18:19], 0x24
	s_load_b128 s[72:75], s[20:21], 0x0
	s_add_u32 s18, s18, 48
	s_addc_u32 s19, s19, 0
	s_add_i32 s56, s56, 4
	s_add_u32 s20, s20, 16
	s_addc_u32 s21, s21, 0
	s_cmp_eq_u32 s54, s56
	s_waitcnt lgkmcnt(0)
	v_mul_hi_u32 v22, s61, v11
	s_delay_alu instid0(VALU_DEP_1) | instskip(NEXT) | instid1(VALU_DEP_1)
	v_add_nc_u32_e32 v22, v11, v22
	v_lshrrev_b32_e32 v22, s62, v22
	s_delay_alu instid0(VALU_DEP_1) | instskip(SKIP_1) | instid1(VALU_DEP_2)
	v_mul_hi_u32 v23, s64, v22
	v_mul_lo_u32 v26, v22, s60
	v_add_nc_u32_e32 v23, v22, v23
	s_delay_alu instid0(VALU_DEP_2) | instskip(NEXT) | instid1(VALU_DEP_2)
	v_sub_nc_u32_e32 v26, v11, v26
	v_lshrrev_b32_e32 v23, s65, v23
	s_delay_alu instid0(VALU_DEP_2) | instskip(NEXT) | instid1(VALU_DEP_2)
	v_mul_lo_u32 v26, v26, s72
	v_mul_hi_u32 v24, s67, v23
	v_mul_lo_u32 v27, v23, s63
	s_delay_alu instid0(VALU_DEP_2) | instskip(NEXT) | instid1(VALU_DEP_2)
	v_add_nc_u32_e32 v24, v23, v24
	v_sub_nc_u32_e32 v22, v22, v27
	s_delay_alu instid0(VALU_DEP_2) | instskip(NEXT) | instid1(VALU_DEP_2)
	v_lshrrev_b32_e32 v24, s68, v24
	v_mul_lo_u32 v22, v22, s73
	s_delay_alu instid0(VALU_DEP_2) | instskip(NEXT) | instid1(VALU_DEP_2)
	v_mul_hi_u32 v25, s70, v24
	v_add3_u32 v10, v26, v10, v22
	s_delay_alu instid0(VALU_DEP_2) | instskip(NEXT) | instid1(VALU_DEP_1)
	v_add_nc_u32_e32 v25, v24, v25
	v_lshrrev_b32_e32 v11, s71, v25
	v_mul_lo_u32 v25, v24, s66
	s_delay_alu instid0(VALU_DEP_2) | instskip(NEXT) | instid1(VALU_DEP_2)
	v_mul_lo_u32 v28, v11, s69
	v_sub_nc_u32_e32 v23, v23, v25
	s_delay_alu instid0(VALU_DEP_2) | instskip(NEXT) | instid1(VALU_DEP_2)
	v_sub_nc_u32_e32 v24, v24, v28
	v_mul_lo_u32 v23, v23, s74
	s_delay_alu instid0(VALU_DEP_2) | instskip(NEXT) | instid1(VALU_DEP_1)
	v_mul_lo_u32 v24, v24, s75
	v_add3_u32 v10, v23, v10, v24
	s_cbranch_scc0 .LBB79_370
	s_branch .LBB79_373
.LBB79_371:
	s_mov_b32 s18, -1
                                        ; implicit-def: $vgpr10
	s_branch .LBB79_377
.LBB79_372:
	v_mov_b32_e32 v11, v13
.LBB79_373:
	s_and_b32 s55, s55, 3
	s_delay_alu instid0(SALU_CYCLE_1)
	s_cmp_eq_u32 s55, 0
	s_cbranch_scc1 .LBB79_376
; %bb.374:
	s_lshl_b32 s18, s54, 2
	s_mul_i32 s20, s54, 12
	s_add_u32 s18, s18, s0
	s_addc_u32 s19, s1, 0
	s_add_u32 s18, s18, 0xc4
	s_addc_u32 s19, s19, 0
	;; [unrolled: 2-line block ×3, first 2 shown]
	.p2align	6
.LBB79_375:                             ; =>This Inner Loop Header: Depth=1
	s_clause 0x1
	s_load_b64 s[56:57], s[20:21], 0x4
	s_load_b32 s54, s[20:21], 0xc
	s_add_u32 s20, s20, 12
	s_addc_u32 s21, s21, 0
	s_waitcnt lgkmcnt(0)
	v_mul_hi_u32 v22, s57, v11
	s_load_b32 s57, s[18:19], 0x0
	s_add_u32 s18, s18, 4
	s_addc_u32 s19, s19, 0
	s_add_i32 s55, s55, -1
	s_delay_alu instid0(SALU_CYCLE_1) | instskip(NEXT) | instid1(VALU_DEP_1)
	s_cmp_lg_u32 s55, 0
	v_add_nc_u32_e32 v22, v11, v22
	s_delay_alu instid0(VALU_DEP_1) | instskip(NEXT) | instid1(VALU_DEP_1)
	v_lshrrev_b32_e32 v24, s54, v22
	v_mul_lo_u32 v22, v24, s56
	s_delay_alu instid0(VALU_DEP_1) | instskip(SKIP_1) | instid1(VALU_DEP_1)
	v_sub_nc_u32_e32 v11, v11, v22
	s_waitcnt lgkmcnt(0)
	v_mad_u64_u32 v[22:23], null, v11, s57, v[10:11]
	s_delay_alu instid0(VALU_DEP_1)
	v_dual_mov_b32 v11, v24 :: v_dual_mov_b32 v10, v22
	s_cbranch_scc1 .LBB79_375
.LBB79_376:
	s_mov_b32 s18, 0
.LBB79_377:
	s_delay_alu instid0(SALU_CYCLE_1)
	s_and_not1_b32 vcc_lo, exec_lo, s18
	s_cbranch_vccnz .LBB79_380
; %bb.378:
	s_waitcnt lgkmcnt(0)
	v_mul_hi_u32 v10, s9, v13
	s_and_not1_b32 vcc_lo, exec_lo, s45
	s_delay_alu instid0(VALU_DEP_1) | instskip(NEXT) | instid1(VALU_DEP_1)
	v_add_nc_u32_e32 v10, v13, v10
	v_lshrrev_b32_e32 v11, s10, v10
	s_delay_alu instid0(VALU_DEP_1) | instskip(NEXT) | instid1(VALU_DEP_1)
	v_mul_lo_u32 v10, v11, s8
	v_sub_nc_u32_e32 v10, v13, v10
	s_delay_alu instid0(VALU_DEP_1)
	v_mul_lo_u32 v10, v10, s12
	s_cbranch_vccnz .LBB79_380
; %bb.379:
	v_mul_hi_u32 v22, s14, v11
	s_delay_alu instid0(VALU_DEP_1) | instskip(NEXT) | instid1(VALU_DEP_1)
	v_add_nc_u32_e32 v22, v11, v22
	v_lshrrev_b32_e32 v22, s15, v22
	s_delay_alu instid0(VALU_DEP_1) | instskip(NEXT) | instid1(VALU_DEP_1)
	v_mul_lo_u32 v22, v22, s11
	v_sub_nc_u32_e32 v11, v11, v22
	s_delay_alu instid0(VALU_DEP_1) | instskip(NEXT) | instid1(VALU_DEP_1)
	v_mad_u64_u32 v[22:23], null, v11, s13, v[10:11]
	v_mov_b32_e32 v10, v22
.LBB79_380:
	v_and_b32_e64 v22, 0xff, s7
	s_delay_alu instid0(VALU_DEP_2) | instskip(NEXT) | instid1(VALU_DEP_1)
	v_add_co_u32 v10, s18, s4, v10
	v_add_co_ci_u32_e64 v11, null, s5, 0, s18
	s_delay_alu instid0(VALU_DEP_3)
	v_cmp_gt_i16_e32 vcc_lo, 11, v22
	s_mov_b32 s19, 0
	s_mov_b32 s20, -1
	s_mov_b32 s18, s51
	s_cbranch_vccnz .LBB79_387
; %bb.381:
	v_cmp_lt_i16_e32 vcc_lo, 25, v22
	s_cbranch_vccz .LBB79_427
; %bb.382:
	v_cmp_lt_i16_e32 vcc_lo, 28, v22
	s_cbranch_vccz .LBB79_428
	;; [unrolled: 3-line block ×4, first 2 shown]
; %bb.385:
	v_cmp_eq_u16_e32 vcc_lo, 46, v22
	s_mov_b32 s20, 0
	s_mov_b32 s18, -1
	s_cbranch_vccz .LBB79_564
; %bb.386:
	s_mov_b32 s19, -1
	s_mov_b32 s18, 0
	global_store_b32 v[10:11], v21, off
	s_branch .LBB79_564
.LBB79_387:
	s_and_b32 vcc_lo, exec_lo, s20
	s_cbranch_vccz .LBB79_609
; %bb.388:
	v_cmp_gt_i16_e32 vcc_lo, 5, v22
	s_mov_b32 s19, -1
	s_cbranch_vccnz .LBB79_409
; %bb.389:
	v_cmp_gt_i16_e32 vcc_lo, 8, v22
	s_cbranch_vccnz .LBB79_399
; %bb.390:
	v_cmp_gt_i16_e32 vcc_lo, 9, v22
	s_cbranch_vccnz .LBB79_396
; %bb.391:
	v_cmp_lt_i16_e32 vcc_lo, 9, v22
	s_cbranch_vccz .LBB79_393
; %bb.392:
	s_mov_b32 s19, 0
	global_store_b128 v[10:11], v[0:3], off
.LBB79_393:
	s_and_not1_b32 vcc_lo, exec_lo, s19
	s_cbranch_vccnz .LBB79_395
; %bb.394:
	global_store_b64 v[10:11], v[6:7], off
.LBB79_395:
	s_mov_b32 s19, 0
.LBB79_396:
	s_delay_alu instid0(SALU_CYCLE_1)
	s_and_not1_b32 vcc_lo, exec_lo, s19
	s_cbranch_vccnz .LBB79_398
; %bb.397:
	v_mov_b32_e32 v23, s6
	global_store_b32 v[10:11], v23, off
.LBB79_398:
	s_mov_b32 s19, 0
.LBB79_399:
	s_delay_alu instid0(SALU_CYCLE_1)
	s_and_not1_b32 vcc_lo, exec_lo, s19
	s_cbranch_vccnz .LBB79_408
; %bb.400:
	v_cmp_gt_i16_e32 vcc_lo, 6, v22
	s_mov_b32 s19, -1
	s_cbranch_vccnz .LBB79_406
; %bb.401:
	v_cmp_lt_i16_e32 vcc_lo, 6, v22
	s_cbranch_vccz .LBB79_403
; %bb.402:
	s_mov_b32 s19, 0
	global_store_b64 v[10:11], v[0:1], off
.LBB79_403:
	s_and_not1_b32 vcc_lo, exec_lo, s19
	s_cbranch_vccnz .LBB79_405
; %bb.404:
	global_store_b32 v[10:11], v6, off
.LBB79_405:
	s_mov_b32 s19, 0
.LBB79_406:
	s_delay_alu instid0(SALU_CYCLE_1)
	s_and_not1_b32 vcc_lo, exec_lo, s19
	s_cbranch_vccnz .LBB79_408
; %bb.407:
	v_mov_b32_e32 v23, s6
	global_store_b16 v[10:11], v23, off
.LBB79_408:
	s_mov_b32 s19, 0
.LBB79_409:
	s_delay_alu instid0(SALU_CYCLE_1)
	s_and_not1_b32 vcc_lo, exec_lo, s19
	s_cbranch_vccnz .LBB79_425
; %bb.410:
	v_cmp_gt_i16_e32 vcc_lo, 2, v22
	s_mov_b32 s19, -1
	s_cbranch_vccnz .LBB79_420
; %bb.411:
	v_cmp_gt_i16_e32 vcc_lo, 3, v22
	s_cbranch_vccnz .LBB79_417
; %bb.412:
	v_cmp_lt_i16_e32 vcc_lo, 3, v22
	s_cbranch_vccz .LBB79_414
; %bb.413:
	s_mov_b32 s19, 0
	global_store_b64 v[10:11], v[4:5], off
.LBB79_414:
	s_and_not1_b32 vcc_lo, exec_lo, s19
	s_cbranch_vccnz .LBB79_416
; %bb.415:
	global_store_b32 v[10:11], v4, off
.LBB79_416:
	s_mov_b32 s19, 0
.LBB79_417:
	s_delay_alu instid0(SALU_CYCLE_1)
	s_and_not1_b32 vcc_lo, exec_lo, s19
	s_cbranch_vccnz .LBB79_419
; %bb.418:
	global_store_b16 v[10:11], v12, off
.LBB79_419:
	s_mov_b32 s19, 0
.LBB79_420:
	s_delay_alu instid0(SALU_CYCLE_1)
	s_and_not1_b32 vcc_lo, exec_lo, s19
	s_cbranch_vccnz .LBB79_425
; %bb.421:
	v_cmp_lt_i16_e32 vcc_lo, 0, v22
	s_mov_b32 s19, -1
	s_cbranch_vccz .LBB79_423
; %bb.422:
	s_mov_b32 s19, 0
	global_store_b8 v[10:11], v12, off
.LBB79_423:
	s_and_not1_b32 vcc_lo, exec_lo, s19
	s_cbranch_vccnz .LBB79_425
; %bb.424:
	global_store_b8 v[10:11], v4, off
.LBB79_425:
	s_branch .LBB79_610
.LBB79_426:
	s_mov_b32 s19, 0
                                        ; implicit-def: $vgpr13
	s_branch .LBB79_611
.LBB79_427:
	s_mov_b32 s18, s51
	s_branch .LBB79_586
.LBB79_428:
	s_mov_b32 s18, s51
	s_branch .LBB79_572
.LBB79_429:
	s_mov_b32 s18, s51
	s_branch .LBB79_568
.LBB79_430:
	s_mov_b32 s9, -1
	s_mov_b32 s8, 0
                                        ; implicit-def: $sgpr10
.LBB79_431:
	v_mov_b32_e32 v5, s10
	s_and_not1_b32 vcc_lo, exec_lo, s9
                                        ; implicit-def: $sgpr9
	s_cbranch_vccnz .LBB79_433
; %bb.432:
	v_add_f32_e64 v5, 0x42800000, |s5|
	s_mov_b32 s9, 0
	s_delay_alu instid0(VALU_DEP_1) | instskip(NEXT) | instid1(VALU_DEP_1)
	v_and_b32_e32 v5, 0xff, v5
	v_cmp_ne_u32_e64 s8, 0, v5
.LBB79_433:
	v_mov_b32_e32 v6, s9
	s_delay_alu instid0(VALU_DEP_2)
	s_and_not1_b32 vcc_lo, exec_lo, s8
	s_cbranch_vccnz .LBB79_435
; %bb.434:
	s_lshr_b32 s5, s5, 24
	s_delay_alu instid0(SALU_CYCLE_1) | instskip(NEXT) | instid1(SALU_CYCLE_1)
	s_and_b32 s5, s5, 0x80
	v_or_b32_e32 v6, s5, v5
.LBB79_435:
	s_mov_b32 s5, 0
	global_store_b8 v[3:4], v6, off
.LBB79_436:
	s_and_b32 vcc_lo, exec_lo, s5
	s_cbranch_vccz .LBB79_448
; %bb.437:
	v_cvt_f32_f16_e32 v5, s2
	s_delay_alu instid0(VALU_DEP_1) | instskip(NEXT) | instid1(VALU_DEP_1)
	v_readfirstlane_b32 s5, v5
	s_and_b32 s8, s5, 0x7fffffff
	s_delay_alu instid0(SALU_CYCLE_1)
	s_cmp_lt_u32 s8, 0x43f00000
	s_cbranch_scc0 .LBB79_440
; %bb.438:
	s_cmp_gt_u32 s8, 0x3c7fffff
	s_cbranch_scc0 .LBB79_441
; %bb.439:
	s_bfe_u32 s9, s5, 0x10014
	s_delay_alu instid0(SALU_CYCLE_1) | instskip(NEXT) | instid1(SALU_CYCLE_1)
	s_add_i32 s9, s5, s9
	s_add_i32 s9, s9, 0x407ffff
	s_delay_alu instid0(SALU_CYCLE_1)
	s_and_b32 s10, s9, 0xff00000
	s_lshr_b32 s9, s9, 20
	s_cmp_lg_u32 s10, 0x7f00000
	s_cselect_b32 s10, s9, 0x7e
	s_mov_b32 s9, 0
	s_branch .LBB79_442
.LBB79_440:
	s_mov_b32 s9, -1
                                        ; implicit-def: $vgpr6
	s_branch .LBB79_445
.LBB79_441:
	s_mov_b32 s9, -1
                                        ; implicit-def: $sgpr10
.LBB79_442:
	v_mov_b32_e32 v6, s10
	s_and_not1_b32 vcc_lo, exec_lo, s9
	s_cbranch_vccnz .LBB79_444
; %bb.443:
	v_add_f32_e64 v6, 0x46800000, |v5|
.LBB79_444:
	s_mov_b32 s9, 0
.LBB79_445:
	s_delay_alu instid0(SALU_CYCLE_1)
	s_and_not1_b32 vcc_lo, exec_lo, s9
	s_cbranch_vccnz .LBB79_447
; %bb.446:
	s_cmp_gt_u32 s8, 0x7f800000
	s_movk_i32 s8, 0x7f
	s_delay_alu instid0(SALU_CYCLE_1) | instskip(NEXT) | instid1(SALU_CYCLE_1)
	s_cselect_b32 s8, s8, 0x7e
	v_mov_b32_e32 v6, s8
.LBB79_447:
	s_lshr_b32 s5, s5, 24
	s_delay_alu instid0(SALU_CYCLE_1)
	s_and_b32 s5, s5, 0x80
	s_delay_alu instid0(VALU_DEP_1) | instid1(SALU_CYCLE_1)
	v_or_b32_e32 v5, s5, v6
	global_store_b8 v[3:4], v5, off
.LBB79_448:
	s_mov_b32 s5, 0
.LBB79_449:
	s_delay_alu instid0(SALU_CYCLE_1)
	s_and_not1_b32 vcc_lo, exec_lo, s5
	s_cbranch_vccnz .LBB79_461
; %bb.450:
	v_cvt_f32_f16_e32 v5, s2
	s_delay_alu instid0(VALU_DEP_1) | instskip(NEXT) | instid1(VALU_DEP_1)
	v_readfirstlane_b32 s5, v5
	s_and_b32 s8, s5, 0x7fffffff
	s_delay_alu instid0(SALU_CYCLE_1)
	s_cmp_lt_u32 s8, 0x47800000
	s_cbranch_scc0 .LBB79_453
; %bb.451:
	s_cmp_gt_u32 s8, 0x387fffff
	s_cbranch_scc0 .LBB79_454
; %bb.452:
	s_bfe_u32 s9, s5, 0x10015
	s_delay_alu instid0(SALU_CYCLE_1) | instskip(NEXT) | instid1(SALU_CYCLE_1)
	s_add_i32 s9, s5, s9
	s_add_i32 s9, s9, 0x80fffff
	s_delay_alu instid0(SALU_CYCLE_1)
	s_lshr_b32 s10, s9, 21
	s_mov_b32 s9, 0
	s_branch .LBB79_455
.LBB79_453:
	s_mov_b32 s9, -1
                                        ; implicit-def: $vgpr6
	s_branch .LBB79_458
.LBB79_454:
	s_mov_b32 s9, -1
                                        ; implicit-def: $sgpr10
.LBB79_455:
	v_mov_b32_e32 v6, s10
	s_and_not1_b32 vcc_lo, exec_lo, s9
	s_cbranch_vccnz .LBB79_457
; %bb.456:
	v_add_f32_e64 v6, 0x43000000, |v5|
.LBB79_457:
	s_mov_b32 s9, 0
.LBB79_458:
	s_delay_alu instid0(SALU_CYCLE_1)
	s_and_not1_b32 vcc_lo, exec_lo, s9
	s_cbranch_vccnz .LBB79_460
; %bb.459:
	s_cmp_gt_u32 s8, 0x7f800000
	s_movk_i32 s8, 0x7f
	s_delay_alu instid0(SALU_CYCLE_1) | instskip(NEXT) | instid1(SALU_CYCLE_1)
	s_cselect_b32 s8, s8, 0x7c
	v_mov_b32_e32 v6, s8
.LBB79_460:
	s_lshr_b32 s5, s5, 24
	s_delay_alu instid0(SALU_CYCLE_1)
	s_and_b32 s5, s5, 0x80
	s_delay_alu instid0(VALU_DEP_1) | instid1(SALU_CYCLE_1)
	v_or_b32_e32 v5, s5, v6
	global_store_b8 v[3:4], v5, off
.LBB79_461:
	s_mov_b32 s5, 0
	s_mov_b32 s8, -1
.LBB79_462:
	s_and_not1_b32 vcc_lo, exec_lo, s5
	s_mov_b32 s5, 0
	s_cbranch_vccnz .LBB79_469
; %bb.463:
	v_cmp_gt_i16_e64 s5, s4, 14
	s_delay_alu instid0(VALU_DEP_1)
	s_and_b32 vcc_lo, exec_lo, s5
	s_mov_b32 s5, -1
	s_cbranch_vccz .LBB79_467
; %bb.464:
	v_cmp_eq_u16_e64 s3, s4, 15
	s_delay_alu instid0(VALU_DEP_1)
	s_and_b32 vcc_lo, exec_lo, s3
	s_mov_b32 s3, -1
	s_cbranch_vccz .LBB79_466
; %bb.465:
	v_cvt_f32_f16_e32 v5, s2
	v_cmp_o_f16_e64 vcc_lo, s2, s2
	s_mov_b32 s3, 0
	s_mov_b32 s8, -1
	s_delay_alu instid0(VALU_DEP_2) | instskip(NEXT) | instid1(VALU_DEP_1)
	v_bfe_u32 v6, v5, 16, 1
	v_add_nc_u32_e32 v5, v5, v6
	s_delay_alu instid0(VALU_DEP_1) | instskip(NEXT) | instid1(VALU_DEP_1)
	v_add_nc_u32_e32 v5, 0x7fff, v5
	v_lshrrev_b32_e32 v5, 16, v5
	s_delay_alu instid0(VALU_DEP_1)
	v_cndmask_b32_e32 v5, 0x7fc0, v5, vcc_lo
	global_store_b16 v[3:4], v5, off
.LBB79_466:
	s_mov_b32 s5, 0
.LBB79_467:
	s_delay_alu instid0(SALU_CYCLE_1)
	s_and_b32 vcc_lo, exec_lo, s5
	s_mov_b32 s5, 0
	s_cbranch_vccz .LBB79_469
; %bb.468:
	v_cmp_ne_u16_e64 s3, s4, 11
	s_mov_b32 s5, -1
.LBB79_469:
	s_delay_alu instid0(VALU_DEP_1)
	s_and_b32 vcc_lo, exec_lo, s3
	s_mov_b32 s3, s6
	s_cbranch_vccnz .LBB79_522
; %bb.470:
	s_and_not1_b32 vcc_lo, exec_lo, s5
	s_cbranch_vccnz .LBB79_472
.LBB79_471:
	s_and_b32 s5, s2, 0x7fff7fff
	s_mov_b32 s8, -1
	s_cmp_lg_u32 s5, 0
	s_cselect_b32 s5, -1, 0
	s_delay_alu instid0(SALU_CYCLE_1)
	v_cndmask_b32_e64 v5, 0, 1, s5
	global_store_b8 v[3:4], v5, off
.LBB79_472:
	s_mov_b32 s5, 0
.LBB79_473:
	s_delay_alu instid0(SALU_CYCLE_1)
	s_and_b32 vcc_lo, exec_lo, s5
	s_cbranch_vccz .LBB79_512
; %bb.474:
	v_cmp_lt_i16_e64 s5, s4, 5
	s_delay_alu instid0(VALU_DEP_1)
	s_and_b32 vcc_lo, exec_lo, s5
	s_mov_b32 s5, -1
	s_cbranch_vccnz .LBB79_495
; %bb.475:
	v_cmp_lt_i16_e64 s5, s4, 8
	s_delay_alu instid0(VALU_DEP_1)
	s_and_b32 vcc_lo, exec_lo, s5
	s_mov_b32 s5, -1
	s_cbranch_vccnz .LBB79_485
	;; [unrolled: 6-line block ×3, first 2 shown]
; %bb.477:
	v_cmp_gt_i16_e64 s5, s4, 9
	s_delay_alu instid0(VALU_DEP_1)
	s_and_b32 vcc_lo, exec_lo, s5
	s_mov_b32 s5, -1
	s_cbranch_vccz .LBB79_479
; %bb.478:
	s_lshr_b32 s5, s2, 16
	v_cvt_f32_f16_e32 v5, s2
	v_cvt_f32_f16_e32 v7, s5
	s_mov_b32 s5, 0
	s_delay_alu instid0(VALU_DEP_2) | instskip(NEXT) | instid1(VALU_DEP_2)
	v_cvt_f64_f32_e32 v[5:6], v5
	v_cvt_f64_f32_e32 v[7:8], v7
	global_store_b128 v[3:4], v[5:8], off
.LBB79_479:
	s_and_not1_b32 vcc_lo, exec_lo, s5
	s_cbranch_vccnz .LBB79_481
; %bb.480:
	s_lshr_b32 s5, s2, 16
	v_cvt_f32_f16_e32 v5, s2
	v_cvt_f32_f16_e32 v6, s5
	global_store_b64 v[3:4], v[5:6], off
.LBB79_481:
	s_mov_b32 s5, 0
.LBB79_482:
	s_delay_alu instid0(SALU_CYCLE_1)
	s_and_not1_b32 vcc_lo, exec_lo, s5
	s_cbranch_vccnz .LBB79_484
; %bb.483:
	v_mov_b32_e32 v5, s2
	global_store_b32 v[3:4], v5, off
.LBB79_484:
	s_mov_b32 s5, 0
.LBB79_485:
	s_delay_alu instid0(SALU_CYCLE_1)
	s_and_not1_b32 vcc_lo, exec_lo, s5
	s_cbranch_vccnz .LBB79_494
; %bb.486:
	v_cmp_lt_i16_e64 s5, s4, 6
	s_delay_alu instid0(VALU_DEP_1)
	s_and_b32 vcc_lo, exec_lo, s5
	s_mov_b32 s5, -1
	s_cbranch_vccnz .LBB79_492
; %bb.487:
	v_cmp_gt_i16_e64 s5, s4, 6
	s_delay_alu instid0(VALU_DEP_1)
	s_and_b32 vcc_lo, exec_lo, s5
	s_mov_b32 s5, -1
	s_cbranch_vccz .LBB79_489
; %bb.488:
	v_cvt_f32_f16_e32 v5, s2
	s_mov_b32 s5, 0
	s_delay_alu instid0(VALU_DEP_1)
	v_cvt_f64_f32_e32 v[5:6], v5
	global_store_b64 v[3:4], v[5:6], off
.LBB79_489:
	s_and_not1_b32 vcc_lo, exec_lo, s5
	s_cbranch_vccnz .LBB79_491
; %bb.490:
	v_cvt_f32_f16_e32 v5, s2
	global_store_b32 v[3:4], v5, off
.LBB79_491:
	s_mov_b32 s5, 0
.LBB79_492:
	s_delay_alu instid0(SALU_CYCLE_1)
	s_and_not1_b32 vcc_lo, exec_lo, s5
	s_cbranch_vccnz .LBB79_494
; %bb.493:
	v_mov_b32_e32 v5, s2
	global_store_b16 v[3:4], v5, off
.LBB79_494:
	s_mov_b32 s5, 0
.LBB79_495:
	s_delay_alu instid0(SALU_CYCLE_1)
	s_and_not1_b32 vcc_lo, exec_lo, s5
	s_cbranch_vccnz .LBB79_511
; %bb.496:
	v_cmp_lt_i16_e64 s5, s4, 2
	s_delay_alu instid0(VALU_DEP_1)
	s_and_b32 vcc_lo, exec_lo, s5
	s_mov_b32 s5, -1
	s_cbranch_vccnz .LBB79_506
; %bb.497:
	v_cmp_lt_i16_e64 s5, s4, 3
	s_delay_alu instid0(VALU_DEP_1)
	s_and_b32 vcc_lo, exec_lo, s5
	s_mov_b32 s5, -1
	s_cbranch_vccnz .LBB79_503
; %bb.498:
	v_cmp_gt_i16_e64 s5, s4, 3
	s_delay_alu instid0(VALU_DEP_1)
	s_and_b32 vcc_lo, exec_lo, s5
	s_mov_b32 s5, -1
	s_cbranch_vccz .LBB79_500
; %bb.499:
	v_cvt_f32_f16_e32 v5, s2
	s_mov_b32 s5, 0
	s_delay_alu instid0(VALU_DEP_1) | instskip(NEXT) | instid1(VALU_DEP_1)
	v_cvt_i32_f32_e32 v5, v5
	v_ashrrev_i32_e32 v6, 31, v5
	global_store_b64 v[3:4], v[5:6], off
.LBB79_500:
	s_and_not1_b32 vcc_lo, exec_lo, s5
	s_cbranch_vccnz .LBB79_502
; %bb.501:
	v_cvt_f32_f16_e32 v5, s2
	s_delay_alu instid0(VALU_DEP_1)
	v_cvt_i32_f32_e32 v5, v5
	global_store_b32 v[3:4], v5, off
.LBB79_502:
	s_mov_b32 s5, 0
.LBB79_503:
	s_delay_alu instid0(SALU_CYCLE_1)
	s_and_not1_b32 vcc_lo, exec_lo, s5
	s_cbranch_vccnz .LBB79_505
; %bb.504:
	v_cvt_i16_f16_e32 v5, s2
	global_store_b16 v[3:4], v5, off
.LBB79_505:
	s_mov_b32 s5, 0
.LBB79_506:
	s_delay_alu instid0(SALU_CYCLE_1)
	s_and_not1_b32 vcc_lo, exec_lo, s5
	s_cbranch_vccnz .LBB79_511
; %bb.507:
	v_cmp_gt_i16_e64 s5, s4, 0
	s_delay_alu instid0(VALU_DEP_1)
	s_and_b32 vcc_lo, exec_lo, s5
	s_mov_b32 s5, -1
	s_cbranch_vccz .LBB79_509
; %bb.508:
	v_cvt_i16_f16_e32 v5, s2
	s_mov_b32 s5, 0
	global_store_b8 v[3:4], v5, off
.LBB79_509:
	s_and_not1_b32 vcc_lo, exec_lo, s5
	s_cbranch_vccnz .LBB79_511
; %bb.510:
	v_cvt_f32_f16_e32 v5, s2
	s_delay_alu instid0(VALU_DEP_1)
	v_cvt_i32_f32_e32 v5, v5
	global_store_b8 v[3:4], v5, off
.LBB79_511:
	s_mov_b32 s8, -1
.LBB79_512:
	s_delay_alu instid0(SALU_CYCLE_1)
	s_and_not1_b32 vcc_lo, exec_lo, s8
	s_cbranch_vccnz .LBB79_910
; %bb.513:
	v_cmp_lt_i16_e64 s5, s4, 11
	v_add_co_u32 v2, s8, s0, v2
	s_delay_alu instid0(VALU_DEP_1) | instskip(SKIP_1) | instid1(VALU_DEP_3)
	v_add_co_ci_u32_e64 v3, null, s1, 0, s8
	s_mov_b32 s9, 0
	s_and_b32 vcc_lo, exec_lo, s5
	s_mov_b32 s5, -1
	s_cbranch_vccnz .LBB79_729
; %bb.514:
	v_cmp_gt_i16_e64 s5, s4, 25
	s_mov_b32 s10, -1
	s_mov_b32 s8, 0
	s_delay_alu instid0(VALU_DEP_1)
	s_and_b32 vcc_lo, exec_lo, s5
	s_mov_b32 s5, 0
	s_cbranch_vccz .LBB79_556
; %bb.515:
	v_cmp_gt_i16_e64 s5, s4, 28
	s_delay_alu instid0(VALU_DEP_1)
	s_and_b32 vcc_lo, exec_lo, s5
	s_cbranch_vccz .LBB79_520
; %bb.516:
	v_cmp_gt_i16_e64 s5, s4, 43
	s_delay_alu instid0(VALU_DEP_1)
	s_and_b32 vcc_lo, exec_lo, s5
	;; [unrolled: 5-line block ×3, first 2 shown]
	s_cbranch_vccz .LBB79_524
; %bb.518:
	v_cmp_eq_u16_e64 s9, s4, 46
	s_mov_b32 s5, -1
	s_mov_b32 s10, 0
	s_delay_alu instid0(VALU_DEP_1)
	s_and_b32 vcc_lo, exec_lo, s9
	s_mov_b32 s9, 0
	s_cbranch_vccz .LBB79_525
; %bb.519:
	v_cvt_f32_f16_e32 v5, s2
	s_lshr_b32 s5, s2, 16
	s_mov_b32 s9, -1
	v_cvt_f32_f16_e32 v4, s5
	v_cmp_o_f16_e64 vcc_lo, s5, s5
	v_bfe_u32 v7, v5, 16, 1
	s_mov_b32 s5, 0
	s_delay_alu instid0(VALU_DEP_3) | instskip(NEXT) | instid1(VALU_DEP_2)
	v_bfe_u32 v6, v4, 16, 1
	v_add_nc_u32_e32 v5, v5, v7
	s_delay_alu instid0(VALU_DEP_1) | instskip(NEXT) | instid1(VALU_DEP_1)
	v_add_nc_u32_e32 v5, 0x7fff, v5
	v_lshrrev_b32_e32 v5, 16, v5
	s_delay_alu instid0(VALU_DEP_4) | instskip(NEXT) | instid1(VALU_DEP_1)
	v_add_nc_u32_e32 v4, v4, v6
	v_add_nc_u32_e32 v4, 0x7fff, v4
	s_delay_alu instid0(VALU_DEP_1) | instskip(NEXT) | instid1(VALU_DEP_1)
	v_and_b32_e32 v4, 0xffff0000, v4
	v_cndmask_b32_e32 v4, 0x7fc00000, v4, vcc_lo
	v_cmp_o_f16_e64 vcc_lo, s2, s2
	v_cndmask_b32_e32 v5, 0x7fc0, v5, vcc_lo
	s_delay_alu instid0(VALU_DEP_1)
	v_or_b32_e32 v4, v4, v5
	global_store_b32 v[2:3], v4, off
	s_branch .LBB79_525
.LBB79_520:
	s_mov_b32 s5, 0
	s_branch .LBB79_535
.LBB79_521:
	s_mov_b32 s5, 0
	s_branch .LBB79_531
.LBB79_522:
	s_cbranch_execnz .LBB79_546
; %bb.523:
	s_or_b32 s3, s6, exec_lo
	s_cbranch_execz .LBB79_471
	s_branch .LBB79_472
.LBB79_524:
	s_mov_b32 s5, 0
.LBB79_525:
	s_and_b32 vcc_lo, exec_lo, s10
	s_cbranch_vccz .LBB79_530
; %bb.526:
	v_cmp_eq_u16_e64 s5, s4, 44
	s_delay_alu instid0(VALU_DEP_1)
	s_and_b32 vcc_lo, exec_lo, s5
	s_mov_b32 s5, -1
	s_cbranch_vccz .LBB79_530
; %bb.527:
	v_cvt_f32_f16_e32 v4, s2
	v_mov_b32_e32 v5, 0xff
	s_delay_alu instid0(VALU_DEP_2) | instskip(NEXT) | instid1(VALU_DEP_1)
	v_readfirstlane_b32 s5, v4
	s_bfe_u32 s9, s5, 0x80017
	s_delay_alu instid0(SALU_CYCLE_1)
	s_cmpk_eq_i32 s9, 0xff
	s_cbranch_scc1 .LBB79_529
; %bb.528:
	s_bitcmp1_b32 s5, 22
	v_lshrrev_b32_e32 v4, 23, v4
	s_cselect_b32 s10, -1, 0
	s_and_b32 s5, s5, 0x3fffff
	s_delay_alu instid0(SALU_CYCLE_1) | instskip(NEXT) | instid1(SALU_CYCLE_1)
	s_or_b32 s5, s9, s5
	s_cmp_lg_u32 s5, 0
	s_cselect_b32 s5, -1, 0
	s_delay_alu instid0(SALU_CYCLE_1) | instskip(NEXT) | instid1(SALU_CYCLE_1)
	s_and_b32 s5, s10, s5
	v_cndmask_b32_e64 v5, 0, 1, s5
	s_delay_alu instid0(VALU_DEP_1)
	v_add_nc_u32_e32 v5, v4, v5
.LBB79_529:
	s_mov_b32 s5, 0
	s_mov_b32 s9, -1
	global_store_b8 v[2:3], v5, off
.LBB79_530:
	s_mov_b32 s10, 0
.LBB79_531:
	s_delay_alu instid0(SALU_CYCLE_1)
	s_and_b32 vcc_lo, exec_lo, s10
	s_cbranch_vccz .LBB79_534
; %bb.532:
	v_cmp_eq_u16_e64 s5, s4, 29
	s_delay_alu instid0(VALU_DEP_1)
	s_and_b32 vcc_lo, exec_lo, s5
	s_mov_b32 s5, -1
	s_cbranch_vccz .LBB79_534
; %bb.533:
	v_cvt_f32_f16_e32 v4, s2
	v_mov_b32_e32 v5, 0
	s_mov_b32 s5, 0
	s_mov_b32 s9, -1
	s_mov_b32 s10, 0
	v_cvt_u32_f32_e32 v4, v4
	global_store_b64 v[2:3], v[4:5], off
	s_branch .LBB79_535
.LBB79_534:
	s_mov_b32 s10, 0
.LBB79_535:
	s_delay_alu instid0(SALU_CYCLE_1)
	s_and_b32 vcc_lo, exec_lo, s10
	s_cbranch_vccz .LBB79_555
; %bb.536:
	v_cmp_lt_i16_e64 s9, s4, 27
	s_delay_alu instid0(VALU_DEP_1)
	s_and_b32 vcc_lo, exec_lo, s9
	s_mov_b32 s9, -1
	s_cbranch_vccnz .LBB79_542
; %bb.537:
	v_cmp_gt_i16_e64 s9, s4, 27
	s_delay_alu instid0(VALU_DEP_1)
	s_and_b32 vcc_lo, exec_lo, s9
	s_mov_b32 s9, -1
	s_cbranch_vccz .LBB79_539
; %bb.538:
	v_cvt_f32_f16_e32 v4, s2
	s_mov_b32 s9, 0
	s_delay_alu instid0(VALU_DEP_1)
	v_cvt_u32_f32_e32 v4, v4
	global_store_b32 v[2:3], v4, off
.LBB79_539:
	s_and_not1_b32 vcc_lo, exec_lo, s9
	s_cbranch_vccnz .LBB79_541
; %bb.540:
	v_cvt_u16_f16_e32 v4, s2
	global_store_b16 v[2:3], v4, off
.LBB79_541:
	s_mov_b32 s9, 0
.LBB79_542:
	s_delay_alu instid0(SALU_CYCLE_1)
	s_and_not1_b32 vcc_lo, exec_lo, s9
	s_cbranch_vccnz .LBB79_554
; %bb.543:
	v_cvt_f32_f16_e32 v4, s2
	v_mov_b32_e32 v5, 0x80
	s_delay_alu instid0(VALU_DEP_2) | instskip(NEXT) | instid1(VALU_DEP_1)
	v_readfirstlane_b32 s9, v4
	s_and_b32 s10, s9, 0x7fffffff
	s_delay_alu instid0(SALU_CYCLE_1)
	s_cmp_gt_u32 s10, 0x437fffff
	s_cbranch_scc1 .LBB79_553
; %bb.544:
	s_cmp_gt_u32 s10, 0x3bffffff
	s_cbranch_scc0 .LBB79_548
; %bb.545:
	s_bfe_u32 s10, s9, 0x10014
	s_mov_b32 s11, 0
	s_add_i32 s10, s9, s10
	s_delay_alu instid0(SALU_CYCLE_1) | instskip(NEXT) | instid1(SALU_CYCLE_1)
	s_add_i32 s10, s10, 0x487ffff
	s_lshr_b32 s12, s10, 20
	s_mov_b32 s10, -1
	s_branch .LBB79_549
.LBB79_546:
	s_trap 2
	s_sendmsg_rtn_b32 s0, sendmsg(MSG_RTN_GET_DOORBELL)
	s_mov_b32 ttmp2, m0
	s_waitcnt lgkmcnt(0)
	s_and_b32 s0, s0, 0x3ff
	s_delay_alu instid0(SALU_CYCLE_1) | instskip(NEXT) | instid1(SALU_CYCLE_1)
	s_bitset1_b32 s0, 10
	s_mov_b32 m0, s0
	s_sendmsg sendmsg(MSG_INTERRUPT)
	s_mov_b32 m0, ttmp2
.LBB79_547:                             ; =>This Inner Loop Header: Depth=1
	s_sethalt 5
	s_branch .LBB79_547
.LBB79_548:
	s_mov_b32 s11, -1
	s_mov_b32 s10, 0
                                        ; implicit-def: $sgpr12
.LBB79_549:
	v_mov_b32_e32 v4, s12
	s_and_not1_b32 vcc_lo, exec_lo, s11
                                        ; implicit-def: $sgpr11
	s_cbranch_vccnz .LBB79_551
; %bb.550:
	v_add_f32_e64 v4, 0x46000000, |s9|
	s_mov_b32 s11, 0
	s_delay_alu instid0(VALU_DEP_1) | instskip(NEXT) | instid1(VALU_DEP_1)
	v_and_b32_e32 v4, 0xff, v4
	v_cmp_ne_u32_e64 s10, 0, v4
.LBB79_551:
	v_mov_b32_e32 v5, s11
	s_delay_alu instid0(VALU_DEP_2)
	s_and_not1_b32 vcc_lo, exec_lo, s10
	s_cbranch_vccnz .LBB79_553
; %bb.552:
	s_lshr_b32 s9, s9, 24
	s_delay_alu instid0(SALU_CYCLE_1) | instskip(NEXT) | instid1(SALU_CYCLE_1)
	s_and_b32 s9, s9, 0x80
	v_or_b32_e32 v5, s9, v4
.LBB79_553:
	global_store_b8 v[2:3], v5, off
.LBB79_554:
	s_mov_b32 s9, -1
.LBB79_555:
	s_mov_b32 s10, 0
.LBB79_556:
	s_delay_alu instid0(SALU_CYCLE_1)
	s_and_b32 vcc_lo, exec_lo, s10
	s_cbranch_vccz .LBB79_725
; %bb.557:
	v_cmp_gt_i16_e64 s8, s4, 22
	s_delay_alu instid0(VALU_DEP_1)
	s_and_b32 vcc_lo, exec_lo, s8
	s_mov_b32 s8, -1
	s_cbranch_vccz .LBB79_718
; %bb.558:
	v_cmp_lt_i16_e64 s8, s4, 24
	s_delay_alu instid0(VALU_DEP_1)
	s_and_b32 vcc_lo, exec_lo, s8
	s_mov_b32 s8, -1
	s_cbranch_vccnz .LBB79_705
; %bb.559:
	v_cmp_gt_i16_e64 s8, s4, 24
	s_delay_alu instid0(VALU_DEP_1)
	s_and_b32 vcc_lo, exec_lo, s8
	s_mov_b32 s8, -1
	s_cbranch_vccz .LBB79_692
; %bb.560:
	v_cvt_f32_f16_e32 v4, s2
	v_mov_b32_e32 v5, 0x80
	s_delay_alu instid0(VALU_DEP_2) | instskip(NEXT) | instid1(VALU_DEP_1)
	v_readfirstlane_b32 s8, v4
	s_and_b32 s9, s8, 0x7fffffff
	s_delay_alu instid0(SALU_CYCLE_1)
	s_cmp_gt_u32 s9, 0x477fffff
	s_cbranch_scc1 .LBB79_691
; %bb.561:
	s_cmp_gt_u32 s9, 0x37ffffff
	s_cbranch_scc0 .LBB79_686
; %bb.562:
	s_bfe_u32 s9, s8, 0x10015
	s_mov_b32 s10, 0
	s_add_i32 s9, s8, s9
	s_delay_alu instid0(SALU_CYCLE_1) | instskip(NEXT) | instid1(SALU_CYCLE_1)
	s_add_i32 s9, s9, 0x88fffff
	s_lshr_b32 s11, s9, 21
	s_mov_b32 s9, -1
	s_branch .LBB79_687
.LBB79_563:
	s_mov_b32 s18, s51
.LBB79_564:
	s_and_b32 vcc_lo, exec_lo, s20
	s_cbranch_vccz .LBB79_567
; %bb.565:
	v_cmp_eq_u16_e32 vcc_lo, 44, v22
	s_mov_b32 s18, -1
	s_cbranch_vccz .LBB79_567
; %bb.566:
	v_cndmask_b32_e64 v23, v20, 0xff, s2
	s_mov_b32 s19, -1
	s_mov_b32 s18, 0
	global_store_b8 v[10:11], v23, off
.LBB79_567:
	s_mov_b32 s20, 0
.LBB79_568:
	s_delay_alu instid0(SALU_CYCLE_1)
	s_and_b32 vcc_lo, exec_lo, s20
	s_cbranch_vccz .LBB79_571
; %bb.569:
	v_cmp_eq_u16_e32 vcc_lo, 29, v22
	s_mov_b32 s18, -1
	s_cbranch_vccz .LBB79_571
; %bb.570:
	s_mov_b32 s19, -1
	s_mov_b32 s18, 0
	global_store_b64 v[10:11], v[8:9], off
.LBB79_571:
	s_mov_b32 s20, 0
.LBB79_572:
	s_delay_alu instid0(SALU_CYCLE_1)
	s_and_b32 vcc_lo, exec_lo, s20
	s_cbranch_vccz .LBB79_585
; %bb.573:
	v_cmp_gt_i16_e32 vcc_lo, 27, v22
	s_mov_b32 s19, -1
	s_cbranch_vccnz .LBB79_579
; %bb.574:
	v_cmp_lt_i16_e32 vcc_lo, 27, v22
	s_cbranch_vccz .LBB79_576
; %bb.575:
	s_mov_b32 s19, 0
	global_store_b32 v[10:11], v8, off
.LBB79_576:
	s_and_not1_b32 vcc_lo, exec_lo, s19
	s_cbranch_vccnz .LBB79_578
; %bb.577:
	global_store_b16 v[10:11], v19, off
.LBB79_578:
	s_mov_b32 s19, 0
.LBB79_579:
	s_delay_alu instid0(SALU_CYCLE_1)
	s_and_not1_b32 vcc_lo, exec_lo, s19
	s_cbranch_vccnz .LBB79_584
; %bb.580:
	v_mov_b32_e32 v23, 0x80
	s_and_not1_b32 vcc_lo, exec_lo, s43
	s_cbranch_vccnz .LBB79_583
; %bb.581:
	v_mov_b32_e32 v23, 0
	s_or_b32 s19, s40, s44
	s_delay_alu instid0(SALU_CYCLE_1)
	s_and_not1_b32 vcc_lo, exec_lo, s19
	s_cbranch_vccnz .LBB79_583
; %bb.582:
	v_cndmask_b32_e64 v23, v18, s41, s40
	s_delay_alu instid0(VALU_DEP_1)
	v_or_b32_e32 v23, v23, v17
.LBB79_583:
	global_store_b8 v[10:11], v23, off
.LBB79_584:
	s_mov_b32 s19, -1
.LBB79_585:
	s_mov_b32 s20, 0
.LBB79_586:
	s_delay_alu instid0(SALU_CYCLE_1)
	s_and_b32 vcc_lo, exec_lo, s20
	s_cbranch_vccz .LBB79_608
; %bb.587:
	v_cmp_lt_i16_e32 vcc_lo, 22, v22
	s_mov_b32 s20, -1
	s_cbranch_vccz .LBB79_600
; %bb.588:
	v_cmp_gt_i16_e32 vcc_lo, 24, v22
	s_mov_b32 s19, -1
	s_cbranch_vccnz .LBB79_597
; %bb.589:
	v_cmp_lt_i16_e32 vcc_lo, 24, v22
	s_cbranch_vccz .LBB79_594
; %bb.590:
	v_mov_b32_e32 v23, 0x80
	s_and_not1_b32 vcc_lo, exec_lo, s37
	s_cbranch_vccnz .LBB79_593
; %bb.591:
	v_mov_b32_e32 v23, 0
	s_or_b32 s19, s34, s38
	s_delay_alu instid0(SALU_CYCLE_1)
	s_and_not1_b32 vcc_lo, exec_lo, s19
	s_cbranch_vccnz .LBB79_593
; %bb.592:
	v_cndmask_b32_e64 v23, v16, s35, s34
	s_delay_alu instid0(VALU_DEP_1)
	v_or_b32_e32 v23, v23, v17
.LBB79_593:
	s_mov_b32 s19, 0
	global_store_b8 v[10:11], v23, off
.LBB79_594:
	s_and_b32 vcc_lo, exec_lo, s19
	s_cbranch_vccz .LBB79_596
; %bb.595:
	s_and_b32 s19, s31, exec_lo
	s_cselect_b32 s19, s42, s33
	s_and_b32 s20, s29, exec_lo
	s_cselect_b32 s19, s36, s19
	s_delay_alu instid0(SALU_CYCLE_1)
	v_or_b32_e32 v23, s19, v17
	global_store_b8 v[10:11], v23, off
.LBB79_596:
	s_mov_b32 s19, 0
.LBB79_597:
	s_delay_alu instid0(SALU_CYCLE_1)
	s_and_not1_b32 vcc_lo, exec_lo, s19
	s_cbranch_vccnz .LBB79_599
; %bb.598:
	s_and_b32 s19, s27, exec_lo
	s_cselect_b32 s19, s39, s28
	s_and_b32 s20, s26, exec_lo
	s_cselect_b32 s19, s30, s19
	s_delay_alu instid0(SALU_CYCLE_1)
	v_or_b32_e32 v23, s19, v17
	global_store_b8 v[10:11], v23, off
.LBB79_599:
	s_mov_b32 s20, 0
	s_mov_b32 s19, -1
.LBB79_600:
	s_and_not1_b32 vcc_lo, exec_lo, s20
	s_cbranch_vccnz .LBB79_608
; %bb.601:
	v_cmp_lt_i16_e32 vcc_lo, 14, v22
	s_mov_b32 s20, -1
	s_cbranch_vccz .LBB79_605
; %bb.602:
	v_cmp_eq_u16_e32 vcc_lo, 15, v22
	s_mov_b32 s18, -1
	s_cbranch_vccz .LBB79_604
; %bb.603:
	s_mov_b32 s19, -1
	s_mov_b32 s18, 0
	global_store_b16 v[10:11], v15, off
.LBB79_604:
	s_mov_b32 s20, 0
.LBB79_605:
	s_delay_alu instid0(SALU_CYCLE_1)
	s_and_b32 vcc_lo, exec_lo, s20
	s_cbranch_vccz .LBB79_608
; %bb.606:
	v_cmp_eq_u16_e32 vcc_lo, 11, v22
	s_mov_b32 s18, -1
	s_cbranch_vccz .LBB79_608
; %bb.607:
	s_mov_b32 s19, -1
	s_mov_b32 s18, 0
	global_store_b8 v[10:11], v14, off
.LBB79_608:
.LBB79_609:
	s_and_not1_b32 vcc_lo, exec_lo, s19
	s_cbranch_vccnz .LBB79_426
.LBB79_610:
	v_add_nc_u32_e32 v13, 0x80, v13
	s_mov_b32 s19, -1
.LBB79_611:
	s_and_not1_b32 s20, s51, exec_lo
	s_and_b32 s18, s18, exec_lo
	s_or_not1_b32 s54, s19, exec_lo
	s_or_b32 s20, s20, s18
.LBB79_612:
	s_or_b32 exec_lo, exec_lo, s53
	s_mov_b32 s18, 0
	s_mov_b32 s19, 0
                                        ; implicit-def: $vgpr22
                                        ; implicit-def: $vgpr10_vgpr11
	s_and_saveexec_b32 s21, s54
	s_cbranch_execz .LBB79_680
; %bb.613:
	v_cmp_gt_i32_e32 vcc_lo, s46, v13
	s_mov_b32 s53, s20
                                        ; implicit-def: $vgpr22
                                        ; implicit-def: $vgpr10_vgpr11
	s_and_saveexec_b32 s46, vcc_lo
	s_cbranch_execz .LBB79_679
; %bb.614:
	s_and_not1_b32 vcc_lo, exec_lo, s24
	s_cbranch_vccnz .LBB79_619
; %bb.615:
	v_mov_b32_e32 v10, 0
	s_and_not1_b32 vcc_lo, exec_lo, s48
	s_cbranch_vccnz .LBB79_624
; %bb.616:
	s_add_i32 s48, s47, 1
	s_cmp_eq_u32 s23, 2
	s_mov_b32 s47, 0
	s_cbranch_scc1 .LBB79_620
; %bb.617:
	v_dual_mov_b32 v10, 0 :: v_dual_mov_b32 v11, v13
	s_and_b32 s47, s48, 28
	s_mov_b32 s53, 0
	s_mov_b64 s[18:19], s[0:1]
.LBB79_618:                             ; =>This Inner Loop Header: Depth=1
	s_clause 0x1
	s_load_b256 s[56:63], s[18:19], 0x4
	s_load_b128 s[64:67], s[18:19], 0x24
	s_load_b128 s[68:71], s[16:17], 0x0
	s_add_u32 s18, s18, 48
	s_addc_u32 s19, s19, 0
	s_add_i32 s53, s53, 4
	s_add_u32 s16, s16, 16
	s_addc_u32 s17, s17, 0
	s_cmp_eq_u32 s47, s53
	s_waitcnt lgkmcnt(0)
	v_mul_hi_u32 v22, s57, v11
	s_delay_alu instid0(VALU_DEP_1) | instskip(NEXT) | instid1(VALU_DEP_1)
	v_add_nc_u32_e32 v22, v11, v22
	v_lshrrev_b32_e32 v22, s58, v22
	s_delay_alu instid0(VALU_DEP_1) | instskip(SKIP_1) | instid1(VALU_DEP_2)
	v_mul_hi_u32 v23, s60, v22
	v_mul_lo_u32 v26, v22, s56
	v_add_nc_u32_e32 v23, v22, v23
	s_delay_alu instid0(VALU_DEP_2) | instskip(NEXT) | instid1(VALU_DEP_2)
	v_sub_nc_u32_e32 v26, v11, v26
	v_lshrrev_b32_e32 v23, s61, v23
	s_delay_alu instid0(VALU_DEP_2) | instskip(NEXT) | instid1(VALU_DEP_2)
	v_mul_lo_u32 v26, v26, s68
	v_mul_hi_u32 v24, s63, v23
	v_mul_lo_u32 v27, v23, s59
	s_delay_alu instid0(VALU_DEP_2) | instskip(NEXT) | instid1(VALU_DEP_2)
	v_add_nc_u32_e32 v24, v23, v24
	v_sub_nc_u32_e32 v22, v22, v27
	s_delay_alu instid0(VALU_DEP_2) | instskip(NEXT) | instid1(VALU_DEP_2)
	v_lshrrev_b32_e32 v24, s64, v24
	v_mul_lo_u32 v22, v22, s69
	s_delay_alu instid0(VALU_DEP_2) | instskip(NEXT) | instid1(VALU_DEP_2)
	v_mul_hi_u32 v25, s66, v24
	v_add3_u32 v10, v26, v10, v22
	s_delay_alu instid0(VALU_DEP_2) | instskip(NEXT) | instid1(VALU_DEP_1)
	v_add_nc_u32_e32 v25, v24, v25
	v_lshrrev_b32_e32 v11, s67, v25
	v_mul_lo_u32 v25, v24, s62
	s_delay_alu instid0(VALU_DEP_2) | instskip(NEXT) | instid1(VALU_DEP_2)
	v_mul_lo_u32 v28, v11, s65
	v_sub_nc_u32_e32 v23, v23, v25
	s_delay_alu instid0(VALU_DEP_2) | instskip(NEXT) | instid1(VALU_DEP_2)
	v_sub_nc_u32_e32 v24, v24, v28
	v_mul_lo_u32 v23, v23, s70
	s_delay_alu instid0(VALU_DEP_2) | instskip(NEXT) | instid1(VALU_DEP_1)
	v_mul_lo_u32 v24, v24, s71
	v_add3_u32 v10, v23, v10, v24
	s_cbranch_scc0 .LBB79_618
	s_branch .LBB79_621
.LBB79_619:
	s_mov_b32 s16, -1
                                        ; implicit-def: $vgpr10
	s_branch .LBB79_625
.LBB79_620:
	v_mov_b32_e32 v11, v13
.LBB79_621:
	s_and_b32 s48, s48, 3
	s_delay_alu instid0(SALU_CYCLE_1)
	s_cmp_eq_u32 s48, 0
	s_cbranch_scc1 .LBB79_624
; %bb.622:
	s_lshl_b32 s16, s47, 2
	s_mul_i32 s18, s47, 12
	s_add_u32 s16, s16, s0
	s_addc_u32 s17, s1, 0
	s_add_u32 s16, s16, 0xc4
	s_addc_u32 s17, s17, 0
	;; [unrolled: 2-line block ×3, first 2 shown]
.LBB79_623:                             ; =>This Inner Loop Header: Depth=1
	s_clause 0x1
	s_load_b64 s[54:55], s[18:19], 0x4
	s_load_b32 s47, s[18:19], 0xc
	s_load_b32 s53, s[16:17], 0x0
	s_add_u32 s18, s18, 12
	s_addc_u32 s19, s19, 0
	s_add_u32 s16, s16, 4
	s_addc_u32 s17, s17, 0
	s_add_i32 s48, s48, -1
	s_delay_alu instid0(SALU_CYCLE_1) | instskip(SKIP_2) | instid1(VALU_DEP_1)
	s_cmp_lg_u32 s48, 0
	s_waitcnt lgkmcnt(0)
	v_mul_hi_u32 v22, s55, v11
	v_add_nc_u32_e32 v22, v11, v22
	s_delay_alu instid0(VALU_DEP_1) | instskip(NEXT) | instid1(VALU_DEP_1)
	v_lshrrev_b32_e32 v24, s47, v22
	v_mul_lo_u32 v22, v24, s54
	s_delay_alu instid0(VALU_DEP_1) | instskip(NEXT) | instid1(VALU_DEP_1)
	v_sub_nc_u32_e32 v11, v11, v22
	v_mad_u64_u32 v[22:23], null, v11, s53, v[10:11]
	s_delay_alu instid0(VALU_DEP_1)
	v_dual_mov_b32 v11, v24 :: v_dual_mov_b32 v10, v22
	s_cbranch_scc1 .LBB79_623
.LBB79_624:
	s_mov_b32 s16, 0
.LBB79_625:
	s_delay_alu instid0(SALU_CYCLE_1)
	s_and_not1_b32 vcc_lo, exec_lo, s16
	s_cbranch_vccnz .LBB79_628
; %bb.626:
	s_waitcnt lgkmcnt(0)
	v_mul_hi_u32 v10, s9, v13
	s_and_not1_b32 vcc_lo, exec_lo, s45
	s_delay_alu instid0(VALU_DEP_1) | instskip(NEXT) | instid1(VALU_DEP_1)
	v_add_nc_u32_e32 v10, v13, v10
	v_lshrrev_b32_e32 v11, s10, v10
	s_delay_alu instid0(VALU_DEP_1) | instskip(NEXT) | instid1(VALU_DEP_1)
	v_mul_lo_u32 v10, v11, s8
	v_sub_nc_u32_e32 v10, v13, v10
	s_delay_alu instid0(VALU_DEP_1)
	v_mul_lo_u32 v10, v10, s12
	s_cbranch_vccnz .LBB79_628
; %bb.627:
	v_mul_hi_u32 v13, s14, v11
	s_delay_alu instid0(VALU_DEP_1) | instskip(NEXT) | instid1(VALU_DEP_1)
	v_add_nc_u32_e32 v13, v11, v13
	v_lshrrev_b32_e32 v13, s15, v13
	s_delay_alu instid0(VALU_DEP_1) | instskip(NEXT) | instid1(VALU_DEP_1)
	v_mul_lo_u32 v13, v13, s11
	v_sub_nc_u32_e32 v11, v11, v13
	s_delay_alu instid0(VALU_DEP_1) | instskip(NEXT) | instid1(VALU_DEP_1)
	v_mad_u64_u32 v[22:23], null, v11, s13, v[10:11]
	v_mov_b32_e32 v10, v22
.LBB79_628:
	v_and_b32_e64 v22, 0xff, s7
	s_delay_alu instid0(VALU_DEP_2) | instskip(NEXT) | instid1(VALU_DEP_1)
	v_add_co_u32 v10, s4, s4, v10
	v_add_co_ci_u32_e64 v11, null, s5, 0, s4
	s_delay_alu instid0(VALU_DEP_3)
	v_cmp_gt_i16_e32 vcc_lo, 11, v22
	s_mov_b32 s7, 0
	s_mov_b32 s5, -1
	s_mov_b32 s4, s20
	s_cbranch_vccnz .LBB79_678
; %bb.629:
	v_cmp_lt_i16_e32 vcc_lo, 25, v22
	s_mov_b32 s4, s20
	s_cbranch_vccz .LBB79_657
; %bb.630:
	v_cmp_lt_i16_e32 vcc_lo, 28, v22
	s_mov_b32 s4, s20
	s_cbranch_vccz .LBB79_644
	;; [unrolled: 4-line block ×4, first 2 shown]
; %bb.633:
	v_cmp_eq_u16_e32 vcc_lo, 46, v22
	s_mov_b32 s4, -1
	s_cbranch_vccz .LBB79_635
; %bb.634:
	s_mov_b32 s4, 0
	global_store_b32 v[10:11], v21, off
.LBB79_635:
	s_mov_b32 s5, 0
.LBB79_636:
	s_delay_alu instid0(SALU_CYCLE_1)
	s_and_b32 vcc_lo, exec_lo, s5
	s_cbranch_vccz .LBB79_639
; %bb.637:
	v_cmp_eq_u16_e32 vcc_lo, 44, v22
	s_mov_b32 s4, -1
	s_cbranch_vccz .LBB79_639
; %bb.638:
	v_cndmask_b32_e64 v13, v20, 0xff, s2
	s_mov_b32 s4, 0
	global_store_b8 v[10:11], v13, off
.LBB79_639:
	s_mov_b32 s5, 0
.LBB79_640:
	s_delay_alu instid0(SALU_CYCLE_1)
	s_and_b32 vcc_lo, exec_lo, s5
	s_cbranch_vccz .LBB79_643
; %bb.641:
	v_cmp_eq_u16_e32 vcc_lo, 29, v22
	s_mov_b32 s4, -1
	s_cbranch_vccz .LBB79_643
; %bb.642:
	s_mov_b32 s4, 0
	global_store_b64 v[10:11], v[8:9], off
.LBB79_643:
	s_mov_b32 s5, 0
.LBB79_644:
	s_delay_alu instid0(SALU_CYCLE_1)
	s_and_b32 vcc_lo, exec_lo, s5
	s_cbranch_vccz .LBB79_656
; %bb.645:
	v_cmp_gt_i16_e32 vcc_lo, 27, v22
	s_mov_b32 s2, -1
	s_cbranch_vccnz .LBB79_651
; %bb.646:
	v_cmp_lt_i16_e32 vcc_lo, 27, v22
	s_cbranch_vccz .LBB79_648
; %bb.647:
	s_mov_b32 s2, 0
	global_store_b32 v[10:11], v8, off
.LBB79_648:
	s_and_not1_b32 vcc_lo, exec_lo, s2
	s_cbranch_vccnz .LBB79_650
; %bb.649:
	global_store_b16 v[10:11], v19, off
.LBB79_650:
	s_mov_b32 s2, 0
.LBB79_651:
	s_delay_alu instid0(SALU_CYCLE_1)
	s_and_not1_b32 vcc_lo, exec_lo, s2
	s_cbranch_vccnz .LBB79_656
; %bb.652:
	v_mov_b32_e32 v8, 0x80
	s_and_not1_b32 vcc_lo, exec_lo, s43
	s_cbranch_vccnz .LBB79_655
; %bb.653:
	v_mov_b32_e32 v8, 0
	s_or_b32 s2, s40, s44
	s_delay_alu instid0(SALU_CYCLE_1)
	s_and_not1_b32 vcc_lo, exec_lo, s2
	s_cbranch_vccnz .LBB79_655
; %bb.654:
	v_cndmask_b32_e64 v8, v18, s41, s40
	s_delay_alu instid0(VALU_DEP_1)
	v_or_b32_e32 v8, v8, v17
.LBB79_655:
	global_store_b8 v[10:11], v8, off
.LBB79_656:
	s_mov_b32 s5, 0
.LBB79_657:
	s_delay_alu instid0(SALU_CYCLE_1)
	s_and_b32 vcc_lo, exec_lo, s5
	s_mov_b32 s5, 0
	s_cbranch_vccz .LBB79_678
; %bb.658:
	v_cmp_lt_i16_e32 vcc_lo, 22, v22
	s_mov_b32 s2, -1
	s_cbranch_vccz .LBB79_671
; %bb.659:
	v_cmp_gt_i16_e32 vcc_lo, 24, v22
	s_cbranch_vccnz .LBB79_668
; %bb.660:
	v_cmp_lt_i16_e32 vcc_lo, 24, v22
	s_cbranch_vccz .LBB79_665
; %bb.661:
	v_mov_b32_e32 v8, 0x80
	s_and_not1_b32 vcc_lo, exec_lo, s37
	s_cbranch_vccnz .LBB79_664
; %bb.662:
	v_mov_b32_e32 v8, 0
	s_or_b32 s2, s34, s38
	s_delay_alu instid0(SALU_CYCLE_1)
	s_and_not1_b32 vcc_lo, exec_lo, s2
	s_cbranch_vccnz .LBB79_664
; %bb.663:
	v_cndmask_b32_e64 v8, v16, s35, s34
	s_delay_alu instid0(VALU_DEP_1)
	v_or_b32_e32 v8, v8, v17
.LBB79_664:
	s_mov_b32 s2, 0
	global_store_b8 v[10:11], v8, off
.LBB79_665:
	s_and_b32 vcc_lo, exec_lo, s2
	s_cbranch_vccz .LBB79_667
; %bb.666:
	s_and_b32 s2, s31, exec_lo
	s_cselect_b32 s2, s42, s33
	s_and_b32 s7, s29, exec_lo
	s_cselect_b32 s2, s36, s2
	s_delay_alu instid0(SALU_CYCLE_1)
	v_or_b32_e32 v8, s2, v17
	global_store_b8 v[10:11], v8, off
.LBB79_667:
	s_mov_b32 s2, 0
.LBB79_668:
	s_delay_alu instid0(SALU_CYCLE_1)
	s_and_not1_b32 vcc_lo, exec_lo, s2
	s_cbranch_vccnz .LBB79_670
; %bb.669:
	s_and_b32 s2, s27, exec_lo
	s_cselect_b32 s2, s39, s28
	s_and_b32 s7, s26, exec_lo
	s_cselect_b32 s2, s30, s2
	s_delay_alu instid0(SALU_CYCLE_1)
	v_or_b32_e32 v8, s2, v17
	global_store_b8 v[10:11], v8, off
.LBB79_670:
	s_mov_b32 s2, 0
.LBB79_671:
	s_delay_alu instid0(SALU_CYCLE_1)
	s_and_not1_b32 vcc_lo, exec_lo, s2
	s_mov_b32 s7, 0
	s_cbranch_vccnz .LBB79_678
; %bb.672:
	v_cmp_lt_i16_e32 vcc_lo, 14, v22
	s_mov_b32 s2, -1
	s_cbranch_vccz .LBB79_676
; %bb.673:
	v_cmp_eq_u16_e32 vcc_lo, 15, v22
	s_mov_b32 s4, -1
	s_cbranch_vccz .LBB79_675
; %bb.674:
	s_mov_b32 s4, 0
	global_store_b16 v[10:11], v15, off
.LBB79_675:
	s_mov_b32 s2, 0
.LBB79_676:
	s_delay_alu instid0(SALU_CYCLE_1)
	s_and_b32 vcc_lo, exec_lo, s2
	s_cbranch_vccz .LBB79_678
; %bb.677:
	v_cmp_ne_u16_e32 vcc_lo, 11, v22
	s_and_not1_b32 s2, s4, exec_lo
	s_mov_b32 s7, -1
	s_and_b32 s4, vcc_lo, exec_lo
	s_delay_alu instid0(SALU_CYCLE_1)
	s_or_b32 s4, s2, s4
.LBB79_678:
	s_and_not1_b32 s2, s20, exec_lo
	s_and_b32 s4, s4, exec_lo
	s_and_b32 s19, s5, exec_lo
	;; [unrolled: 1-line block ×3, first 2 shown]
	s_or_b32 s53, s2, s4
.LBB79_679:
	s_or_b32 exec_lo, exec_lo, s46
	s_delay_alu instid0(SALU_CYCLE_1)
	s_and_not1_b32 s2, s20, exec_lo
	s_and_b32 s4, s53, exec_lo
	s_and_b32 s19, s19, exec_lo
	;; [unrolled: 1-line block ×3, first 2 shown]
	s_or_b32 s20, s2, s4
.LBB79_680:
	s_or_b32 exec_lo, exec_lo, s21
	s_delay_alu instid0(SALU_CYCLE_1)
	s_and_not1_b32 s2, s51, exec_lo
	s_and_b32 s4, s20, exec_lo
	s_and_b32 s19, s19, exec_lo
	;; [unrolled: 1-line block ×3, first 2 shown]
	s_or_b32 s51, s2, s4
.LBB79_681:
	s_or_b32 exec_lo, exec_lo, s52
	s_delay_alu instid0(SALU_CYCLE_1)
	s_and_not1_b32 s2, s49, exec_lo
	s_and_b32 s4, s51, exec_lo
	s_and_b32 s19, s19, exec_lo
	;; [unrolled: 1-line block ×3, first 2 shown]
	s_or_b32 s49, s2, s4
	s_or_b32 exec_lo, exec_lo, s50
	s_mov_b32 s2, 0
	s_and_saveexec_b32 s4, s49
	s_cbranch_execz .LBB79_118
.LBB79_682:
	s_cbranch_execnz .LBB79_684
; %bb.683:
	s_mov_b32 s2, exec_lo
	s_and_not1_b32 s51, s51, exec_lo
	s_or_b32 exec_lo, exec_lo, s4
	s_and_saveexec_b32 s4, s51
	s_delay_alu instid0(SALU_CYCLE_1)
	s_xor_b32 s4, exec_lo, s4
	s_cbranch_execnz .LBB79_119
	s_branch .LBB79_120
.LBB79_684:
	s_trap 2
	s_sendmsg_rtn_b32 s0, sendmsg(MSG_RTN_GET_DOORBELL)
	s_mov_b32 ttmp2, m0
	s_waitcnt lgkmcnt(0)
	s_and_b32 s0, s0, 0x3ff
	s_delay_alu instid0(SALU_CYCLE_1) | instskip(NEXT) | instid1(SALU_CYCLE_1)
	s_bitset1_b32 s0, 10
	s_mov_b32 m0, s0
	s_sendmsg sendmsg(MSG_INTERRUPT)
	s_mov_b32 m0, ttmp2
.LBB79_685:                             ; =>This Inner Loop Header: Depth=1
	s_sethalt 5
	s_branch .LBB79_685
.LBB79_686:
	s_mov_b32 s10, -1
	s_mov_b32 s9, 0
                                        ; implicit-def: $sgpr11
.LBB79_687:
	v_mov_b32_e32 v4, s11
	s_and_not1_b32 vcc_lo, exec_lo, s10
                                        ; implicit-def: $sgpr10
	s_cbranch_vccnz .LBB79_689
; %bb.688:
	v_add_f32_e64 v4, 0x42800000, |s8|
	s_mov_b32 s10, 0
	s_delay_alu instid0(VALU_DEP_1) | instskip(NEXT) | instid1(VALU_DEP_1)
	v_and_b32_e32 v4, 0xff, v4
	v_cmp_ne_u32_e64 s9, 0, v4
.LBB79_689:
	v_mov_b32_e32 v5, s10
	s_delay_alu instid0(VALU_DEP_2)
	s_and_not1_b32 vcc_lo, exec_lo, s9
	s_cbranch_vccnz .LBB79_691
; %bb.690:
	s_lshr_b32 s8, s8, 24
	s_delay_alu instid0(SALU_CYCLE_1) | instskip(NEXT) | instid1(SALU_CYCLE_1)
	s_and_b32 s8, s8, 0x80
	v_or_b32_e32 v5, s8, v4
.LBB79_691:
	s_mov_b32 s8, 0
	global_store_b8 v[2:3], v5, off
.LBB79_692:
	s_and_b32 vcc_lo, exec_lo, s8
	s_cbranch_vccz .LBB79_704
; %bb.693:
	v_cvt_f32_f16_e32 v4, s2
	s_delay_alu instid0(VALU_DEP_1) | instskip(NEXT) | instid1(VALU_DEP_1)
	v_readfirstlane_b32 s8, v4
	s_and_b32 s9, s8, 0x7fffffff
	s_delay_alu instid0(SALU_CYCLE_1)
	s_cmp_lt_u32 s9, 0x43f00000
	s_cbranch_scc0 .LBB79_696
; %bb.694:
	s_cmp_gt_u32 s9, 0x3c7fffff
	s_cbranch_scc0 .LBB79_697
; %bb.695:
	s_bfe_u32 s10, s8, 0x10014
	s_delay_alu instid0(SALU_CYCLE_1) | instskip(NEXT) | instid1(SALU_CYCLE_1)
	s_add_i32 s10, s8, s10
	s_add_i32 s10, s10, 0x407ffff
	s_delay_alu instid0(SALU_CYCLE_1)
	s_and_b32 s11, s10, 0xff00000
	s_lshr_b32 s10, s10, 20
	s_cmp_lg_u32 s11, 0x7f00000
	s_cselect_b32 s11, s10, 0x7e
	s_mov_b32 s10, 0
	s_branch .LBB79_698
.LBB79_696:
	s_mov_b32 s10, -1
                                        ; implicit-def: $vgpr5
	s_branch .LBB79_701
.LBB79_697:
	s_mov_b32 s10, -1
                                        ; implicit-def: $sgpr11
.LBB79_698:
	v_mov_b32_e32 v5, s11
	s_and_not1_b32 vcc_lo, exec_lo, s10
	s_cbranch_vccnz .LBB79_700
; %bb.699:
	v_add_f32_e64 v5, 0x46800000, |v4|
.LBB79_700:
	s_mov_b32 s10, 0
.LBB79_701:
	s_delay_alu instid0(SALU_CYCLE_1)
	s_and_not1_b32 vcc_lo, exec_lo, s10
	s_cbranch_vccnz .LBB79_703
; %bb.702:
	s_cmp_gt_u32 s9, 0x7f800000
	s_movk_i32 s9, 0x7f
	s_delay_alu instid0(SALU_CYCLE_1) | instskip(NEXT) | instid1(SALU_CYCLE_1)
	s_cselect_b32 s9, s9, 0x7e
	v_mov_b32_e32 v5, s9
.LBB79_703:
	s_lshr_b32 s8, s8, 24
	s_delay_alu instid0(SALU_CYCLE_1)
	s_and_b32 s8, s8, 0x80
	s_delay_alu instid0(VALU_DEP_1) | instid1(SALU_CYCLE_1)
	v_or_b32_e32 v4, s8, v5
	global_store_b8 v[2:3], v4, off
.LBB79_704:
	s_mov_b32 s8, 0
.LBB79_705:
	s_delay_alu instid0(SALU_CYCLE_1)
	s_and_not1_b32 vcc_lo, exec_lo, s8
	s_cbranch_vccnz .LBB79_717
; %bb.706:
	v_cvt_f32_f16_e32 v4, s2
	s_delay_alu instid0(VALU_DEP_1) | instskip(NEXT) | instid1(VALU_DEP_1)
	v_readfirstlane_b32 s8, v4
	s_and_b32 s9, s8, 0x7fffffff
	s_delay_alu instid0(SALU_CYCLE_1)
	s_cmp_lt_u32 s9, 0x47800000
	s_cbranch_scc0 .LBB79_709
; %bb.707:
	s_cmp_gt_u32 s9, 0x387fffff
	s_cbranch_scc0 .LBB79_710
; %bb.708:
	s_bfe_u32 s10, s8, 0x10015
	s_delay_alu instid0(SALU_CYCLE_1) | instskip(NEXT) | instid1(SALU_CYCLE_1)
	s_add_i32 s10, s8, s10
	s_add_i32 s10, s10, 0x80fffff
	s_delay_alu instid0(SALU_CYCLE_1)
	s_lshr_b32 s11, s10, 21
	s_mov_b32 s10, 0
	s_branch .LBB79_711
.LBB79_709:
	s_mov_b32 s10, -1
                                        ; implicit-def: $vgpr5
	s_branch .LBB79_714
.LBB79_710:
	s_mov_b32 s10, -1
                                        ; implicit-def: $sgpr11
.LBB79_711:
	v_mov_b32_e32 v5, s11
	s_and_not1_b32 vcc_lo, exec_lo, s10
	s_cbranch_vccnz .LBB79_713
; %bb.712:
	v_add_f32_e64 v5, 0x43000000, |v4|
.LBB79_713:
	s_mov_b32 s10, 0
.LBB79_714:
	s_delay_alu instid0(SALU_CYCLE_1)
	s_and_not1_b32 vcc_lo, exec_lo, s10
	s_cbranch_vccnz .LBB79_716
; %bb.715:
	s_cmp_gt_u32 s9, 0x7f800000
	s_movk_i32 s9, 0x7f
	s_delay_alu instid0(SALU_CYCLE_1) | instskip(NEXT) | instid1(SALU_CYCLE_1)
	s_cselect_b32 s9, s9, 0x7c
	v_mov_b32_e32 v5, s9
.LBB79_716:
	s_lshr_b32 s8, s8, 24
	s_delay_alu instid0(SALU_CYCLE_1)
	s_and_b32 s8, s8, 0x80
	s_delay_alu instid0(VALU_DEP_1) | instid1(SALU_CYCLE_1)
	v_or_b32_e32 v4, s8, v5
	global_store_b8 v[2:3], v4, off
.LBB79_717:
	s_mov_b32 s8, 0
	s_mov_b32 s9, -1
.LBB79_718:
	s_and_not1_b32 vcc_lo, exec_lo, s8
	s_mov_b32 s8, 0
	s_cbranch_vccnz .LBB79_725
; %bb.719:
	v_cmp_gt_i16_e64 s8, s4, 14
	s_delay_alu instid0(VALU_DEP_1)
	s_and_b32 vcc_lo, exec_lo, s8
	s_mov_b32 s8, -1
	s_cbranch_vccz .LBB79_723
; %bb.720:
	v_cmp_eq_u16_e64 s5, s4, 15
	s_delay_alu instid0(VALU_DEP_1)
	s_and_b32 vcc_lo, exec_lo, s5
	s_mov_b32 s5, -1
	s_cbranch_vccz .LBB79_722
; %bb.721:
	v_cvt_f32_f16_e32 v4, s2
	v_cmp_o_f16_e64 vcc_lo, s2, s2
	s_mov_b32 s5, 0
	s_mov_b32 s9, -1
	s_delay_alu instid0(VALU_DEP_2) | instskip(NEXT) | instid1(VALU_DEP_1)
	v_bfe_u32 v5, v4, 16, 1
	v_add_nc_u32_e32 v4, v4, v5
	s_delay_alu instid0(VALU_DEP_1) | instskip(NEXT) | instid1(VALU_DEP_1)
	v_add_nc_u32_e32 v4, 0x7fff, v4
	v_lshrrev_b32_e32 v4, 16, v4
	s_delay_alu instid0(VALU_DEP_1)
	v_cndmask_b32_e32 v4, 0x7fc0, v4, vcc_lo
	global_store_b16 v[2:3], v4, off
.LBB79_722:
	s_mov_b32 s8, 0
.LBB79_723:
	s_delay_alu instid0(SALU_CYCLE_1)
	s_and_b32 vcc_lo, exec_lo, s8
	s_mov_b32 s8, 0
	s_cbranch_vccz .LBB79_725
; %bb.724:
	v_cmp_ne_u16_e64 s5, s4, 11
	s_mov_b32 s8, -1
.LBB79_725:
	s_delay_alu instid0(VALU_DEP_1)
	s_and_b32 vcc_lo, exec_lo, s5
	s_cbranch_vccnz .LBB79_778
; %bb.726:
	s_and_not1_b32 vcc_lo, exec_lo, s8
	s_cbranch_vccnz .LBB79_728
.LBB79_727:
	s_and_b32 s5, s2, 0x7fff7fff
	s_mov_b32 s9, -1
	s_cmp_lg_u32 s5, 0
	s_cselect_b32 s5, -1, 0
	s_delay_alu instid0(SALU_CYCLE_1)
	v_cndmask_b32_e64 v4, 0, 1, s5
	global_store_b8 v[2:3], v4, off
.LBB79_728:
	s_mov_b32 s5, 0
.LBB79_729:
	s_delay_alu instid0(SALU_CYCLE_1)
	s_and_b32 vcc_lo, exec_lo, s5
	s_cbranch_vccz .LBB79_768
; %bb.730:
	v_cmp_lt_i16_e64 s5, s4, 5
	s_delay_alu instid0(VALU_DEP_1)
	s_and_b32 vcc_lo, exec_lo, s5
	s_mov_b32 s5, -1
	s_cbranch_vccnz .LBB79_751
; %bb.731:
	v_cmp_lt_i16_e64 s5, s4, 8
	s_delay_alu instid0(VALU_DEP_1)
	s_and_b32 vcc_lo, exec_lo, s5
	s_mov_b32 s5, -1
	s_cbranch_vccnz .LBB79_741
	;; [unrolled: 6-line block ×3, first 2 shown]
; %bb.733:
	v_cmp_gt_i16_e64 s5, s4, 9
	s_delay_alu instid0(VALU_DEP_1)
	s_and_b32 vcc_lo, exec_lo, s5
	s_mov_b32 s5, -1
	s_cbranch_vccz .LBB79_735
; %bb.734:
	s_lshr_b32 s5, s2, 16
	v_cvt_f32_f16_e32 v4, s2
	v_cvt_f32_f16_e32 v6, s5
	s_mov_b32 s5, 0
	s_delay_alu instid0(VALU_DEP_2) | instskip(NEXT) | instid1(VALU_DEP_2)
	v_cvt_f64_f32_e32 v[4:5], v4
	v_cvt_f64_f32_e32 v[6:7], v6
	global_store_b128 v[2:3], v[4:7], off
.LBB79_735:
	s_and_not1_b32 vcc_lo, exec_lo, s5
	s_cbranch_vccnz .LBB79_737
; %bb.736:
	s_lshr_b32 s5, s2, 16
	v_cvt_f32_f16_e32 v4, s2
	v_cvt_f32_f16_e32 v5, s5
	global_store_b64 v[2:3], v[4:5], off
.LBB79_737:
	s_mov_b32 s5, 0
.LBB79_738:
	s_delay_alu instid0(SALU_CYCLE_1)
	s_and_not1_b32 vcc_lo, exec_lo, s5
	s_cbranch_vccnz .LBB79_740
; %bb.739:
	v_mov_b32_e32 v4, s2
	global_store_b32 v[2:3], v4, off
.LBB79_740:
	s_mov_b32 s5, 0
.LBB79_741:
	s_delay_alu instid0(SALU_CYCLE_1)
	s_and_not1_b32 vcc_lo, exec_lo, s5
	s_cbranch_vccnz .LBB79_750
; %bb.742:
	v_cmp_lt_i16_e64 s5, s4, 6
	s_delay_alu instid0(VALU_DEP_1)
	s_and_b32 vcc_lo, exec_lo, s5
	s_mov_b32 s5, -1
	s_cbranch_vccnz .LBB79_748
; %bb.743:
	v_cmp_gt_i16_e64 s5, s4, 6
	s_delay_alu instid0(VALU_DEP_1)
	s_and_b32 vcc_lo, exec_lo, s5
	s_mov_b32 s5, -1
	s_cbranch_vccz .LBB79_745
; %bb.744:
	v_cvt_f32_f16_e32 v4, s2
	s_mov_b32 s5, 0
	s_delay_alu instid0(VALU_DEP_1)
	v_cvt_f64_f32_e32 v[4:5], v4
	global_store_b64 v[2:3], v[4:5], off
.LBB79_745:
	s_and_not1_b32 vcc_lo, exec_lo, s5
	s_cbranch_vccnz .LBB79_747
; %bb.746:
	v_cvt_f32_f16_e32 v4, s2
	global_store_b32 v[2:3], v4, off
.LBB79_747:
	s_mov_b32 s5, 0
.LBB79_748:
	s_delay_alu instid0(SALU_CYCLE_1)
	s_and_not1_b32 vcc_lo, exec_lo, s5
	s_cbranch_vccnz .LBB79_750
; %bb.749:
	v_mov_b32_e32 v4, s2
	global_store_b16 v[2:3], v4, off
.LBB79_750:
	s_mov_b32 s5, 0
.LBB79_751:
	s_delay_alu instid0(SALU_CYCLE_1)
	s_and_not1_b32 vcc_lo, exec_lo, s5
	s_cbranch_vccnz .LBB79_767
; %bb.752:
	v_cmp_lt_i16_e64 s5, s4, 2
	s_delay_alu instid0(VALU_DEP_1)
	s_and_b32 vcc_lo, exec_lo, s5
	s_mov_b32 s5, -1
	s_cbranch_vccnz .LBB79_762
; %bb.753:
	v_cmp_lt_i16_e64 s5, s4, 3
	s_delay_alu instid0(VALU_DEP_1)
	s_and_b32 vcc_lo, exec_lo, s5
	s_mov_b32 s5, -1
	s_cbranch_vccnz .LBB79_759
; %bb.754:
	v_cmp_gt_i16_e64 s5, s4, 3
	s_delay_alu instid0(VALU_DEP_1)
	s_and_b32 vcc_lo, exec_lo, s5
	s_mov_b32 s5, -1
	s_cbranch_vccz .LBB79_756
; %bb.755:
	v_cvt_f32_f16_e32 v4, s2
	s_mov_b32 s5, 0
	s_delay_alu instid0(VALU_DEP_1) | instskip(NEXT) | instid1(VALU_DEP_1)
	v_cvt_i32_f32_e32 v4, v4
	v_ashrrev_i32_e32 v5, 31, v4
	global_store_b64 v[2:3], v[4:5], off
.LBB79_756:
	s_and_not1_b32 vcc_lo, exec_lo, s5
	s_cbranch_vccnz .LBB79_758
; %bb.757:
	v_cvt_f32_f16_e32 v4, s2
	s_delay_alu instid0(VALU_DEP_1)
	v_cvt_i32_f32_e32 v4, v4
	global_store_b32 v[2:3], v4, off
.LBB79_758:
	s_mov_b32 s5, 0
.LBB79_759:
	s_delay_alu instid0(SALU_CYCLE_1)
	s_and_not1_b32 vcc_lo, exec_lo, s5
	s_cbranch_vccnz .LBB79_761
; %bb.760:
	v_cvt_i16_f16_e32 v4, s2
	global_store_b16 v[2:3], v4, off
.LBB79_761:
	s_mov_b32 s5, 0
.LBB79_762:
	s_delay_alu instid0(SALU_CYCLE_1)
	s_and_not1_b32 vcc_lo, exec_lo, s5
	s_cbranch_vccnz .LBB79_767
; %bb.763:
	v_cmp_gt_i16_e64 s5, s4, 0
	s_delay_alu instid0(VALU_DEP_1)
	s_and_b32 vcc_lo, exec_lo, s5
	s_mov_b32 s5, -1
	s_cbranch_vccz .LBB79_765
; %bb.764:
	v_cvt_i16_f16_e32 v4, s2
	s_mov_b32 s5, 0
	global_store_b8 v[2:3], v4, off
.LBB79_765:
	s_and_not1_b32 vcc_lo, exec_lo, s5
	s_cbranch_vccnz .LBB79_767
; %bb.766:
	v_cvt_f32_f16_e32 v4, s2
	s_delay_alu instid0(VALU_DEP_1)
	v_cvt_i32_f32_e32 v4, v4
	global_store_b8 v[2:3], v4, off
.LBB79_767:
	s_mov_b32 s9, -1
.LBB79_768:
	s_delay_alu instid0(SALU_CYCLE_1)
	s_and_not1_b32 vcc_lo, exec_lo, s9
	s_cbranch_vccnz .LBB79_910
; %bb.769:
	v_cmp_lt_i16_e64 s5, s4, 11
	v_add_co_u32 v1, s8, s0, v1
	s_delay_alu instid0(VALU_DEP_1) | instskip(SKIP_1) | instid1(VALU_DEP_3)
	v_add_co_ci_u32_e64 v2, null, s1, 0, s8
	s_mov_b32 s9, 0
	s_and_b32 vcc_lo, exec_lo, s5
	s_mov_b32 s5, -1
	s_cbranch_vccnz .LBB79_862
; %bb.770:
	v_cmp_gt_i16_e64 s5, s4, 25
	s_mov_b32 s10, -1
	s_mov_b32 s8, 0
	s_delay_alu instid0(VALU_DEP_1)
	s_and_b32 vcc_lo, exec_lo, s5
	s_mov_b32 s5, 0
	s_cbranch_vccz .LBB79_812
; %bb.771:
	v_cmp_gt_i16_e64 s5, s4, 28
	s_delay_alu instid0(VALU_DEP_1)
	s_and_b32 vcc_lo, exec_lo, s5
	s_cbranch_vccz .LBB79_776
; %bb.772:
	v_cmp_gt_i16_e64 s5, s4, 43
	s_delay_alu instid0(VALU_DEP_1)
	s_and_b32 vcc_lo, exec_lo, s5
	;; [unrolled: 5-line block ×3, first 2 shown]
	s_cbranch_vccz .LBB79_780
; %bb.774:
	v_cmp_eq_u16_e64 s9, s4, 46
	s_mov_b32 s5, -1
	s_mov_b32 s10, 0
	s_delay_alu instid0(VALU_DEP_1)
	s_and_b32 vcc_lo, exec_lo, s9
	s_mov_b32 s9, 0
	s_cbranch_vccz .LBB79_781
; %bb.775:
	v_cvt_f32_f16_e32 v4, s2
	s_lshr_b32 s5, s2, 16
	s_mov_b32 s9, -1
	v_cvt_f32_f16_e32 v3, s5
	v_cmp_o_f16_e64 vcc_lo, s5, s5
	v_bfe_u32 v6, v4, 16, 1
	s_mov_b32 s5, 0
	s_delay_alu instid0(VALU_DEP_3) | instskip(NEXT) | instid1(VALU_DEP_2)
	v_bfe_u32 v5, v3, 16, 1
	v_add_nc_u32_e32 v4, v4, v6
	s_delay_alu instid0(VALU_DEP_1) | instskip(NEXT) | instid1(VALU_DEP_1)
	v_add_nc_u32_e32 v4, 0x7fff, v4
	v_lshrrev_b32_e32 v4, 16, v4
	s_delay_alu instid0(VALU_DEP_4) | instskip(NEXT) | instid1(VALU_DEP_1)
	v_add_nc_u32_e32 v3, v3, v5
	v_add_nc_u32_e32 v3, 0x7fff, v3
	s_delay_alu instid0(VALU_DEP_1) | instskip(NEXT) | instid1(VALU_DEP_1)
	v_and_b32_e32 v3, 0xffff0000, v3
	v_cndmask_b32_e32 v3, 0x7fc00000, v3, vcc_lo
	v_cmp_o_f16_e64 vcc_lo, s2, s2
	v_cndmask_b32_e32 v4, 0x7fc0, v4, vcc_lo
	s_delay_alu instid0(VALU_DEP_1)
	v_or_b32_e32 v3, v3, v4
	global_store_b32 v[1:2], v3, off
	s_branch .LBB79_781
.LBB79_776:
	s_mov_b32 s5, 0
	s_branch .LBB79_791
.LBB79_777:
	s_mov_b32 s5, 0
	s_branch .LBB79_787
.LBB79_778:
	s_cbranch_execnz .LBB79_802
; %bb.779:
	s_or_b32 s3, s3, exec_lo
	s_cbranch_execz .LBB79_727
	s_branch .LBB79_728
.LBB79_780:
	s_mov_b32 s5, 0
.LBB79_781:
	s_and_b32 vcc_lo, exec_lo, s10
	s_cbranch_vccz .LBB79_786
; %bb.782:
	v_cmp_eq_u16_e64 s5, s4, 44
	s_delay_alu instid0(VALU_DEP_1)
	s_and_b32 vcc_lo, exec_lo, s5
	s_mov_b32 s5, -1
	s_cbranch_vccz .LBB79_786
; %bb.783:
	v_cvt_f32_f16_e32 v3, s2
	v_mov_b32_e32 v4, 0xff
	s_delay_alu instid0(VALU_DEP_2) | instskip(NEXT) | instid1(VALU_DEP_1)
	v_readfirstlane_b32 s5, v3
	s_bfe_u32 s9, s5, 0x80017
	s_delay_alu instid0(SALU_CYCLE_1)
	s_cmpk_eq_i32 s9, 0xff
	s_cbranch_scc1 .LBB79_785
; %bb.784:
	s_bitcmp1_b32 s5, 22
	v_lshrrev_b32_e32 v3, 23, v3
	s_cselect_b32 s10, -1, 0
	s_and_b32 s5, s5, 0x3fffff
	s_delay_alu instid0(SALU_CYCLE_1) | instskip(NEXT) | instid1(SALU_CYCLE_1)
	s_or_b32 s5, s9, s5
	s_cmp_lg_u32 s5, 0
	s_cselect_b32 s5, -1, 0
	s_delay_alu instid0(SALU_CYCLE_1) | instskip(NEXT) | instid1(SALU_CYCLE_1)
	s_and_b32 s5, s10, s5
	v_cndmask_b32_e64 v4, 0, 1, s5
	s_delay_alu instid0(VALU_DEP_1)
	v_add_nc_u32_e32 v4, v3, v4
.LBB79_785:
	s_mov_b32 s5, 0
	s_mov_b32 s9, -1
	global_store_b8 v[1:2], v4, off
.LBB79_786:
	s_mov_b32 s10, 0
.LBB79_787:
	s_delay_alu instid0(SALU_CYCLE_1)
	s_and_b32 vcc_lo, exec_lo, s10
	s_cbranch_vccz .LBB79_790
; %bb.788:
	v_cmp_eq_u16_e64 s5, s4, 29
	s_delay_alu instid0(VALU_DEP_1)
	s_and_b32 vcc_lo, exec_lo, s5
	s_mov_b32 s5, -1
	s_cbranch_vccz .LBB79_790
; %bb.789:
	v_cvt_f32_f16_e32 v3, s2
	v_mov_b32_e32 v4, 0
	s_mov_b32 s5, 0
	s_mov_b32 s9, -1
	s_mov_b32 s10, 0
	v_cvt_u32_f32_e32 v3, v3
	global_store_b64 v[1:2], v[3:4], off
	s_branch .LBB79_791
.LBB79_790:
	s_mov_b32 s10, 0
.LBB79_791:
	s_delay_alu instid0(SALU_CYCLE_1)
	s_and_b32 vcc_lo, exec_lo, s10
	s_cbranch_vccz .LBB79_811
; %bb.792:
	v_cmp_lt_i16_e64 s9, s4, 27
	s_delay_alu instid0(VALU_DEP_1)
	s_and_b32 vcc_lo, exec_lo, s9
	s_mov_b32 s9, -1
	s_cbranch_vccnz .LBB79_798
; %bb.793:
	v_cmp_gt_i16_e64 s9, s4, 27
	s_delay_alu instid0(VALU_DEP_1)
	s_and_b32 vcc_lo, exec_lo, s9
	s_mov_b32 s9, -1
	s_cbranch_vccz .LBB79_795
; %bb.794:
	v_cvt_f32_f16_e32 v3, s2
	s_mov_b32 s9, 0
	s_delay_alu instid0(VALU_DEP_1)
	v_cvt_u32_f32_e32 v3, v3
	global_store_b32 v[1:2], v3, off
.LBB79_795:
	s_and_not1_b32 vcc_lo, exec_lo, s9
	s_cbranch_vccnz .LBB79_797
; %bb.796:
	v_cvt_u16_f16_e32 v3, s2
	global_store_b16 v[1:2], v3, off
.LBB79_797:
	s_mov_b32 s9, 0
.LBB79_798:
	s_delay_alu instid0(SALU_CYCLE_1)
	s_and_not1_b32 vcc_lo, exec_lo, s9
	s_cbranch_vccnz .LBB79_810
; %bb.799:
	v_cvt_f32_f16_e32 v3, s2
	v_mov_b32_e32 v4, 0x80
	s_delay_alu instid0(VALU_DEP_2) | instskip(NEXT) | instid1(VALU_DEP_1)
	v_readfirstlane_b32 s9, v3
	s_and_b32 s10, s9, 0x7fffffff
	s_delay_alu instid0(SALU_CYCLE_1)
	s_cmp_gt_u32 s10, 0x437fffff
	s_cbranch_scc1 .LBB79_809
; %bb.800:
	s_cmp_gt_u32 s10, 0x3bffffff
	s_cbranch_scc0 .LBB79_804
; %bb.801:
	s_bfe_u32 s10, s9, 0x10014
	s_mov_b32 s11, 0
	s_add_i32 s10, s9, s10
	s_delay_alu instid0(SALU_CYCLE_1) | instskip(NEXT) | instid1(SALU_CYCLE_1)
	s_add_i32 s10, s10, 0x487ffff
	s_lshr_b32 s12, s10, 20
	s_mov_b32 s10, -1
	s_branch .LBB79_805
.LBB79_802:
	s_trap 2
	s_sendmsg_rtn_b32 s0, sendmsg(MSG_RTN_GET_DOORBELL)
	s_mov_b32 ttmp2, m0
	s_waitcnt lgkmcnt(0)
	s_and_b32 s0, s0, 0x3ff
	s_delay_alu instid0(SALU_CYCLE_1) | instskip(NEXT) | instid1(SALU_CYCLE_1)
	s_bitset1_b32 s0, 10
	s_mov_b32 m0, s0
	s_sendmsg sendmsg(MSG_INTERRUPT)
	s_mov_b32 m0, ttmp2
.LBB79_803:                             ; =>This Inner Loop Header: Depth=1
	s_sethalt 5
	s_branch .LBB79_803
.LBB79_804:
	s_mov_b32 s11, -1
	s_mov_b32 s10, 0
                                        ; implicit-def: $sgpr12
.LBB79_805:
	v_mov_b32_e32 v3, s12
	s_and_not1_b32 vcc_lo, exec_lo, s11
                                        ; implicit-def: $sgpr11
	s_cbranch_vccnz .LBB79_807
; %bb.806:
	v_add_f32_e64 v3, 0x46000000, |s9|
	s_mov_b32 s11, 0
	s_delay_alu instid0(VALU_DEP_1) | instskip(NEXT) | instid1(VALU_DEP_1)
	v_and_b32_e32 v3, 0xff, v3
	v_cmp_ne_u32_e64 s10, 0, v3
.LBB79_807:
	v_mov_b32_e32 v4, s11
	s_delay_alu instid0(VALU_DEP_2)
	s_and_not1_b32 vcc_lo, exec_lo, s10
	s_cbranch_vccnz .LBB79_809
; %bb.808:
	s_lshr_b32 s9, s9, 24
	s_delay_alu instid0(SALU_CYCLE_1) | instskip(NEXT) | instid1(SALU_CYCLE_1)
	s_and_b32 s9, s9, 0x80
	v_or_b32_e32 v4, s9, v3
.LBB79_809:
	global_store_b8 v[1:2], v4, off
.LBB79_810:
	s_mov_b32 s9, -1
.LBB79_811:
	s_mov_b32 s10, 0
.LBB79_812:
	s_delay_alu instid0(SALU_CYCLE_1)
	s_and_b32 vcc_lo, exec_lo, s10
	s_cbranch_vccz .LBB79_858
; %bb.813:
	v_cmp_gt_i16_e64 s8, s4, 22
	s_delay_alu instid0(VALU_DEP_1)
	s_and_b32 vcc_lo, exec_lo, s8
	s_mov_b32 s8, -1
	s_cbranch_vccz .LBB79_851
; %bb.814:
	v_cmp_lt_i16_e64 s8, s4, 24
	s_delay_alu instid0(VALU_DEP_1)
	s_and_b32 vcc_lo, exec_lo, s8
	s_mov_b32 s8, -1
	s_cbranch_vccnz .LBB79_838
; %bb.815:
	v_cmp_gt_i16_e64 s8, s4, 24
	s_delay_alu instid0(VALU_DEP_1)
	s_and_b32 vcc_lo, exec_lo, s8
	s_mov_b32 s8, -1
	s_cbranch_vccz .LBB79_825
; %bb.816:
	v_cvt_f32_f16_e32 v3, s2
	v_mov_b32_e32 v4, 0x80
	s_delay_alu instid0(VALU_DEP_2) | instskip(NEXT) | instid1(VALU_DEP_1)
	v_readfirstlane_b32 s8, v3
	s_and_b32 s9, s8, 0x7fffffff
	s_delay_alu instid0(SALU_CYCLE_1)
	s_cmp_gt_u32 s9, 0x477fffff
	s_cbranch_scc1 .LBB79_824
; %bb.817:
	s_cmp_gt_u32 s9, 0x37ffffff
	s_cbranch_scc0 .LBB79_819
; %bb.818:
	s_bfe_u32 s9, s8, 0x10015
	s_mov_b32 s10, 0
	s_add_i32 s9, s8, s9
	s_delay_alu instid0(SALU_CYCLE_1) | instskip(NEXT) | instid1(SALU_CYCLE_1)
	s_add_i32 s9, s9, 0x88fffff
	s_lshr_b32 s11, s9, 21
	s_mov_b32 s9, -1
	s_branch .LBB79_820
.LBB79_819:
	s_mov_b32 s10, -1
	s_mov_b32 s9, 0
                                        ; implicit-def: $sgpr11
.LBB79_820:
	v_mov_b32_e32 v3, s11
	s_and_not1_b32 vcc_lo, exec_lo, s10
                                        ; implicit-def: $sgpr10
	s_cbranch_vccnz .LBB79_822
; %bb.821:
	v_add_f32_e64 v3, 0x42800000, |s8|
	s_mov_b32 s10, 0
	s_delay_alu instid0(VALU_DEP_1) | instskip(NEXT) | instid1(VALU_DEP_1)
	v_and_b32_e32 v3, 0xff, v3
	v_cmp_ne_u32_e64 s9, 0, v3
.LBB79_822:
	v_mov_b32_e32 v4, s10
	s_delay_alu instid0(VALU_DEP_2)
	s_and_not1_b32 vcc_lo, exec_lo, s9
	s_cbranch_vccnz .LBB79_824
; %bb.823:
	s_lshr_b32 s8, s8, 24
	s_delay_alu instid0(SALU_CYCLE_1) | instskip(NEXT) | instid1(SALU_CYCLE_1)
	s_and_b32 s8, s8, 0x80
	v_or_b32_e32 v4, s8, v3
.LBB79_824:
	s_mov_b32 s8, 0
	global_store_b8 v[1:2], v4, off
.LBB79_825:
	s_and_b32 vcc_lo, exec_lo, s8
	s_cbranch_vccz .LBB79_837
; %bb.826:
	v_cvt_f32_f16_e32 v3, s2
	s_delay_alu instid0(VALU_DEP_1) | instskip(NEXT) | instid1(VALU_DEP_1)
	v_readfirstlane_b32 s8, v3
	s_and_b32 s9, s8, 0x7fffffff
	s_delay_alu instid0(SALU_CYCLE_1)
	s_cmp_lt_u32 s9, 0x43f00000
	s_cbranch_scc0 .LBB79_829
; %bb.827:
	s_cmp_gt_u32 s9, 0x3c7fffff
	s_cbranch_scc0 .LBB79_830
; %bb.828:
	s_bfe_u32 s10, s8, 0x10014
	s_delay_alu instid0(SALU_CYCLE_1) | instskip(NEXT) | instid1(SALU_CYCLE_1)
	s_add_i32 s10, s8, s10
	s_add_i32 s10, s10, 0x407ffff
	s_delay_alu instid0(SALU_CYCLE_1)
	s_and_b32 s11, s10, 0xff00000
	s_lshr_b32 s10, s10, 20
	s_cmp_lg_u32 s11, 0x7f00000
	s_cselect_b32 s11, s10, 0x7e
	s_mov_b32 s10, 0
	s_branch .LBB79_831
.LBB79_829:
	s_mov_b32 s10, -1
                                        ; implicit-def: $vgpr4
	s_branch .LBB79_834
.LBB79_830:
	s_mov_b32 s10, -1
                                        ; implicit-def: $sgpr11
.LBB79_831:
	v_mov_b32_e32 v4, s11
	s_and_not1_b32 vcc_lo, exec_lo, s10
	s_cbranch_vccnz .LBB79_833
; %bb.832:
	v_add_f32_e64 v4, 0x46800000, |v3|
.LBB79_833:
	s_mov_b32 s10, 0
.LBB79_834:
	s_delay_alu instid0(SALU_CYCLE_1)
	s_and_not1_b32 vcc_lo, exec_lo, s10
	s_cbranch_vccnz .LBB79_836
; %bb.835:
	s_cmp_gt_u32 s9, 0x7f800000
	s_movk_i32 s9, 0x7f
	s_delay_alu instid0(SALU_CYCLE_1) | instskip(NEXT) | instid1(SALU_CYCLE_1)
	s_cselect_b32 s9, s9, 0x7e
	v_mov_b32_e32 v4, s9
.LBB79_836:
	s_lshr_b32 s8, s8, 24
	s_delay_alu instid0(SALU_CYCLE_1)
	s_and_b32 s8, s8, 0x80
	s_delay_alu instid0(VALU_DEP_1) | instid1(SALU_CYCLE_1)
	v_or_b32_e32 v3, s8, v4
	global_store_b8 v[1:2], v3, off
.LBB79_837:
	s_mov_b32 s8, 0
.LBB79_838:
	s_delay_alu instid0(SALU_CYCLE_1)
	s_and_not1_b32 vcc_lo, exec_lo, s8
	s_cbranch_vccnz .LBB79_850
; %bb.839:
	v_cvt_f32_f16_e32 v3, s2
	s_delay_alu instid0(VALU_DEP_1) | instskip(NEXT) | instid1(VALU_DEP_1)
	v_readfirstlane_b32 s8, v3
	s_and_b32 s9, s8, 0x7fffffff
	s_delay_alu instid0(SALU_CYCLE_1)
	s_cmp_lt_u32 s9, 0x47800000
	s_cbranch_scc0 .LBB79_842
; %bb.840:
	s_cmp_gt_u32 s9, 0x387fffff
	s_cbranch_scc0 .LBB79_843
; %bb.841:
	s_bfe_u32 s10, s8, 0x10015
	s_delay_alu instid0(SALU_CYCLE_1) | instskip(NEXT) | instid1(SALU_CYCLE_1)
	s_add_i32 s10, s8, s10
	s_add_i32 s10, s10, 0x80fffff
	s_delay_alu instid0(SALU_CYCLE_1)
	s_lshr_b32 s11, s10, 21
	s_mov_b32 s10, 0
	s_branch .LBB79_844
.LBB79_842:
	s_mov_b32 s10, -1
                                        ; implicit-def: $vgpr4
	s_branch .LBB79_847
.LBB79_843:
	s_mov_b32 s10, -1
                                        ; implicit-def: $sgpr11
.LBB79_844:
	v_mov_b32_e32 v4, s11
	s_and_not1_b32 vcc_lo, exec_lo, s10
	s_cbranch_vccnz .LBB79_846
; %bb.845:
	v_add_f32_e64 v4, 0x43000000, |v3|
.LBB79_846:
	s_mov_b32 s10, 0
.LBB79_847:
	s_delay_alu instid0(SALU_CYCLE_1)
	s_and_not1_b32 vcc_lo, exec_lo, s10
	s_cbranch_vccnz .LBB79_849
; %bb.848:
	s_cmp_gt_u32 s9, 0x7f800000
	s_movk_i32 s9, 0x7f
	s_delay_alu instid0(SALU_CYCLE_1) | instskip(NEXT) | instid1(SALU_CYCLE_1)
	s_cselect_b32 s9, s9, 0x7c
	v_mov_b32_e32 v4, s9
.LBB79_849:
	s_lshr_b32 s8, s8, 24
	s_delay_alu instid0(SALU_CYCLE_1)
	s_and_b32 s8, s8, 0x80
	s_delay_alu instid0(VALU_DEP_1) | instid1(SALU_CYCLE_1)
	v_or_b32_e32 v3, s8, v4
	global_store_b8 v[1:2], v3, off
.LBB79_850:
	s_mov_b32 s8, 0
	s_mov_b32 s9, -1
.LBB79_851:
	s_and_not1_b32 vcc_lo, exec_lo, s8
	s_mov_b32 s8, 0
	s_cbranch_vccnz .LBB79_858
; %bb.852:
	v_cmp_gt_i16_e64 s8, s4, 14
	s_delay_alu instid0(VALU_DEP_1)
	s_and_b32 vcc_lo, exec_lo, s8
	s_mov_b32 s8, -1
	s_cbranch_vccz .LBB79_856
; %bb.853:
	v_cmp_eq_u16_e64 s5, s4, 15
	s_delay_alu instid0(VALU_DEP_1)
	s_and_b32 vcc_lo, exec_lo, s5
	s_mov_b32 s5, -1
	s_cbranch_vccz .LBB79_855
; %bb.854:
	v_cvt_f32_f16_e32 v3, s2
	v_cmp_o_f16_e64 vcc_lo, s2, s2
	s_mov_b32 s5, 0
	s_mov_b32 s9, -1
	s_delay_alu instid0(VALU_DEP_2) | instskip(NEXT) | instid1(VALU_DEP_1)
	v_bfe_u32 v4, v3, 16, 1
	v_add_nc_u32_e32 v3, v3, v4
	s_delay_alu instid0(VALU_DEP_1) | instskip(NEXT) | instid1(VALU_DEP_1)
	v_add_nc_u32_e32 v3, 0x7fff, v3
	v_lshrrev_b32_e32 v3, 16, v3
	s_delay_alu instid0(VALU_DEP_1)
	v_cndmask_b32_e32 v3, 0x7fc0, v3, vcc_lo
	global_store_b16 v[1:2], v3, off
.LBB79_855:
	s_mov_b32 s8, 0
.LBB79_856:
	s_delay_alu instid0(SALU_CYCLE_1)
	s_and_b32 vcc_lo, exec_lo, s8
	s_mov_b32 s8, 0
	s_cbranch_vccz .LBB79_858
; %bb.857:
	v_cmp_ne_u16_e64 s5, s4, 11
	s_mov_b32 s8, -1
.LBB79_858:
	s_delay_alu instid0(VALU_DEP_1)
	s_and_b32 vcc_lo, exec_lo, s5
	s_cbranch_vccnz .LBB79_957
; %bb.859:
	s_and_not1_b32 vcc_lo, exec_lo, s8
	s_cbranch_vccnz .LBB79_861
.LBB79_860:
	s_and_b32 s5, s2, 0x7fff7fff
	s_mov_b32 s9, -1
	s_cmp_lg_u32 s5, 0
	s_cselect_b32 s5, -1, 0
	s_delay_alu instid0(SALU_CYCLE_1)
	v_cndmask_b32_e64 v3, 0, 1, s5
	global_store_b8 v[1:2], v3, off
.LBB79_861:
	s_mov_b32 s5, 0
.LBB79_862:
	s_delay_alu instid0(SALU_CYCLE_1)
	s_and_b32 vcc_lo, exec_lo, s5
	s_cbranch_vccz .LBB79_901
; %bb.863:
	v_cmp_lt_i16_e64 s5, s4, 5
	s_delay_alu instid0(VALU_DEP_1)
	s_and_b32 vcc_lo, exec_lo, s5
	s_mov_b32 s5, -1
	s_cbranch_vccnz .LBB79_884
; %bb.864:
	v_cmp_lt_i16_e64 s5, s4, 8
	s_delay_alu instid0(VALU_DEP_1)
	s_and_b32 vcc_lo, exec_lo, s5
	s_mov_b32 s5, -1
	s_cbranch_vccnz .LBB79_874
	;; [unrolled: 6-line block ×3, first 2 shown]
; %bb.866:
	v_cmp_gt_i16_e64 s5, s4, 9
	s_delay_alu instid0(VALU_DEP_1)
	s_and_b32 vcc_lo, exec_lo, s5
	s_mov_b32 s5, -1
	s_cbranch_vccz .LBB79_868
; %bb.867:
	s_lshr_b32 s5, s2, 16
	v_cvt_f32_f16_e32 v3, s2
	v_cvt_f32_f16_e32 v5, s5
	s_mov_b32 s5, 0
	s_delay_alu instid0(VALU_DEP_2) | instskip(NEXT) | instid1(VALU_DEP_2)
	v_cvt_f64_f32_e32 v[3:4], v3
	v_cvt_f64_f32_e32 v[5:6], v5
	global_store_b128 v[1:2], v[3:6], off
.LBB79_868:
	s_and_not1_b32 vcc_lo, exec_lo, s5
	s_cbranch_vccnz .LBB79_870
; %bb.869:
	s_lshr_b32 s5, s2, 16
	v_cvt_f32_f16_e32 v3, s2
	v_cvt_f32_f16_e32 v4, s5
	global_store_b64 v[1:2], v[3:4], off
.LBB79_870:
	s_mov_b32 s5, 0
.LBB79_871:
	s_delay_alu instid0(SALU_CYCLE_1)
	s_and_not1_b32 vcc_lo, exec_lo, s5
	s_cbranch_vccnz .LBB79_873
; %bb.872:
	v_mov_b32_e32 v3, s2
	global_store_b32 v[1:2], v3, off
.LBB79_873:
	s_mov_b32 s5, 0
.LBB79_874:
	s_delay_alu instid0(SALU_CYCLE_1)
	s_and_not1_b32 vcc_lo, exec_lo, s5
	s_cbranch_vccnz .LBB79_883
; %bb.875:
	v_cmp_lt_i16_e64 s5, s4, 6
	s_delay_alu instid0(VALU_DEP_1)
	s_and_b32 vcc_lo, exec_lo, s5
	s_mov_b32 s5, -1
	s_cbranch_vccnz .LBB79_881
; %bb.876:
	v_cmp_gt_i16_e64 s5, s4, 6
	s_delay_alu instid0(VALU_DEP_1)
	s_and_b32 vcc_lo, exec_lo, s5
	s_mov_b32 s5, -1
	s_cbranch_vccz .LBB79_878
; %bb.877:
	v_cvt_f32_f16_e32 v3, s2
	s_mov_b32 s5, 0
	s_delay_alu instid0(VALU_DEP_1)
	v_cvt_f64_f32_e32 v[3:4], v3
	global_store_b64 v[1:2], v[3:4], off
.LBB79_878:
	s_and_not1_b32 vcc_lo, exec_lo, s5
	s_cbranch_vccnz .LBB79_880
; %bb.879:
	v_cvt_f32_f16_e32 v3, s2
	global_store_b32 v[1:2], v3, off
.LBB79_880:
	s_mov_b32 s5, 0
.LBB79_881:
	s_delay_alu instid0(SALU_CYCLE_1)
	s_and_not1_b32 vcc_lo, exec_lo, s5
	s_cbranch_vccnz .LBB79_883
; %bb.882:
	v_mov_b32_e32 v3, s2
	global_store_b16 v[1:2], v3, off
.LBB79_883:
	s_mov_b32 s5, 0
.LBB79_884:
	s_delay_alu instid0(SALU_CYCLE_1)
	s_and_not1_b32 vcc_lo, exec_lo, s5
	s_cbranch_vccnz .LBB79_900
; %bb.885:
	v_cmp_lt_i16_e64 s5, s4, 2
	s_delay_alu instid0(VALU_DEP_1)
	s_and_b32 vcc_lo, exec_lo, s5
	s_mov_b32 s5, -1
	s_cbranch_vccnz .LBB79_895
; %bb.886:
	v_cmp_lt_i16_e64 s5, s4, 3
	s_delay_alu instid0(VALU_DEP_1)
	s_and_b32 vcc_lo, exec_lo, s5
	s_mov_b32 s5, -1
	s_cbranch_vccnz .LBB79_892
; %bb.887:
	v_cmp_gt_i16_e64 s5, s4, 3
	s_delay_alu instid0(VALU_DEP_1)
	s_and_b32 vcc_lo, exec_lo, s5
	s_mov_b32 s5, -1
	s_cbranch_vccz .LBB79_889
; %bb.888:
	v_cvt_f32_f16_e32 v3, s2
	s_mov_b32 s5, 0
	s_delay_alu instid0(VALU_DEP_1) | instskip(NEXT) | instid1(VALU_DEP_1)
	v_cvt_i32_f32_e32 v3, v3
	v_ashrrev_i32_e32 v4, 31, v3
	global_store_b64 v[1:2], v[3:4], off
.LBB79_889:
	s_and_not1_b32 vcc_lo, exec_lo, s5
	s_cbranch_vccnz .LBB79_891
; %bb.890:
	v_cvt_f32_f16_e32 v3, s2
	s_delay_alu instid0(VALU_DEP_1)
	v_cvt_i32_f32_e32 v3, v3
	global_store_b32 v[1:2], v3, off
.LBB79_891:
	s_mov_b32 s5, 0
.LBB79_892:
	s_delay_alu instid0(SALU_CYCLE_1)
	s_and_not1_b32 vcc_lo, exec_lo, s5
	s_cbranch_vccnz .LBB79_894
; %bb.893:
	v_cvt_i16_f16_e32 v3, s2
	global_store_b16 v[1:2], v3, off
.LBB79_894:
	s_mov_b32 s5, 0
.LBB79_895:
	s_delay_alu instid0(SALU_CYCLE_1)
	s_and_not1_b32 vcc_lo, exec_lo, s5
	s_cbranch_vccnz .LBB79_900
; %bb.896:
	v_cmp_gt_i16_e64 s5, s4, 0
	s_delay_alu instid0(VALU_DEP_1)
	s_and_b32 vcc_lo, exec_lo, s5
	s_mov_b32 s5, -1
	s_cbranch_vccz .LBB79_898
; %bb.897:
	v_cvt_i16_f16_e32 v3, s2
	s_mov_b32 s5, 0
	global_store_b8 v[1:2], v3, off
.LBB79_898:
	s_and_not1_b32 vcc_lo, exec_lo, s5
	s_cbranch_vccnz .LBB79_900
; %bb.899:
	v_cvt_f32_f16_e32 v3, s2
	s_delay_alu instid0(VALU_DEP_1)
	v_cvt_i32_f32_e32 v3, v3
	global_store_b8 v[1:2], v3, off
.LBB79_900:
	s_mov_b32 s9, -1
.LBB79_901:
	s_delay_alu instid0(SALU_CYCLE_1)
	s_and_not1_b32 vcc_lo, exec_lo, s9
	s_cbranch_vccnz .LBB79_910
; %bb.902:
	v_cmp_lt_i16_e64 s8, s4, 11
	v_add_co_u32 v0, s0, s0, v0
	s_delay_alu instid0(VALU_DEP_1) | instskip(SKIP_1) | instid1(VALU_DEP_3)
	v_add_co_ci_u32_e64 v1, null, s1, 0, s0
	s_mov_b32 s5, 0
	s_and_b32 vcc_lo, exec_lo, s8
	s_mov_b32 s0, -1
	s_cbranch_vccnz .LBB79_911
; %bb.903:
	v_cmp_gt_i16_e64 s0, s4, 25
	s_mov_b32 s1, -1
	s_delay_alu instid0(VALU_DEP_1)
	s_and_b32 vcc_lo, exec_lo, s0
	s_mov_b32 s0, 0
	s_cbranch_vccz .LBB79_990
; %bb.904:
	v_cmp_gt_i16_e64 s0, s4, 28
	s_delay_alu instid0(VALU_DEP_1)
	s_and_b32 vcc_lo, exec_lo, s0
	s_cbranch_vccz .LBB79_955
; %bb.905:
	v_cmp_gt_i16_e64 s0, s4, 43
	s_delay_alu instid0(VALU_DEP_1)
	s_and_b32 vcc_lo, exec_lo, s0
	;; [unrolled: 5-line block ×3, first 2 shown]
	s_cbranch_vccz .LBB79_959
; %bb.907:
	v_cmp_eq_u16_e64 s0, s4, 46
	s_delay_alu instid0(VALU_DEP_1)
	s_and_b32 vcc_lo, exec_lo, s0
	s_mov_b32 s0, -1
	s_cbranch_vccz .LBB79_909
; %bb.908:
	v_cvt_f32_f16_e32 v3, s2
	s_lshr_b32 s0, s2, 16
	s_delay_alu instid0(SALU_CYCLE_1) | instskip(SKIP_1) | instid1(VALU_DEP_3)
	v_cvt_f32_f16_e32 v2, s0
	v_cmp_o_f16_e64 vcc_lo, s0, s0
	v_bfe_u32 v5, v3, 16, 1
	s_mov_b32 s0, 0
	s_delay_alu instid0(VALU_DEP_3) | instskip(NEXT) | instid1(VALU_DEP_2)
	v_bfe_u32 v4, v2, 16, 1
	v_add_nc_u32_e32 v3, v3, v5
	s_delay_alu instid0(VALU_DEP_1) | instskip(NEXT) | instid1(VALU_DEP_1)
	v_add_nc_u32_e32 v3, 0x7fff, v3
	v_lshrrev_b32_e32 v3, 16, v3
	s_delay_alu instid0(VALU_DEP_4) | instskip(NEXT) | instid1(VALU_DEP_1)
	v_add_nc_u32_e32 v2, v2, v4
	v_add_nc_u32_e32 v2, 0x7fff, v2
	s_delay_alu instid0(VALU_DEP_1) | instskip(NEXT) | instid1(VALU_DEP_1)
	v_and_b32_e32 v2, 0xffff0000, v2
	v_cndmask_b32_e32 v2, 0x7fc00000, v2, vcc_lo
	v_cmp_o_f16_e64 vcc_lo, s2, s2
	v_cndmask_b32_e32 v3, 0x7fc0, v3, vcc_lo
	s_delay_alu instid0(VALU_DEP_1)
	v_or_b32_e32 v2, v2, v3
	global_store_b32 v[0:1], v2, off
.LBB79_909:
	s_mov_b32 s1, 0
	s_branch .LBB79_960
.LBB79_910:
	s_mov_b32 s0, 0
	s_mov_b32 s5, 0
                                        ; implicit-def: $sgpr4
                                        ; implicit-def: $vgpr0_vgpr1
.LBB79_911:
	s_and_b32 s8, s0, exec_lo
	s_and_not1_b32 s0, s6, exec_lo
	s_and_b32 s1, s3, exec_lo
	s_and_b32 s3, s5, exec_lo
	s_or_b32 s6, s0, s1
.LBB79_912:
	s_or_b32 exec_lo, exec_lo, s7
	s_and_saveexec_b32 s0, s6
	s_cbranch_execz .LBB79_915
; %bb.913:
	; divergent unreachable
	s_or_b32 exec_lo, exec_lo, s0
	s_and_saveexec_b32 s0, s3
	s_delay_alu instid0(SALU_CYCLE_1)
	s_xor_b32 s0, exec_lo, s0
	s_cbranch_execnz .LBB79_916
.LBB79_914:
	s_or_b32 exec_lo, exec_lo, s0
	s_and_saveexec_b32 s0, s8
	s_cbranch_execnz .LBB79_917
	s_branch .LBB79_954
.LBB79_915:
	s_or_b32 exec_lo, exec_lo, s0
	s_and_saveexec_b32 s0, s3
	s_delay_alu instid0(SALU_CYCLE_1)
	s_xor_b32 s0, exec_lo, s0
	s_cbranch_execz .LBB79_914
.LBB79_916:
	s_and_b32 s1, s2, 0x7fff7fff
	s_delay_alu instid0(SALU_CYCLE_1) | instskip(SKIP_1) | instid1(SALU_CYCLE_1)
	s_cmp_lg_u32 s1, 0
	s_cselect_b32 s1, -1, 0
	v_cndmask_b32_e64 v2, 0, 1, s1
	global_store_b8 v[0:1], v2, off
	s_or_b32 exec_lo, exec_lo, s0
	s_and_saveexec_b32 s0, s8
	s_cbranch_execz .LBB79_954
.LBB79_917:
	v_cmp_lt_i16_e64 s0, s4, 5
	s_delay_alu instid0(VALU_DEP_1)
	s_and_b32 vcc_lo, exec_lo, s0
	s_mov_b32 s0, -1
	s_cbranch_vccnz .LBB79_938
; %bb.918:
	v_cmp_lt_i16_e64 s0, s4, 8
	s_delay_alu instid0(VALU_DEP_1)
	s_and_b32 vcc_lo, exec_lo, s0
	s_mov_b32 s0, -1
	s_cbranch_vccnz .LBB79_928
; %bb.919:
	;; [unrolled: 6-line block ×3, first 2 shown]
	v_cmp_gt_i16_e64 s0, s4, 9
	s_delay_alu instid0(VALU_DEP_1)
	s_and_b32 vcc_lo, exec_lo, s0
	s_mov_b32 s0, -1
	s_cbranch_vccz .LBB79_922
; %bb.921:
	s_lshr_b32 s0, s2, 16
	v_cvt_f32_f16_e32 v2, s2
	v_cvt_f32_f16_e32 v4, s0
	s_mov_b32 s0, 0
	s_delay_alu instid0(VALU_DEP_2) | instskip(NEXT) | instid1(VALU_DEP_2)
	v_cvt_f64_f32_e32 v[2:3], v2
	v_cvt_f64_f32_e32 v[4:5], v4
	global_store_b128 v[0:1], v[2:5], off
.LBB79_922:
	s_and_not1_b32 vcc_lo, exec_lo, s0
	s_cbranch_vccnz .LBB79_924
; %bb.923:
	s_lshr_b32 s0, s2, 16
	v_cvt_f32_f16_e32 v2, s2
	v_cvt_f32_f16_e32 v3, s0
	global_store_b64 v[0:1], v[2:3], off
.LBB79_924:
	s_mov_b32 s0, 0
.LBB79_925:
	s_delay_alu instid0(SALU_CYCLE_1)
	s_and_not1_b32 vcc_lo, exec_lo, s0
	s_cbranch_vccnz .LBB79_927
; %bb.926:
	v_mov_b32_e32 v2, s2
	global_store_b32 v[0:1], v2, off
.LBB79_927:
	s_mov_b32 s0, 0
.LBB79_928:
	s_delay_alu instid0(SALU_CYCLE_1)
	s_and_not1_b32 vcc_lo, exec_lo, s0
	s_cbranch_vccnz .LBB79_937
; %bb.929:
	v_cmp_lt_i16_e64 s0, s4, 6
	s_delay_alu instid0(VALU_DEP_1)
	s_and_b32 vcc_lo, exec_lo, s0
	s_mov_b32 s0, -1
	s_cbranch_vccnz .LBB79_935
; %bb.930:
	v_cmp_gt_i16_e64 s0, s4, 6
	s_delay_alu instid0(VALU_DEP_1)
	s_and_b32 vcc_lo, exec_lo, s0
	s_mov_b32 s0, -1
	s_cbranch_vccz .LBB79_932
; %bb.931:
	v_cvt_f32_f16_e32 v2, s2
	s_mov_b32 s0, 0
	s_delay_alu instid0(VALU_DEP_1)
	v_cvt_f64_f32_e32 v[2:3], v2
	global_store_b64 v[0:1], v[2:3], off
.LBB79_932:
	s_and_not1_b32 vcc_lo, exec_lo, s0
	s_cbranch_vccnz .LBB79_934
; %bb.933:
	v_cvt_f32_f16_e32 v2, s2
	global_store_b32 v[0:1], v2, off
.LBB79_934:
	s_mov_b32 s0, 0
.LBB79_935:
	s_delay_alu instid0(SALU_CYCLE_1)
	s_and_not1_b32 vcc_lo, exec_lo, s0
	s_cbranch_vccnz .LBB79_937
; %bb.936:
	v_mov_b32_e32 v2, s2
	global_store_b16 v[0:1], v2, off
.LBB79_937:
	s_mov_b32 s0, 0
.LBB79_938:
	s_delay_alu instid0(SALU_CYCLE_1)
	s_and_not1_b32 vcc_lo, exec_lo, s0
	s_cbranch_vccnz .LBB79_954
; %bb.939:
	v_cmp_lt_i16_e64 s0, s4, 2
	s_delay_alu instid0(VALU_DEP_1)
	s_and_b32 vcc_lo, exec_lo, s0
	s_mov_b32 s0, -1
	s_cbranch_vccnz .LBB79_949
; %bb.940:
	v_cmp_lt_i16_e64 s0, s4, 3
	s_delay_alu instid0(VALU_DEP_1)
	s_and_b32 vcc_lo, exec_lo, s0
	s_mov_b32 s0, -1
	s_cbranch_vccnz .LBB79_946
; %bb.941:
	v_cmp_gt_i16_e64 s0, s4, 3
	s_delay_alu instid0(VALU_DEP_1)
	s_and_b32 vcc_lo, exec_lo, s0
	s_mov_b32 s0, -1
	s_cbranch_vccz .LBB79_943
; %bb.942:
	v_cvt_f32_f16_e32 v2, s2
	s_mov_b32 s0, 0
	s_delay_alu instid0(VALU_DEP_1) | instskip(NEXT) | instid1(VALU_DEP_1)
	v_cvt_i32_f32_e32 v2, v2
	v_ashrrev_i32_e32 v3, 31, v2
	global_store_b64 v[0:1], v[2:3], off
.LBB79_943:
	s_and_not1_b32 vcc_lo, exec_lo, s0
	s_cbranch_vccnz .LBB79_945
; %bb.944:
	v_cvt_f32_f16_e32 v2, s2
	s_delay_alu instid0(VALU_DEP_1)
	v_cvt_i32_f32_e32 v2, v2
	global_store_b32 v[0:1], v2, off
.LBB79_945:
	s_mov_b32 s0, 0
.LBB79_946:
	s_delay_alu instid0(SALU_CYCLE_1)
	s_and_not1_b32 vcc_lo, exec_lo, s0
	s_cbranch_vccnz .LBB79_948
; %bb.947:
	v_cvt_i16_f16_e32 v2, s2
	global_store_b16 v[0:1], v2, off
.LBB79_948:
	s_mov_b32 s0, 0
.LBB79_949:
	s_delay_alu instid0(SALU_CYCLE_1)
	s_and_not1_b32 vcc_lo, exec_lo, s0
	s_cbranch_vccnz .LBB79_954
; %bb.950:
	v_cmp_gt_i16_e64 s0, s4, 0
	s_delay_alu instid0(VALU_DEP_1)
	s_and_b32 vcc_lo, exec_lo, s0
	s_mov_b32 s0, -1
	s_cbranch_vccz .LBB79_952
; %bb.951:
	v_cvt_i16_f16_e32 v2, s2
	s_mov_b32 s0, 0
	global_store_b8 v[0:1], v2, off
.LBB79_952:
	s_and_not1_b32 vcc_lo, exec_lo, s0
	s_cbranch_vccnz .LBB79_954
; %bb.953:
	v_cvt_f32_f16_e32 v2, s2
	s_delay_alu instid0(VALU_DEP_1)
	v_cvt_i32_f32_e32 v2, v2
	global_store_b8 v[0:1], v2, off
	s_nop 0
	s_sendmsg sendmsg(MSG_DEALLOC_VGPRS)
	s_endpgm
.LBB79_954:
	s_nop 0
	s_sendmsg sendmsg(MSG_DEALLOC_VGPRS)
	s_endpgm
.LBB79_955:
	s_mov_b32 s0, 0
	s_branch .LBB79_970
.LBB79_956:
	s_mov_b32 s0, 0
	s_branch .LBB79_966
.LBB79_957:
	s_cbranch_execnz .LBB79_981
; %bb.958:
	s_or_b32 s3, s3, exec_lo
	s_cbranch_execz .LBB79_860
	s_branch .LBB79_861
.LBB79_959:
	s_mov_b32 s0, 0
.LBB79_960:
	s_and_b32 vcc_lo, exec_lo, s1
	s_cbranch_vccz .LBB79_965
; %bb.961:
	v_cmp_eq_u16_e64 s0, s4, 44
	s_delay_alu instid0(VALU_DEP_1)
	s_and_b32 vcc_lo, exec_lo, s0
	s_mov_b32 s0, -1
	s_cbranch_vccz .LBB79_965
; %bb.962:
	v_cvt_f32_f16_e32 v2, s2
	v_mov_b32_e32 v3, 0xff
	s_delay_alu instid0(VALU_DEP_2) | instskip(NEXT) | instid1(VALU_DEP_1)
	v_readfirstlane_b32 s0, v2
	s_bfe_u32 s1, s0, 0x80017
	s_delay_alu instid0(SALU_CYCLE_1)
	s_cmpk_eq_i32 s1, 0xff
	s_cbranch_scc1 .LBB79_964
; %bb.963:
	s_bitcmp1_b32 s0, 22
	v_lshrrev_b32_e32 v2, 23, v2
	s_cselect_b32 s8, -1, 0
	s_and_b32 s0, s0, 0x3fffff
	s_delay_alu instid0(SALU_CYCLE_1) | instskip(NEXT) | instid1(SALU_CYCLE_1)
	s_or_b32 s0, s1, s0
	s_cmp_lg_u32 s0, 0
	s_cselect_b32 s0, -1, 0
	s_delay_alu instid0(SALU_CYCLE_1) | instskip(NEXT) | instid1(SALU_CYCLE_1)
	s_and_b32 s0, s8, s0
	v_cndmask_b32_e64 v3, 0, 1, s0
	s_delay_alu instid0(VALU_DEP_1)
	v_add_nc_u32_e32 v3, v2, v3
.LBB79_964:
	s_mov_b32 s0, 0
	global_store_b8 v[0:1], v3, off
.LBB79_965:
	s_mov_b32 s1, 0
.LBB79_966:
	s_delay_alu instid0(SALU_CYCLE_1)
	s_and_b32 vcc_lo, exec_lo, s1
	s_cbranch_vccz .LBB79_969
; %bb.967:
	v_cmp_eq_u16_e64 s0, s4, 29
	s_delay_alu instid0(VALU_DEP_1)
	s_and_b32 vcc_lo, exec_lo, s0
	s_mov_b32 s0, -1
	s_cbranch_vccz .LBB79_969
; %bb.968:
	v_cvt_f32_f16_e32 v2, s2
	v_mov_b32_e32 v3, 0
	s_mov_b32 s0, 0
	s_delay_alu instid0(VALU_DEP_2)
	v_cvt_u32_f32_e32 v2, v2
	global_store_b64 v[0:1], v[2:3], off
.LBB79_969:
	s_mov_b32 s1, 0
.LBB79_970:
	s_delay_alu instid0(SALU_CYCLE_1)
	s_and_b32 vcc_lo, exec_lo, s1
	s_cbranch_vccz .LBB79_989
; %bb.971:
	v_cmp_lt_i16_e64 s1, s4, 27
	s_delay_alu instid0(VALU_DEP_1)
	s_and_b32 vcc_lo, exec_lo, s1
	s_mov_b32 s1, -1
	s_cbranch_vccnz .LBB79_977
; %bb.972:
	v_cmp_gt_i16_e64 s1, s4, 27
	s_delay_alu instid0(VALU_DEP_1)
	s_and_b32 vcc_lo, exec_lo, s1
	s_mov_b32 s1, -1
	s_cbranch_vccz .LBB79_974
; %bb.973:
	v_cvt_f32_f16_e32 v2, s2
	s_mov_b32 s1, 0
	s_delay_alu instid0(VALU_DEP_1)
	v_cvt_u32_f32_e32 v2, v2
	global_store_b32 v[0:1], v2, off
.LBB79_974:
	s_and_not1_b32 vcc_lo, exec_lo, s1
	s_cbranch_vccnz .LBB79_976
; %bb.975:
	v_cvt_u16_f16_e32 v2, s2
	global_store_b16 v[0:1], v2, off
.LBB79_976:
	s_mov_b32 s1, 0
.LBB79_977:
	s_delay_alu instid0(SALU_CYCLE_1)
	s_and_not1_b32 vcc_lo, exec_lo, s1
	s_cbranch_vccnz .LBB79_989
; %bb.978:
	v_cvt_f32_f16_e32 v2, s2
	v_mov_b32_e32 v3, 0x80
	s_delay_alu instid0(VALU_DEP_2) | instskip(NEXT) | instid1(VALU_DEP_1)
	v_readfirstlane_b32 s1, v2
	s_and_b32 s8, s1, 0x7fffffff
	s_delay_alu instid0(SALU_CYCLE_1)
	s_cmp_gt_u32 s8, 0x437fffff
	s_cbranch_scc1 .LBB79_988
; %bb.979:
	s_cmp_gt_u32 s8, 0x3bffffff
	s_cbranch_scc0 .LBB79_983
; %bb.980:
	s_bfe_u32 s8, s1, 0x10014
	s_mov_b32 s9, 0
	s_add_i32 s8, s1, s8
	s_delay_alu instid0(SALU_CYCLE_1) | instskip(NEXT) | instid1(SALU_CYCLE_1)
	s_add_i32 s8, s8, 0x487ffff
	s_lshr_b32 s10, s8, 20
	s_mov_b32 s8, -1
	s_branch .LBB79_984
.LBB79_981:
	s_trap 2
	s_sendmsg_rtn_b32 s0, sendmsg(MSG_RTN_GET_DOORBELL)
	s_mov_b32 ttmp2, m0
	s_waitcnt lgkmcnt(0)
	s_and_b32 s0, s0, 0x3ff
	s_delay_alu instid0(SALU_CYCLE_1) | instskip(NEXT) | instid1(SALU_CYCLE_1)
	s_bitset1_b32 s0, 10
	s_mov_b32 m0, s0
	s_sendmsg sendmsg(MSG_INTERRUPT)
	s_mov_b32 m0, ttmp2
.LBB79_982:                             ; =>This Inner Loop Header: Depth=1
	s_sethalt 5
	s_branch .LBB79_982
.LBB79_983:
	s_mov_b32 s9, -1
	s_mov_b32 s8, 0
                                        ; implicit-def: $sgpr10
.LBB79_984:
	v_mov_b32_e32 v2, s10
	s_and_not1_b32 vcc_lo, exec_lo, s9
                                        ; implicit-def: $sgpr9
	s_cbranch_vccnz .LBB79_986
; %bb.985:
	v_add_f32_e64 v2, 0x46000000, |s1|
	s_mov_b32 s9, 0
	s_delay_alu instid0(VALU_DEP_1) | instskip(NEXT) | instid1(VALU_DEP_1)
	v_and_b32_e32 v2, 0xff, v2
	v_cmp_ne_u32_e64 s8, 0, v2
.LBB79_986:
	v_mov_b32_e32 v3, s9
	s_delay_alu instid0(VALU_DEP_2)
	s_and_not1_b32 vcc_lo, exec_lo, s8
	s_cbranch_vccnz .LBB79_988
; %bb.987:
	s_lshr_b32 s1, s1, 24
	s_delay_alu instid0(SALU_CYCLE_1) | instskip(NEXT) | instid1(SALU_CYCLE_1)
	s_and_b32 s1, s1, 0x80
	v_or_b32_e32 v3, s1, v2
.LBB79_988:
	global_store_b8 v[0:1], v3, off
.LBB79_989:
	s_mov_b32 s1, 0
.LBB79_990:
	s_delay_alu instid0(SALU_CYCLE_1)
	s_and_b32 vcc_lo, exec_lo, s1
	s_cbranch_vccz .LBB79_1036
; %bb.991:
	v_cmp_gt_i16_e64 s1, s4, 22
	s_delay_alu instid0(VALU_DEP_1)
	s_and_b32 vcc_lo, exec_lo, s1
	s_mov_b32 s1, -1
	s_cbranch_vccz .LBB79_1029
; %bb.992:
	v_cmp_lt_i16_e64 s1, s4, 24
	s_delay_alu instid0(VALU_DEP_1)
	s_and_b32 vcc_lo, exec_lo, s1
	s_mov_b32 s1, -1
	s_cbranch_vccnz .LBB79_1016
; %bb.993:
	v_cmp_gt_i16_e64 s1, s4, 24
	s_delay_alu instid0(VALU_DEP_1)
	s_and_b32 vcc_lo, exec_lo, s1
	s_mov_b32 s1, -1
	s_cbranch_vccz .LBB79_1003
; %bb.994:
	v_cvt_f32_f16_e32 v2, s2
	v_mov_b32_e32 v3, 0x80
	s_delay_alu instid0(VALU_DEP_2) | instskip(NEXT) | instid1(VALU_DEP_1)
	v_readfirstlane_b32 s1, v2
	s_and_b32 s5, s1, 0x7fffffff
	s_delay_alu instid0(SALU_CYCLE_1)
	s_cmp_gt_u32 s5, 0x477fffff
	s_cbranch_scc1 .LBB79_1002
; %bb.995:
	s_cmp_gt_u32 s5, 0x37ffffff
	s_cbranch_scc0 .LBB79_997
; %bb.996:
	s_bfe_u32 s5, s1, 0x10015
	s_mov_b32 s8, 0
	s_add_i32 s5, s1, s5
	s_delay_alu instid0(SALU_CYCLE_1) | instskip(NEXT) | instid1(SALU_CYCLE_1)
	s_add_i32 s5, s5, 0x88fffff
	s_lshr_b32 s9, s5, 21
	s_mov_b32 s5, -1
	s_branch .LBB79_998
.LBB79_997:
	s_mov_b32 s8, -1
	s_mov_b32 s5, 0
                                        ; implicit-def: $sgpr9
.LBB79_998:
	v_mov_b32_e32 v2, s9
	s_and_not1_b32 vcc_lo, exec_lo, s8
                                        ; implicit-def: $sgpr8
	s_cbranch_vccnz .LBB79_1000
; %bb.999:
	v_add_f32_e64 v2, 0x42800000, |s1|
	s_mov_b32 s8, 0
	s_delay_alu instid0(VALU_DEP_1) | instskip(NEXT) | instid1(VALU_DEP_1)
	v_and_b32_e32 v2, 0xff, v2
	v_cmp_ne_u32_e64 s5, 0, v2
.LBB79_1000:
	v_mov_b32_e32 v3, s8
	s_delay_alu instid0(VALU_DEP_2)
	s_and_not1_b32 vcc_lo, exec_lo, s5
	s_cbranch_vccnz .LBB79_1002
; %bb.1001:
	s_lshr_b32 s1, s1, 24
	s_delay_alu instid0(SALU_CYCLE_1) | instskip(NEXT) | instid1(SALU_CYCLE_1)
	s_and_b32 s1, s1, 0x80
	v_or_b32_e32 v3, s1, v2
.LBB79_1002:
	s_mov_b32 s1, 0
	global_store_b8 v[0:1], v3, off
.LBB79_1003:
	s_and_b32 vcc_lo, exec_lo, s1
	s_cbranch_vccz .LBB79_1015
; %bb.1004:
	v_cvt_f32_f16_e32 v2, s2
	s_delay_alu instid0(VALU_DEP_1) | instskip(NEXT) | instid1(VALU_DEP_1)
	v_readfirstlane_b32 s1, v2
	s_and_b32 s5, s1, 0x7fffffff
	s_delay_alu instid0(SALU_CYCLE_1)
	s_cmp_lt_u32 s5, 0x43f00000
	s_cbranch_scc0 .LBB79_1007
; %bb.1005:
	s_cmp_gt_u32 s5, 0x3c7fffff
	s_cbranch_scc0 .LBB79_1008
; %bb.1006:
	s_bfe_u32 s8, s1, 0x10014
	s_delay_alu instid0(SALU_CYCLE_1) | instskip(NEXT) | instid1(SALU_CYCLE_1)
	s_add_i32 s8, s1, s8
	s_add_i32 s8, s8, 0x407ffff
	s_delay_alu instid0(SALU_CYCLE_1)
	s_and_b32 s9, s8, 0xff00000
	s_lshr_b32 s8, s8, 20
	s_cmp_lg_u32 s9, 0x7f00000
	s_cselect_b32 s9, s8, 0x7e
	s_mov_b32 s8, 0
	s_branch .LBB79_1009
.LBB79_1007:
	s_mov_b32 s8, -1
                                        ; implicit-def: $vgpr3
	s_branch .LBB79_1012
.LBB79_1008:
	s_mov_b32 s8, -1
                                        ; implicit-def: $sgpr9
.LBB79_1009:
	v_mov_b32_e32 v3, s9
	s_and_not1_b32 vcc_lo, exec_lo, s8
	s_cbranch_vccnz .LBB79_1011
; %bb.1010:
	v_add_f32_e64 v3, 0x46800000, |v2|
.LBB79_1011:
	s_mov_b32 s8, 0
.LBB79_1012:
	s_delay_alu instid0(SALU_CYCLE_1)
	s_and_not1_b32 vcc_lo, exec_lo, s8
	s_cbranch_vccnz .LBB79_1014
; %bb.1013:
	s_cmp_gt_u32 s5, 0x7f800000
	s_movk_i32 s5, 0x7f
	s_delay_alu instid0(SALU_CYCLE_1) | instskip(NEXT) | instid1(SALU_CYCLE_1)
	s_cselect_b32 s5, s5, 0x7e
	v_mov_b32_e32 v3, s5
.LBB79_1014:
	s_lshr_b32 s1, s1, 24
	s_delay_alu instid0(SALU_CYCLE_1)
	s_and_b32 s1, s1, 0x80
	s_delay_alu instid0(VALU_DEP_1) | instid1(SALU_CYCLE_1)
	v_or_b32_e32 v2, s1, v3
	global_store_b8 v[0:1], v2, off
.LBB79_1015:
	s_mov_b32 s1, 0
.LBB79_1016:
	s_delay_alu instid0(SALU_CYCLE_1)
	s_and_not1_b32 vcc_lo, exec_lo, s1
	s_cbranch_vccnz .LBB79_1028
; %bb.1017:
	v_cvt_f32_f16_e32 v2, s2
	s_delay_alu instid0(VALU_DEP_1) | instskip(NEXT) | instid1(VALU_DEP_1)
	v_readfirstlane_b32 s1, v2
	s_and_b32 s5, s1, 0x7fffffff
	s_delay_alu instid0(SALU_CYCLE_1)
	s_cmp_lt_u32 s5, 0x47800000
	s_cbranch_scc0 .LBB79_1020
; %bb.1018:
	s_cmp_gt_u32 s5, 0x387fffff
	s_cbranch_scc0 .LBB79_1021
; %bb.1019:
	s_bfe_u32 s8, s1, 0x10015
	s_delay_alu instid0(SALU_CYCLE_1) | instskip(NEXT) | instid1(SALU_CYCLE_1)
	s_add_i32 s8, s1, s8
	s_add_i32 s8, s8, 0x80fffff
	s_delay_alu instid0(SALU_CYCLE_1)
	s_lshr_b32 s9, s8, 21
	s_mov_b32 s8, 0
	s_branch .LBB79_1022
.LBB79_1020:
	s_mov_b32 s8, -1
                                        ; implicit-def: $vgpr3
	s_branch .LBB79_1025
.LBB79_1021:
	s_mov_b32 s8, -1
                                        ; implicit-def: $sgpr9
.LBB79_1022:
	v_mov_b32_e32 v3, s9
	s_and_not1_b32 vcc_lo, exec_lo, s8
	s_cbranch_vccnz .LBB79_1024
; %bb.1023:
	v_add_f32_e64 v3, 0x43000000, |v2|
.LBB79_1024:
	s_mov_b32 s8, 0
.LBB79_1025:
	s_delay_alu instid0(SALU_CYCLE_1)
	s_and_not1_b32 vcc_lo, exec_lo, s8
	s_cbranch_vccnz .LBB79_1027
; %bb.1026:
	s_cmp_gt_u32 s5, 0x7f800000
	s_movk_i32 s5, 0x7f
	s_delay_alu instid0(SALU_CYCLE_1) | instskip(NEXT) | instid1(SALU_CYCLE_1)
	s_cselect_b32 s5, s5, 0x7c
	v_mov_b32_e32 v3, s5
.LBB79_1027:
	s_lshr_b32 s1, s1, 24
	s_delay_alu instid0(SALU_CYCLE_1)
	s_and_b32 s1, s1, 0x80
	s_delay_alu instid0(VALU_DEP_1) | instid1(SALU_CYCLE_1)
	v_or_b32_e32 v2, s1, v3
	global_store_b8 v[0:1], v2, off
.LBB79_1028:
	s_mov_b32 s1, 0
.LBB79_1029:
	s_delay_alu instid0(SALU_CYCLE_1)
	s_and_not1_b32 vcc_lo, exec_lo, s1
	s_mov_b32 s5, 0
	s_cbranch_vccnz .LBB79_1036
; %bb.1030:
	v_cmp_gt_i16_e64 s1, s4, 14
	s_delay_alu instid0(VALU_DEP_1)
	s_and_b32 vcc_lo, exec_lo, s1
	s_mov_b32 s1, -1
	s_cbranch_vccz .LBB79_1034
; %bb.1031:
	v_cmp_eq_u16_e64 s0, s4, 15
	s_delay_alu instid0(VALU_DEP_1)
	s_and_b32 vcc_lo, exec_lo, s0
	s_mov_b32 s0, -1
	s_cbranch_vccz .LBB79_1033
; %bb.1032:
	v_cvt_f32_f16_e32 v2, s2
	v_cmp_o_f16_e64 vcc_lo, s2, s2
	s_mov_b32 s0, 0
	s_delay_alu instid0(VALU_DEP_2) | instskip(NEXT) | instid1(VALU_DEP_1)
	v_bfe_u32 v3, v2, 16, 1
	v_add_nc_u32_e32 v2, v2, v3
	s_delay_alu instid0(VALU_DEP_1) | instskip(NEXT) | instid1(VALU_DEP_1)
	v_add_nc_u32_e32 v2, 0x7fff, v2
	v_lshrrev_b32_e32 v2, 16, v2
	s_delay_alu instid0(VALU_DEP_1)
	v_cndmask_b32_e32 v2, 0x7fc0, v2, vcc_lo
	global_store_b16 v[0:1], v2, off
.LBB79_1033:
	s_mov_b32 s1, 0
.LBB79_1034:
	s_delay_alu instid0(SALU_CYCLE_1)
	s_and_b32 vcc_lo, exec_lo, s1
	s_cbranch_vccz .LBB79_1036
; %bb.1035:
	v_cmp_ne_u16_e64 s0, s4, 11
	s_mov_b32 s5, -1
.LBB79_1036:
	s_delay_alu instid0(VALU_DEP_1)
	s_and_b32 vcc_lo, exec_lo, s0
	s_cbranch_vccnz .LBB79_1038
.LBB79_1037:
	s_mov_b32 s0, 0
	s_branch .LBB79_911
.LBB79_1038:
	s_cbranch_execnz .LBB79_1040
; %bb.1039:
	s_mov_b32 s5, 0
	s_or_b32 s3, s3, exec_lo
	s_branch .LBB79_1037
.LBB79_1040:
	s_trap 2
	s_sendmsg_rtn_b32 s0, sendmsg(MSG_RTN_GET_DOORBELL)
	s_mov_b32 ttmp2, m0
	s_waitcnt lgkmcnt(0)
	s_and_b32 s0, s0, 0x3ff
	s_delay_alu instid0(SALU_CYCLE_1) | instskip(NEXT) | instid1(SALU_CYCLE_1)
	s_bitset1_b32 s0, 10
	s_mov_b32 m0, s0
	s_sendmsg sendmsg(MSG_INTERRUPT)
	s_mov_b32 m0, ttmp2
.LBB79_1041:                            ; =>This Inner Loop Header: Depth=1
	s_sethalt 5
	s_branch .LBB79_1041
	.section	.rodata,"a",@progbits
	.p2align	6, 0x0
	.amdhsa_kernel _ZN2at6native32elementwise_kernel_manual_unrollILi128ELi4EZNS0_15gpu_kernel_implINS0_11FillFunctorIN3c107complexINS4_4HalfEEEEEEEvRNS_18TensorIteratorBaseERKT_EUlibE0_EEviT1_
		.amdhsa_group_segment_fixed_size 0
		.amdhsa_private_segment_fixed_size 0
		.amdhsa_kernarg_size 288
		.amdhsa_user_sgpr_count 15
		.amdhsa_user_sgpr_dispatch_ptr 0
		.amdhsa_user_sgpr_queue_ptr 0
		.amdhsa_user_sgpr_kernarg_segment_ptr 1
		.amdhsa_user_sgpr_dispatch_id 0
		.amdhsa_user_sgpr_private_segment_size 0
		.amdhsa_wavefront_size32 1
		.amdhsa_uses_dynamic_stack 0
		.amdhsa_enable_private_segment 0
		.amdhsa_system_sgpr_workgroup_id_x 1
		.amdhsa_system_sgpr_workgroup_id_y 0
		.amdhsa_system_sgpr_workgroup_id_z 0
		.amdhsa_system_sgpr_workgroup_info 0
		.amdhsa_system_vgpr_workitem_id 0
		.amdhsa_next_free_vgpr 29
		.amdhsa_next_free_sgpr 76
		.amdhsa_reserve_vcc 1
		.amdhsa_float_round_mode_32 0
		.amdhsa_float_round_mode_16_64 0
		.amdhsa_float_denorm_mode_32 3
		.amdhsa_float_denorm_mode_16_64 3
		.amdhsa_dx10_clamp 1
		.amdhsa_ieee_mode 1
		.amdhsa_fp16_overflow 0
		.amdhsa_workgroup_processor_mode 1
		.amdhsa_memory_ordered 1
		.amdhsa_forward_progress 0
		.amdhsa_shared_vgpr_count 0
		.amdhsa_exception_fp_ieee_invalid_op 0
		.amdhsa_exception_fp_denorm_src 0
		.amdhsa_exception_fp_ieee_div_zero 0
		.amdhsa_exception_fp_ieee_overflow 0
		.amdhsa_exception_fp_ieee_underflow 0
		.amdhsa_exception_fp_ieee_inexact 0
		.amdhsa_exception_int_div_zero 0
	.end_amdhsa_kernel
	.section	.text._ZN2at6native32elementwise_kernel_manual_unrollILi128ELi4EZNS0_15gpu_kernel_implINS0_11FillFunctorIN3c107complexINS4_4HalfEEEEEEEvRNS_18TensorIteratorBaseERKT_EUlibE0_EEviT1_,"axG",@progbits,_ZN2at6native32elementwise_kernel_manual_unrollILi128ELi4EZNS0_15gpu_kernel_implINS0_11FillFunctorIN3c107complexINS4_4HalfEEEEEEEvRNS_18TensorIteratorBaseERKT_EUlibE0_EEviT1_,comdat
.Lfunc_end79:
	.size	_ZN2at6native32elementwise_kernel_manual_unrollILi128ELi4EZNS0_15gpu_kernel_implINS0_11FillFunctorIN3c107complexINS4_4HalfEEEEEEEvRNS_18TensorIteratorBaseERKT_EUlibE0_EEviT1_, .Lfunc_end79-_ZN2at6native32elementwise_kernel_manual_unrollILi128ELi4EZNS0_15gpu_kernel_implINS0_11FillFunctorIN3c107complexINS4_4HalfEEEEEEEvRNS_18TensorIteratorBaseERKT_EUlibE0_EEviT1_
                                        ; -- End function
	.section	.AMDGPU.csdata,"",@progbits
; Kernel info:
; codeLenInByte = 21012
; NumSgprs: 78
; NumVgprs: 29
; ScratchSize: 0
; MemoryBound: 0
; FloatMode: 240
; IeeeMode: 1
; LDSByteSize: 0 bytes/workgroup (compile time only)
; SGPRBlocks: 9
; VGPRBlocks: 3
; NumSGPRsForWavesPerEU: 78
; NumVGPRsForWavesPerEU: 29
; Occupancy: 16
; WaveLimiterHint : 1
; COMPUTE_PGM_RSRC2:SCRATCH_EN: 0
; COMPUTE_PGM_RSRC2:USER_SGPR: 15
; COMPUTE_PGM_RSRC2:TRAP_HANDLER: 0
; COMPUTE_PGM_RSRC2:TGID_X_EN: 1
; COMPUTE_PGM_RSRC2:TGID_Y_EN: 0
; COMPUTE_PGM_RSRC2:TGID_Z_EN: 0
; COMPUTE_PGM_RSRC2:TIDIG_COMP_CNT: 0
	.section	.text._ZN2at6native29vectorized_elementwise_kernelILi16ENS0_11FillFunctorIN3c107complexINS3_8BFloat16EEEEESt5arrayIPcLm1EEEEviT0_T1_,"axG",@progbits,_ZN2at6native29vectorized_elementwise_kernelILi16ENS0_11FillFunctorIN3c107complexINS3_8BFloat16EEEEESt5arrayIPcLm1EEEEviT0_T1_,comdat
	.protected	_ZN2at6native29vectorized_elementwise_kernelILi16ENS0_11FillFunctorIN3c107complexINS3_8BFloat16EEEEESt5arrayIPcLm1EEEEviT0_T1_ ; -- Begin function _ZN2at6native29vectorized_elementwise_kernelILi16ENS0_11FillFunctorIN3c107complexINS3_8BFloat16EEEEESt5arrayIPcLm1EEEEviT0_T1_
	.globl	_ZN2at6native29vectorized_elementwise_kernelILi16ENS0_11FillFunctorIN3c107complexINS3_8BFloat16EEEEESt5arrayIPcLm1EEEEviT0_T1_
	.p2align	8
	.type	_ZN2at6native29vectorized_elementwise_kernelILi16ENS0_11FillFunctorIN3c107complexINS3_8BFloat16EEEEESt5arrayIPcLm1EEEEviT0_T1_,@function
_ZN2at6native29vectorized_elementwise_kernelILi16ENS0_11FillFunctorIN3c107complexINS3_8BFloat16EEEEESt5arrayIPcLm1EEEEviT0_T1_: ; @_ZN2at6native29vectorized_elementwise_kernelILi16ENS0_11FillFunctorIN3c107complexINS3_8BFloat16EEEEESt5arrayIPcLm1EEEEviT0_T1_
; %bb.0:
	s_load_b128 s[0:3], s[0:1], 0x0
	s_lshl_b32 s4, s15, 10
	s_waitcnt lgkmcnt(0)
	s_sub_i32 s6, s0, s4
	s_delay_alu instid0(SALU_CYCLE_1)
	s_cmpk_gt_i32 s6, 0x3ff
	s_cbranch_scc0 .LBB80_4
; %bb.1:
	s_ashr_i32 s5, s4, 31
	v_dual_mov_b32 v3, s1 :: v_dual_lshlrev_b32 v6, 4, v0
	s_lshl_b64 s[8:9], s[4:5], 2
	v_dual_mov_b32 v4, s1 :: v_dual_mov_b32 v5, s1
	s_add_u32 s8, s2, s8
	s_addc_u32 s9, s3, s9
	v_add_co_u32 v1, s0, s8, v6
	s_delay_alu instid0(VALU_DEP_1) | instskip(NEXT) | instid1(VALU_DEP_2)
	v_add_co_ci_u32_e64 v2, null, s9, 0, s0
	v_add_co_u32 v1, vcc_lo, v1, 12
	s_delay_alu instid0(VALU_DEP_2)
	v_add_co_ci_u32_e32 v2, vcc_lo, 0, v2, vcc_lo
	s_mov_b32 s0, -1
	global_store_b96 v6, v[3:5], s[8:9]
	s_cbranch_execz .LBB80_5
; %bb.2:
	s_and_saveexec_b32 s2, s0
	s_cbranch_execz .LBB80_12
.LBB80_3:
	v_mov_b32_e32 v0, s1
	global_store_b32 v[1:2], v0, off
	s_nop 0
	s_sendmsg sendmsg(MSG_DEALLOC_VGPRS)
	s_endpgm
.LBB80_4:
	s_mov_b32 s0, 0
                                        ; implicit-def: $vgpr1_vgpr2
.LBB80_5:
	s_mov_b32 s5, exec_lo
	v_cmpx_gt_i32_e64 s6, v0
	s_cbranch_execz .LBB80_13
; %bb.6:
	v_or_b32_e32 v1, s4, v0
	v_dual_mov_b32 v2, 0 :: v_dual_mov_b32 v3, s1
	v_or_b32_e32 v0, 0x100, v0
	s_delay_alu instid0(VALU_DEP_2) | instskip(NEXT) | instid1(VALU_DEP_1)
	v_lshlrev_b64 v[1:2], 2, v[1:2]
	v_add_co_u32 v1, vcc_lo, s2, v1
	s_delay_alu instid0(VALU_DEP_2) | instskip(SKIP_2) | instid1(SALU_CYCLE_1)
	v_add_co_ci_u32_e32 v2, vcc_lo, s3, v2, vcc_lo
	global_store_b32 v[1:2], v3, off
	s_or_b32 exec_lo, exec_lo, s5
	s_mov_b32 s5, exec_lo
	v_cmpx_gt_i32_e64 s6, v0
	s_cbranch_execnz .LBB80_14
.LBB80_7:
	s_or_b32 exec_lo, exec_lo, s5
	s_delay_alu instid0(SALU_CYCLE_1)
	s_mov_b32 s5, exec_lo
	v_cmpx_gt_i32_e64 s6, v0
	s_cbranch_execz .LBB80_9
.LBB80_8:
	v_dual_mov_b32 v2, 0 :: v_dual_add_nc_u32 v1, s4, v0
	v_dual_mov_b32 v3, s1 :: v_dual_add_nc_u32 v0, 0x100, v0
	s_delay_alu instid0(VALU_DEP_2) | instskip(NEXT) | instid1(VALU_DEP_1)
	v_lshlrev_b64 v[1:2], 2, v[1:2]
	v_add_co_u32 v1, vcc_lo, s2, v1
	s_delay_alu instid0(VALU_DEP_2)
	v_add_co_ci_u32_e32 v2, vcc_lo, s3, v2, vcc_lo
	global_store_b32 v[1:2], v3, off
.LBB80_9:
	s_or_b32 exec_lo, exec_lo, s5
	s_delay_alu instid0(SALU_CYCLE_1)
	s_mov_b32 s5, exec_lo
                                        ; implicit-def: $vgpr1_vgpr2
	v_cmpx_gt_i32_e64 s6, v0
; %bb.10:
	v_dual_mov_b32 v1, 0 :: v_dual_add_nc_u32 v0, s4, v0
	s_or_b32 s0, s0, exec_lo
	s_delay_alu instid0(VALU_DEP_1) | instskip(NEXT) | instid1(VALU_DEP_1)
	v_lshlrev_b64 v[1:2], 2, v[0:1]
	v_add_co_u32 v1, vcc_lo, s2, v1
	s_delay_alu instid0(VALU_DEP_2)
	v_add_co_ci_u32_e32 v2, vcc_lo, s3, v2, vcc_lo
; %bb.11:
	s_or_b32 exec_lo, exec_lo, s5
	s_and_saveexec_b32 s2, s0
	s_cbranch_execnz .LBB80_3
.LBB80_12:
	s_nop 0
	s_sendmsg sendmsg(MSG_DEALLOC_VGPRS)
	s_endpgm
.LBB80_13:
	s_or_b32 exec_lo, exec_lo, s5
	s_delay_alu instid0(SALU_CYCLE_1)
	s_mov_b32 s5, exec_lo
	v_cmpx_gt_i32_e64 s6, v0
	s_cbranch_execz .LBB80_7
.LBB80_14:
	v_dual_mov_b32 v2, 0 :: v_dual_add_nc_u32 v1, s4, v0
	v_dual_mov_b32 v3, s1 :: v_dual_add_nc_u32 v0, 0x100, v0
	s_delay_alu instid0(VALU_DEP_2) | instskip(NEXT) | instid1(VALU_DEP_1)
	v_lshlrev_b64 v[1:2], 2, v[1:2]
	v_add_co_u32 v1, vcc_lo, s2, v1
	s_delay_alu instid0(VALU_DEP_2) | instskip(SKIP_2) | instid1(SALU_CYCLE_1)
	v_add_co_ci_u32_e32 v2, vcc_lo, s3, v2, vcc_lo
	global_store_b32 v[1:2], v3, off
	s_or_b32 exec_lo, exec_lo, s5
	s_mov_b32 s5, exec_lo
	v_cmpx_gt_i32_e64 s6, v0
	s_cbranch_execz .LBB80_9
	s_branch .LBB80_8
	.section	.rodata,"a",@progbits
	.p2align	6, 0x0
	.amdhsa_kernel _ZN2at6native29vectorized_elementwise_kernelILi16ENS0_11FillFunctorIN3c107complexINS3_8BFloat16EEEEESt5arrayIPcLm1EEEEviT0_T1_
		.amdhsa_group_segment_fixed_size 0
		.amdhsa_private_segment_fixed_size 0
		.amdhsa_kernarg_size 16
		.amdhsa_user_sgpr_count 15
		.amdhsa_user_sgpr_dispatch_ptr 0
		.amdhsa_user_sgpr_queue_ptr 0
		.amdhsa_user_sgpr_kernarg_segment_ptr 1
		.amdhsa_user_sgpr_dispatch_id 0
		.amdhsa_user_sgpr_private_segment_size 0
		.amdhsa_wavefront_size32 1
		.amdhsa_uses_dynamic_stack 0
		.amdhsa_enable_private_segment 0
		.amdhsa_system_sgpr_workgroup_id_x 1
		.amdhsa_system_sgpr_workgroup_id_y 0
		.amdhsa_system_sgpr_workgroup_id_z 0
		.amdhsa_system_sgpr_workgroup_info 0
		.amdhsa_system_vgpr_workitem_id 0
		.amdhsa_next_free_vgpr 7
		.amdhsa_next_free_sgpr 16
		.amdhsa_reserve_vcc 1
		.amdhsa_float_round_mode_32 0
		.amdhsa_float_round_mode_16_64 0
		.amdhsa_float_denorm_mode_32 3
		.amdhsa_float_denorm_mode_16_64 3
		.amdhsa_dx10_clamp 1
		.amdhsa_ieee_mode 1
		.amdhsa_fp16_overflow 0
		.amdhsa_workgroup_processor_mode 1
		.amdhsa_memory_ordered 1
		.amdhsa_forward_progress 0
		.amdhsa_shared_vgpr_count 0
		.amdhsa_exception_fp_ieee_invalid_op 0
		.amdhsa_exception_fp_denorm_src 0
		.amdhsa_exception_fp_ieee_div_zero 0
		.amdhsa_exception_fp_ieee_overflow 0
		.amdhsa_exception_fp_ieee_underflow 0
		.amdhsa_exception_fp_ieee_inexact 0
		.amdhsa_exception_int_div_zero 0
	.end_amdhsa_kernel
	.section	.text._ZN2at6native29vectorized_elementwise_kernelILi16ENS0_11FillFunctorIN3c107complexINS3_8BFloat16EEEEESt5arrayIPcLm1EEEEviT0_T1_,"axG",@progbits,_ZN2at6native29vectorized_elementwise_kernelILi16ENS0_11FillFunctorIN3c107complexINS3_8BFloat16EEEEESt5arrayIPcLm1EEEEviT0_T1_,comdat
.Lfunc_end80:
	.size	_ZN2at6native29vectorized_elementwise_kernelILi16ENS0_11FillFunctorIN3c107complexINS3_8BFloat16EEEEESt5arrayIPcLm1EEEEviT0_T1_, .Lfunc_end80-_ZN2at6native29vectorized_elementwise_kernelILi16ENS0_11FillFunctorIN3c107complexINS3_8BFloat16EEEEESt5arrayIPcLm1EEEEviT0_T1_
                                        ; -- End function
	.section	.AMDGPU.csdata,"",@progbits
; Kernel info:
; codeLenInByte = 512
; NumSgprs: 18
; NumVgprs: 7
; ScratchSize: 0
; MemoryBound: 0
; FloatMode: 240
; IeeeMode: 1
; LDSByteSize: 0 bytes/workgroup (compile time only)
; SGPRBlocks: 2
; VGPRBlocks: 0
; NumSGPRsForWavesPerEU: 18
; NumVGPRsForWavesPerEU: 7
; Occupancy: 16
; WaveLimiterHint : 0
; COMPUTE_PGM_RSRC2:SCRATCH_EN: 0
; COMPUTE_PGM_RSRC2:USER_SGPR: 15
; COMPUTE_PGM_RSRC2:TRAP_HANDLER: 0
; COMPUTE_PGM_RSRC2:TGID_X_EN: 1
; COMPUTE_PGM_RSRC2:TGID_Y_EN: 0
; COMPUTE_PGM_RSRC2:TGID_Z_EN: 0
; COMPUTE_PGM_RSRC2:TIDIG_COMP_CNT: 0
	.section	.text._ZN2at6native29vectorized_elementwise_kernelILi8ENS0_11FillFunctorIN3c107complexINS3_8BFloat16EEEEESt5arrayIPcLm1EEEEviT0_T1_,"axG",@progbits,_ZN2at6native29vectorized_elementwise_kernelILi8ENS0_11FillFunctorIN3c107complexINS3_8BFloat16EEEEESt5arrayIPcLm1EEEEviT0_T1_,comdat
	.protected	_ZN2at6native29vectorized_elementwise_kernelILi8ENS0_11FillFunctorIN3c107complexINS3_8BFloat16EEEEESt5arrayIPcLm1EEEEviT0_T1_ ; -- Begin function _ZN2at6native29vectorized_elementwise_kernelILi8ENS0_11FillFunctorIN3c107complexINS3_8BFloat16EEEEESt5arrayIPcLm1EEEEviT0_T1_
	.globl	_ZN2at6native29vectorized_elementwise_kernelILi8ENS0_11FillFunctorIN3c107complexINS3_8BFloat16EEEEESt5arrayIPcLm1EEEEviT0_T1_
	.p2align	8
	.type	_ZN2at6native29vectorized_elementwise_kernelILi8ENS0_11FillFunctorIN3c107complexINS3_8BFloat16EEEEESt5arrayIPcLm1EEEEviT0_T1_,@function
_ZN2at6native29vectorized_elementwise_kernelILi8ENS0_11FillFunctorIN3c107complexINS3_8BFloat16EEEEESt5arrayIPcLm1EEEEviT0_T1_: ; @_ZN2at6native29vectorized_elementwise_kernelILi8ENS0_11FillFunctorIN3c107complexINS3_8BFloat16EEEEESt5arrayIPcLm1EEEEviT0_T1_
; %bb.0:
	s_load_b128 s[0:3], s[0:1], 0x0
	s_lshl_b32 s4, s15, 10
	s_waitcnt lgkmcnt(0)
	s_sub_i32 s6, s0, s4
	s_delay_alu instid0(SALU_CYCLE_1)
	s_cmpk_gt_i32 s6, 0x3ff
	s_cbranch_scc0 .LBB81_4
; %bb.1:
	s_ashr_i32 s5, s4, 31
	v_dual_mov_b32 v3, s1 :: v_dual_lshlrev_b32 v6, 4, v0
	s_lshl_b64 s[8:9], s[4:5], 2
	v_dual_mov_b32 v4, s1 :: v_dual_mov_b32 v5, s1
	s_add_u32 s8, s2, s8
	s_addc_u32 s9, s3, s9
	v_add_co_u32 v1, s0, s8, v6
	s_delay_alu instid0(VALU_DEP_1) | instskip(NEXT) | instid1(VALU_DEP_2)
	v_add_co_ci_u32_e64 v2, null, s9, 0, s0
	v_add_co_u32 v1, vcc_lo, v1, 12
	s_delay_alu instid0(VALU_DEP_2)
	v_add_co_ci_u32_e32 v2, vcc_lo, 0, v2, vcc_lo
	s_mov_b32 s0, -1
	global_store_b96 v6, v[3:5], s[8:9]
	s_cbranch_execz .LBB81_5
; %bb.2:
	s_and_saveexec_b32 s2, s0
	s_cbranch_execz .LBB81_12
.LBB81_3:
	v_mov_b32_e32 v0, s1
	global_store_b32 v[1:2], v0, off
	s_nop 0
	s_sendmsg sendmsg(MSG_DEALLOC_VGPRS)
	s_endpgm
.LBB81_4:
	s_mov_b32 s0, 0
                                        ; implicit-def: $vgpr1_vgpr2
.LBB81_5:
	s_mov_b32 s5, exec_lo
	v_cmpx_gt_i32_e64 s6, v0
	s_cbranch_execz .LBB81_13
; %bb.6:
	v_or_b32_e32 v1, s4, v0
	v_dual_mov_b32 v2, 0 :: v_dual_mov_b32 v3, s1
	v_or_b32_e32 v0, 0x100, v0
	s_delay_alu instid0(VALU_DEP_2) | instskip(NEXT) | instid1(VALU_DEP_1)
	v_lshlrev_b64 v[1:2], 2, v[1:2]
	v_add_co_u32 v1, vcc_lo, s2, v1
	s_delay_alu instid0(VALU_DEP_2) | instskip(SKIP_2) | instid1(SALU_CYCLE_1)
	v_add_co_ci_u32_e32 v2, vcc_lo, s3, v2, vcc_lo
	global_store_b32 v[1:2], v3, off
	s_or_b32 exec_lo, exec_lo, s5
	s_mov_b32 s5, exec_lo
	v_cmpx_gt_i32_e64 s6, v0
	s_cbranch_execnz .LBB81_14
.LBB81_7:
	s_or_b32 exec_lo, exec_lo, s5
	s_delay_alu instid0(SALU_CYCLE_1)
	s_mov_b32 s5, exec_lo
	v_cmpx_gt_i32_e64 s6, v0
	s_cbranch_execz .LBB81_9
.LBB81_8:
	v_dual_mov_b32 v2, 0 :: v_dual_add_nc_u32 v1, s4, v0
	v_dual_mov_b32 v3, s1 :: v_dual_add_nc_u32 v0, 0x100, v0
	s_delay_alu instid0(VALU_DEP_2) | instskip(NEXT) | instid1(VALU_DEP_1)
	v_lshlrev_b64 v[1:2], 2, v[1:2]
	v_add_co_u32 v1, vcc_lo, s2, v1
	s_delay_alu instid0(VALU_DEP_2)
	v_add_co_ci_u32_e32 v2, vcc_lo, s3, v2, vcc_lo
	global_store_b32 v[1:2], v3, off
.LBB81_9:
	s_or_b32 exec_lo, exec_lo, s5
	s_delay_alu instid0(SALU_CYCLE_1)
	s_mov_b32 s5, exec_lo
                                        ; implicit-def: $vgpr1_vgpr2
	v_cmpx_gt_i32_e64 s6, v0
; %bb.10:
	v_dual_mov_b32 v1, 0 :: v_dual_add_nc_u32 v0, s4, v0
	s_or_b32 s0, s0, exec_lo
	s_delay_alu instid0(VALU_DEP_1) | instskip(NEXT) | instid1(VALU_DEP_1)
	v_lshlrev_b64 v[1:2], 2, v[0:1]
	v_add_co_u32 v1, vcc_lo, s2, v1
	s_delay_alu instid0(VALU_DEP_2)
	v_add_co_ci_u32_e32 v2, vcc_lo, s3, v2, vcc_lo
; %bb.11:
	s_or_b32 exec_lo, exec_lo, s5
	s_and_saveexec_b32 s2, s0
	s_cbranch_execnz .LBB81_3
.LBB81_12:
	s_nop 0
	s_sendmsg sendmsg(MSG_DEALLOC_VGPRS)
	s_endpgm
.LBB81_13:
	s_or_b32 exec_lo, exec_lo, s5
	s_delay_alu instid0(SALU_CYCLE_1)
	s_mov_b32 s5, exec_lo
	v_cmpx_gt_i32_e64 s6, v0
	s_cbranch_execz .LBB81_7
.LBB81_14:
	v_dual_mov_b32 v2, 0 :: v_dual_add_nc_u32 v1, s4, v0
	v_dual_mov_b32 v3, s1 :: v_dual_add_nc_u32 v0, 0x100, v0
	s_delay_alu instid0(VALU_DEP_2) | instskip(NEXT) | instid1(VALU_DEP_1)
	v_lshlrev_b64 v[1:2], 2, v[1:2]
	v_add_co_u32 v1, vcc_lo, s2, v1
	s_delay_alu instid0(VALU_DEP_2) | instskip(SKIP_2) | instid1(SALU_CYCLE_1)
	v_add_co_ci_u32_e32 v2, vcc_lo, s3, v2, vcc_lo
	global_store_b32 v[1:2], v3, off
	s_or_b32 exec_lo, exec_lo, s5
	s_mov_b32 s5, exec_lo
	v_cmpx_gt_i32_e64 s6, v0
	s_cbranch_execz .LBB81_9
	s_branch .LBB81_8
	.section	.rodata,"a",@progbits
	.p2align	6, 0x0
	.amdhsa_kernel _ZN2at6native29vectorized_elementwise_kernelILi8ENS0_11FillFunctorIN3c107complexINS3_8BFloat16EEEEESt5arrayIPcLm1EEEEviT0_T1_
		.amdhsa_group_segment_fixed_size 0
		.amdhsa_private_segment_fixed_size 0
		.amdhsa_kernarg_size 16
		.amdhsa_user_sgpr_count 15
		.amdhsa_user_sgpr_dispatch_ptr 0
		.amdhsa_user_sgpr_queue_ptr 0
		.amdhsa_user_sgpr_kernarg_segment_ptr 1
		.amdhsa_user_sgpr_dispatch_id 0
		.amdhsa_user_sgpr_private_segment_size 0
		.amdhsa_wavefront_size32 1
		.amdhsa_uses_dynamic_stack 0
		.amdhsa_enable_private_segment 0
		.amdhsa_system_sgpr_workgroup_id_x 1
		.amdhsa_system_sgpr_workgroup_id_y 0
		.amdhsa_system_sgpr_workgroup_id_z 0
		.amdhsa_system_sgpr_workgroup_info 0
		.amdhsa_system_vgpr_workitem_id 0
		.amdhsa_next_free_vgpr 7
		.amdhsa_next_free_sgpr 16
		.amdhsa_reserve_vcc 1
		.amdhsa_float_round_mode_32 0
		.amdhsa_float_round_mode_16_64 0
		.amdhsa_float_denorm_mode_32 3
		.amdhsa_float_denorm_mode_16_64 3
		.amdhsa_dx10_clamp 1
		.amdhsa_ieee_mode 1
		.amdhsa_fp16_overflow 0
		.amdhsa_workgroup_processor_mode 1
		.amdhsa_memory_ordered 1
		.amdhsa_forward_progress 0
		.amdhsa_shared_vgpr_count 0
		.amdhsa_exception_fp_ieee_invalid_op 0
		.amdhsa_exception_fp_denorm_src 0
		.amdhsa_exception_fp_ieee_div_zero 0
		.amdhsa_exception_fp_ieee_overflow 0
		.amdhsa_exception_fp_ieee_underflow 0
		.amdhsa_exception_fp_ieee_inexact 0
		.amdhsa_exception_int_div_zero 0
	.end_amdhsa_kernel
	.section	.text._ZN2at6native29vectorized_elementwise_kernelILi8ENS0_11FillFunctorIN3c107complexINS3_8BFloat16EEEEESt5arrayIPcLm1EEEEviT0_T1_,"axG",@progbits,_ZN2at6native29vectorized_elementwise_kernelILi8ENS0_11FillFunctorIN3c107complexINS3_8BFloat16EEEEESt5arrayIPcLm1EEEEviT0_T1_,comdat
.Lfunc_end81:
	.size	_ZN2at6native29vectorized_elementwise_kernelILi8ENS0_11FillFunctorIN3c107complexINS3_8BFloat16EEEEESt5arrayIPcLm1EEEEviT0_T1_, .Lfunc_end81-_ZN2at6native29vectorized_elementwise_kernelILi8ENS0_11FillFunctorIN3c107complexINS3_8BFloat16EEEEESt5arrayIPcLm1EEEEviT0_T1_
                                        ; -- End function
	.section	.AMDGPU.csdata,"",@progbits
; Kernel info:
; codeLenInByte = 512
; NumSgprs: 18
; NumVgprs: 7
; ScratchSize: 0
; MemoryBound: 0
; FloatMode: 240
; IeeeMode: 1
; LDSByteSize: 0 bytes/workgroup (compile time only)
; SGPRBlocks: 2
; VGPRBlocks: 0
; NumSGPRsForWavesPerEU: 18
; NumVGPRsForWavesPerEU: 7
; Occupancy: 16
; WaveLimiterHint : 0
; COMPUTE_PGM_RSRC2:SCRATCH_EN: 0
; COMPUTE_PGM_RSRC2:USER_SGPR: 15
; COMPUTE_PGM_RSRC2:TRAP_HANDLER: 0
; COMPUTE_PGM_RSRC2:TGID_X_EN: 1
; COMPUTE_PGM_RSRC2:TGID_Y_EN: 0
; COMPUTE_PGM_RSRC2:TGID_Z_EN: 0
; COMPUTE_PGM_RSRC2:TIDIG_COMP_CNT: 0
	.section	.text._ZN2at6native29vectorized_elementwise_kernelILi4ENS0_11FillFunctorIN3c107complexINS3_8BFloat16EEEEESt5arrayIPcLm1EEEEviT0_T1_,"axG",@progbits,_ZN2at6native29vectorized_elementwise_kernelILi4ENS0_11FillFunctorIN3c107complexINS3_8BFloat16EEEEESt5arrayIPcLm1EEEEviT0_T1_,comdat
	.protected	_ZN2at6native29vectorized_elementwise_kernelILi4ENS0_11FillFunctorIN3c107complexINS3_8BFloat16EEEEESt5arrayIPcLm1EEEEviT0_T1_ ; -- Begin function _ZN2at6native29vectorized_elementwise_kernelILi4ENS0_11FillFunctorIN3c107complexINS3_8BFloat16EEEEESt5arrayIPcLm1EEEEviT0_T1_
	.globl	_ZN2at6native29vectorized_elementwise_kernelILi4ENS0_11FillFunctorIN3c107complexINS3_8BFloat16EEEEESt5arrayIPcLm1EEEEviT0_T1_
	.p2align	8
	.type	_ZN2at6native29vectorized_elementwise_kernelILi4ENS0_11FillFunctorIN3c107complexINS3_8BFloat16EEEEESt5arrayIPcLm1EEEEviT0_T1_,@function
_ZN2at6native29vectorized_elementwise_kernelILi4ENS0_11FillFunctorIN3c107complexINS3_8BFloat16EEEEESt5arrayIPcLm1EEEEviT0_T1_: ; @_ZN2at6native29vectorized_elementwise_kernelILi4ENS0_11FillFunctorIN3c107complexINS3_8BFloat16EEEEESt5arrayIPcLm1EEEEviT0_T1_
; %bb.0:
	s_load_b128 s[0:3], s[0:1], 0x0
	s_lshl_b32 s4, s15, 10
	s_waitcnt lgkmcnt(0)
	s_sub_i32 s6, s0, s4
	s_delay_alu instid0(SALU_CYCLE_1)
	s_cmpk_gt_i32 s6, 0x3ff
	s_cbranch_scc0 .LBB82_4
; %bb.1:
	s_ashr_i32 s5, s4, 31
	v_dual_mov_b32 v3, s1 :: v_dual_lshlrev_b32 v6, 4, v0
	s_lshl_b64 s[8:9], s[4:5], 2
	v_dual_mov_b32 v4, s1 :: v_dual_mov_b32 v5, s1
	s_add_u32 s8, s2, s8
	s_addc_u32 s9, s3, s9
	v_add_co_u32 v1, s0, s8, v6
	s_delay_alu instid0(VALU_DEP_1) | instskip(NEXT) | instid1(VALU_DEP_2)
	v_add_co_ci_u32_e64 v2, null, s9, 0, s0
	v_add_co_u32 v1, vcc_lo, v1, 12
	s_delay_alu instid0(VALU_DEP_2)
	v_add_co_ci_u32_e32 v2, vcc_lo, 0, v2, vcc_lo
	s_mov_b32 s0, -1
	global_store_b96 v6, v[3:5], s[8:9]
	s_cbranch_execz .LBB82_5
; %bb.2:
	s_and_saveexec_b32 s2, s0
	s_cbranch_execz .LBB82_12
.LBB82_3:
	v_mov_b32_e32 v0, s1
	global_store_b32 v[1:2], v0, off
	s_nop 0
	s_sendmsg sendmsg(MSG_DEALLOC_VGPRS)
	s_endpgm
.LBB82_4:
	s_mov_b32 s0, 0
                                        ; implicit-def: $vgpr1_vgpr2
.LBB82_5:
	s_mov_b32 s5, exec_lo
	v_cmpx_gt_i32_e64 s6, v0
	s_cbranch_execz .LBB82_13
; %bb.6:
	v_or_b32_e32 v1, s4, v0
	v_dual_mov_b32 v2, 0 :: v_dual_mov_b32 v3, s1
	v_or_b32_e32 v0, 0x100, v0
	s_delay_alu instid0(VALU_DEP_2) | instskip(NEXT) | instid1(VALU_DEP_1)
	v_lshlrev_b64 v[1:2], 2, v[1:2]
	v_add_co_u32 v1, vcc_lo, s2, v1
	s_delay_alu instid0(VALU_DEP_2) | instskip(SKIP_2) | instid1(SALU_CYCLE_1)
	v_add_co_ci_u32_e32 v2, vcc_lo, s3, v2, vcc_lo
	global_store_b32 v[1:2], v3, off
	s_or_b32 exec_lo, exec_lo, s5
	s_mov_b32 s5, exec_lo
	v_cmpx_gt_i32_e64 s6, v0
	s_cbranch_execnz .LBB82_14
.LBB82_7:
	s_or_b32 exec_lo, exec_lo, s5
	s_delay_alu instid0(SALU_CYCLE_1)
	s_mov_b32 s5, exec_lo
	v_cmpx_gt_i32_e64 s6, v0
	s_cbranch_execz .LBB82_9
.LBB82_8:
	v_dual_mov_b32 v2, 0 :: v_dual_add_nc_u32 v1, s4, v0
	v_dual_mov_b32 v3, s1 :: v_dual_add_nc_u32 v0, 0x100, v0
	s_delay_alu instid0(VALU_DEP_2) | instskip(NEXT) | instid1(VALU_DEP_1)
	v_lshlrev_b64 v[1:2], 2, v[1:2]
	v_add_co_u32 v1, vcc_lo, s2, v1
	s_delay_alu instid0(VALU_DEP_2)
	v_add_co_ci_u32_e32 v2, vcc_lo, s3, v2, vcc_lo
	global_store_b32 v[1:2], v3, off
.LBB82_9:
	s_or_b32 exec_lo, exec_lo, s5
	s_delay_alu instid0(SALU_CYCLE_1)
	s_mov_b32 s5, exec_lo
                                        ; implicit-def: $vgpr1_vgpr2
	v_cmpx_gt_i32_e64 s6, v0
; %bb.10:
	v_dual_mov_b32 v1, 0 :: v_dual_add_nc_u32 v0, s4, v0
	s_or_b32 s0, s0, exec_lo
	s_delay_alu instid0(VALU_DEP_1) | instskip(NEXT) | instid1(VALU_DEP_1)
	v_lshlrev_b64 v[1:2], 2, v[0:1]
	v_add_co_u32 v1, vcc_lo, s2, v1
	s_delay_alu instid0(VALU_DEP_2)
	v_add_co_ci_u32_e32 v2, vcc_lo, s3, v2, vcc_lo
; %bb.11:
	s_or_b32 exec_lo, exec_lo, s5
	s_and_saveexec_b32 s2, s0
	s_cbranch_execnz .LBB82_3
.LBB82_12:
	s_nop 0
	s_sendmsg sendmsg(MSG_DEALLOC_VGPRS)
	s_endpgm
.LBB82_13:
	s_or_b32 exec_lo, exec_lo, s5
	s_delay_alu instid0(SALU_CYCLE_1)
	s_mov_b32 s5, exec_lo
	v_cmpx_gt_i32_e64 s6, v0
	s_cbranch_execz .LBB82_7
.LBB82_14:
	v_dual_mov_b32 v2, 0 :: v_dual_add_nc_u32 v1, s4, v0
	v_dual_mov_b32 v3, s1 :: v_dual_add_nc_u32 v0, 0x100, v0
	s_delay_alu instid0(VALU_DEP_2) | instskip(NEXT) | instid1(VALU_DEP_1)
	v_lshlrev_b64 v[1:2], 2, v[1:2]
	v_add_co_u32 v1, vcc_lo, s2, v1
	s_delay_alu instid0(VALU_DEP_2) | instskip(SKIP_2) | instid1(SALU_CYCLE_1)
	v_add_co_ci_u32_e32 v2, vcc_lo, s3, v2, vcc_lo
	global_store_b32 v[1:2], v3, off
	s_or_b32 exec_lo, exec_lo, s5
	s_mov_b32 s5, exec_lo
	v_cmpx_gt_i32_e64 s6, v0
	s_cbranch_execz .LBB82_9
	s_branch .LBB82_8
	.section	.rodata,"a",@progbits
	.p2align	6, 0x0
	.amdhsa_kernel _ZN2at6native29vectorized_elementwise_kernelILi4ENS0_11FillFunctorIN3c107complexINS3_8BFloat16EEEEESt5arrayIPcLm1EEEEviT0_T1_
		.amdhsa_group_segment_fixed_size 0
		.amdhsa_private_segment_fixed_size 0
		.amdhsa_kernarg_size 16
		.amdhsa_user_sgpr_count 15
		.amdhsa_user_sgpr_dispatch_ptr 0
		.amdhsa_user_sgpr_queue_ptr 0
		.amdhsa_user_sgpr_kernarg_segment_ptr 1
		.amdhsa_user_sgpr_dispatch_id 0
		.amdhsa_user_sgpr_private_segment_size 0
		.amdhsa_wavefront_size32 1
		.amdhsa_uses_dynamic_stack 0
		.amdhsa_enable_private_segment 0
		.amdhsa_system_sgpr_workgroup_id_x 1
		.amdhsa_system_sgpr_workgroup_id_y 0
		.amdhsa_system_sgpr_workgroup_id_z 0
		.amdhsa_system_sgpr_workgroup_info 0
		.amdhsa_system_vgpr_workitem_id 0
		.amdhsa_next_free_vgpr 7
		.amdhsa_next_free_sgpr 16
		.amdhsa_reserve_vcc 1
		.amdhsa_float_round_mode_32 0
		.amdhsa_float_round_mode_16_64 0
		.amdhsa_float_denorm_mode_32 3
		.amdhsa_float_denorm_mode_16_64 3
		.amdhsa_dx10_clamp 1
		.amdhsa_ieee_mode 1
		.amdhsa_fp16_overflow 0
		.amdhsa_workgroup_processor_mode 1
		.amdhsa_memory_ordered 1
		.amdhsa_forward_progress 0
		.amdhsa_shared_vgpr_count 0
		.amdhsa_exception_fp_ieee_invalid_op 0
		.amdhsa_exception_fp_denorm_src 0
		.amdhsa_exception_fp_ieee_div_zero 0
		.amdhsa_exception_fp_ieee_overflow 0
		.amdhsa_exception_fp_ieee_underflow 0
		.amdhsa_exception_fp_ieee_inexact 0
		.amdhsa_exception_int_div_zero 0
	.end_amdhsa_kernel
	.section	.text._ZN2at6native29vectorized_elementwise_kernelILi4ENS0_11FillFunctorIN3c107complexINS3_8BFloat16EEEEESt5arrayIPcLm1EEEEviT0_T1_,"axG",@progbits,_ZN2at6native29vectorized_elementwise_kernelILi4ENS0_11FillFunctorIN3c107complexINS3_8BFloat16EEEEESt5arrayIPcLm1EEEEviT0_T1_,comdat
.Lfunc_end82:
	.size	_ZN2at6native29vectorized_elementwise_kernelILi4ENS0_11FillFunctorIN3c107complexINS3_8BFloat16EEEEESt5arrayIPcLm1EEEEviT0_T1_, .Lfunc_end82-_ZN2at6native29vectorized_elementwise_kernelILi4ENS0_11FillFunctorIN3c107complexINS3_8BFloat16EEEEESt5arrayIPcLm1EEEEviT0_T1_
                                        ; -- End function
	.section	.AMDGPU.csdata,"",@progbits
; Kernel info:
; codeLenInByte = 512
; NumSgprs: 18
; NumVgprs: 7
; ScratchSize: 0
; MemoryBound: 0
; FloatMode: 240
; IeeeMode: 1
; LDSByteSize: 0 bytes/workgroup (compile time only)
; SGPRBlocks: 2
; VGPRBlocks: 0
; NumSGPRsForWavesPerEU: 18
; NumVGPRsForWavesPerEU: 7
; Occupancy: 16
; WaveLimiterHint : 0
; COMPUTE_PGM_RSRC2:SCRATCH_EN: 0
; COMPUTE_PGM_RSRC2:USER_SGPR: 15
; COMPUTE_PGM_RSRC2:TRAP_HANDLER: 0
; COMPUTE_PGM_RSRC2:TGID_X_EN: 1
; COMPUTE_PGM_RSRC2:TGID_Y_EN: 0
; COMPUTE_PGM_RSRC2:TGID_Z_EN: 0
; COMPUTE_PGM_RSRC2:TIDIG_COMP_CNT: 0
	.section	.text._ZN2at6native29vectorized_elementwise_kernelILi2ENS0_11FillFunctorIN3c107complexINS3_8BFloat16EEEEESt5arrayIPcLm1EEEEviT0_T1_,"axG",@progbits,_ZN2at6native29vectorized_elementwise_kernelILi2ENS0_11FillFunctorIN3c107complexINS3_8BFloat16EEEEESt5arrayIPcLm1EEEEviT0_T1_,comdat
	.protected	_ZN2at6native29vectorized_elementwise_kernelILi2ENS0_11FillFunctorIN3c107complexINS3_8BFloat16EEEEESt5arrayIPcLm1EEEEviT0_T1_ ; -- Begin function _ZN2at6native29vectorized_elementwise_kernelILi2ENS0_11FillFunctorIN3c107complexINS3_8BFloat16EEEEESt5arrayIPcLm1EEEEviT0_T1_
	.globl	_ZN2at6native29vectorized_elementwise_kernelILi2ENS0_11FillFunctorIN3c107complexINS3_8BFloat16EEEEESt5arrayIPcLm1EEEEviT0_T1_
	.p2align	8
	.type	_ZN2at6native29vectorized_elementwise_kernelILi2ENS0_11FillFunctorIN3c107complexINS3_8BFloat16EEEEESt5arrayIPcLm1EEEEviT0_T1_,@function
_ZN2at6native29vectorized_elementwise_kernelILi2ENS0_11FillFunctorIN3c107complexINS3_8BFloat16EEEEESt5arrayIPcLm1EEEEviT0_T1_: ; @_ZN2at6native29vectorized_elementwise_kernelILi2ENS0_11FillFunctorIN3c107complexINS3_8BFloat16EEEEESt5arrayIPcLm1EEEEviT0_T1_
; %bb.0:
	s_load_b128 s[0:3], s[0:1], 0x0
	s_lshl_b32 s4, s15, 10
	s_waitcnt lgkmcnt(0)
	s_sub_i32 s6, s0, s4
	s_mov_b32 s0, -1
	s_cmpk_gt_i32 s6, 0x3ff
	s_cbranch_scc0 .LBB83_2
; %bb.1:
	s_ashr_i32 s5, s4, 31
	s_mov_b32 s0, s1
	v_dual_mov_b32 v2, s1 :: v_dual_lshlrev_b32 v3, 3, v0
	s_lshl_b64 s[8:9], s[4:5], 2
	v_mov_b32_e32 v1, s0
	s_add_u32 s8, s2, s8
	s_addc_u32 s9, s3, s9
	s_mov_b32 s0, 0
	s_clause 0x1
	global_store_b64 v3, v[1:2], s[8:9]
	global_store_b64 v3, v[1:2], s[8:9] offset:2048
.LBB83_2:
	s_and_not1_b32 vcc_lo, exec_lo, s0
	s_cbranch_vccnz .LBB83_8
; %bb.3:
	s_mov_b32 s0, exec_lo
	v_cmpx_gt_i32_e64 s6, v0
	s_cbranch_execnz .LBB83_9
; %bb.4:
	s_or_b32 exec_lo, exec_lo, s0
	s_delay_alu instid0(SALU_CYCLE_1)
	s_mov_b32 s0, exec_lo
	v_cmpx_gt_i32_e64 s6, v0
	s_cbranch_execnz .LBB83_10
.LBB83_5:
	s_or_b32 exec_lo, exec_lo, s0
	s_delay_alu instid0(SALU_CYCLE_1)
	s_mov_b32 s0, exec_lo
	v_cmpx_gt_i32_e64 s6, v0
	s_cbranch_execnz .LBB83_11
.LBB83_6:
	s_or_b32 exec_lo, exec_lo, s0
	s_delay_alu instid0(SALU_CYCLE_1)
	s_mov_b32 s0, exec_lo
	v_cmpx_gt_i32_e64 s6, v0
	s_cbranch_execz .LBB83_8
.LBB83_7:
	v_dual_mov_b32 v1, 0 :: v_dual_add_nc_u32 v0, s4, v0
	v_mov_b32_e32 v2, s1
	s_delay_alu instid0(VALU_DEP_2) | instskip(NEXT) | instid1(VALU_DEP_1)
	v_lshlrev_b64 v[0:1], 2, v[0:1]
	v_add_co_u32 v0, vcc_lo, s2, v0
	s_delay_alu instid0(VALU_DEP_2)
	v_add_co_ci_u32_e32 v1, vcc_lo, s3, v1, vcc_lo
	global_store_b32 v[0:1], v2, off
.LBB83_8:
	s_nop 0
	s_sendmsg sendmsg(MSG_DEALLOC_VGPRS)
	s_endpgm
.LBB83_9:
	v_or_b32_e32 v1, s4, v0
	v_dual_mov_b32 v2, 0 :: v_dual_mov_b32 v3, s1
	v_or_b32_e32 v0, 0x100, v0
	s_delay_alu instid0(VALU_DEP_2) | instskip(NEXT) | instid1(VALU_DEP_1)
	v_lshlrev_b64 v[1:2], 2, v[1:2]
	v_add_co_u32 v1, vcc_lo, s2, v1
	s_delay_alu instid0(VALU_DEP_2) | instskip(SKIP_2) | instid1(SALU_CYCLE_1)
	v_add_co_ci_u32_e32 v2, vcc_lo, s3, v2, vcc_lo
	global_store_b32 v[1:2], v3, off
	s_or_b32 exec_lo, exec_lo, s0
	s_mov_b32 s0, exec_lo
	v_cmpx_gt_i32_e64 s6, v0
	s_cbranch_execz .LBB83_5
.LBB83_10:
	v_dual_mov_b32 v2, 0 :: v_dual_add_nc_u32 v1, s4, v0
	v_dual_mov_b32 v3, s1 :: v_dual_add_nc_u32 v0, 0x100, v0
	s_delay_alu instid0(VALU_DEP_2) | instskip(NEXT) | instid1(VALU_DEP_1)
	v_lshlrev_b64 v[1:2], 2, v[1:2]
	v_add_co_u32 v1, vcc_lo, s2, v1
	s_delay_alu instid0(VALU_DEP_2) | instskip(SKIP_2) | instid1(SALU_CYCLE_1)
	v_add_co_ci_u32_e32 v2, vcc_lo, s3, v2, vcc_lo
	global_store_b32 v[1:2], v3, off
	s_or_b32 exec_lo, exec_lo, s0
	s_mov_b32 s0, exec_lo
	v_cmpx_gt_i32_e64 s6, v0
	s_cbranch_execz .LBB83_6
.LBB83_11:
	v_dual_mov_b32 v2, 0 :: v_dual_add_nc_u32 v1, s4, v0
	v_dual_mov_b32 v3, s1 :: v_dual_add_nc_u32 v0, 0x100, v0
	s_delay_alu instid0(VALU_DEP_2) | instskip(NEXT) | instid1(VALU_DEP_1)
	v_lshlrev_b64 v[1:2], 2, v[1:2]
	v_add_co_u32 v1, vcc_lo, s2, v1
	s_delay_alu instid0(VALU_DEP_2) | instskip(SKIP_2) | instid1(SALU_CYCLE_1)
	v_add_co_ci_u32_e32 v2, vcc_lo, s3, v2, vcc_lo
	global_store_b32 v[1:2], v3, off
	s_or_b32 exec_lo, exec_lo, s0
	s_mov_b32 s0, exec_lo
	v_cmpx_gt_i32_e64 s6, v0
	s_cbranch_execnz .LBB83_7
	s_branch .LBB83_8
	.section	.rodata,"a",@progbits
	.p2align	6, 0x0
	.amdhsa_kernel _ZN2at6native29vectorized_elementwise_kernelILi2ENS0_11FillFunctorIN3c107complexINS3_8BFloat16EEEEESt5arrayIPcLm1EEEEviT0_T1_
		.amdhsa_group_segment_fixed_size 0
		.amdhsa_private_segment_fixed_size 0
		.amdhsa_kernarg_size 16
		.amdhsa_user_sgpr_count 15
		.amdhsa_user_sgpr_dispatch_ptr 0
		.amdhsa_user_sgpr_queue_ptr 0
		.amdhsa_user_sgpr_kernarg_segment_ptr 1
		.amdhsa_user_sgpr_dispatch_id 0
		.amdhsa_user_sgpr_private_segment_size 0
		.amdhsa_wavefront_size32 1
		.amdhsa_uses_dynamic_stack 0
		.amdhsa_enable_private_segment 0
		.amdhsa_system_sgpr_workgroup_id_x 1
		.amdhsa_system_sgpr_workgroup_id_y 0
		.amdhsa_system_sgpr_workgroup_id_z 0
		.amdhsa_system_sgpr_workgroup_info 0
		.amdhsa_system_vgpr_workitem_id 0
		.amdhsa_next_free_vgpr 4
		.amdhsa_next_free_sgpr 16
		.amdhsa_reserve_vcc 1
		.amdhsa_float_round_mode_32 0
		.amdhsa_float_round_mode_16_64 0
		.amdhsa_float_denorm_mode_32 3
		.amdhsa_float_denorm_mode_16_64 3
		.amdhsa_dx10_clamp 1
		.amdhsa_ieee_mode 1
		.amdhsa_fp16_overflow 0
		.amdhsa_workgroup_processor_mode 1
		.amdhsa_memory_ordered 1
		.amdhsa_forward_progress 0
		.amdhsa_shared_vgpr_count 0
		.amdhsa_exception_fp_ieee_invalid_op 0
		.amdhsa_exception_fp_denorm_src 0
		.amdhsa_exception_fp_ieee_div_zero 0
		.amdhsa_exception_fp_ieee_overflow 0
		.amdhsa_exception_fp_ieee_underflow 0
		.amdhsa_exception_fp_ieee_inexact 0
		.amdhsa_exception_int_div_zero 0
	.end_amdhsa_kernel
	.section	.text._ZN2at6native29vectorized_elementwise_kernelILi2ENS0_11FillFunctorIN3c107complexINS3_8BFloat16EEEEESt5arrayIPcLm1EEEEviT0_T1_,"axG",@progbits,_ZN2at6native29vectorized_elementwise_kernelILi2ENS0_11FillFunctorIN3c107complexINS3_8BFloat16EEEEESt5arrayIPcLm1EEEEviT0_T1_,comdat
.Lfunc_end83:
	.size	_ZN2at6native29vectorized_elementwise_kernelILi2ENS0_11FillFunctorIN3c107complexINS3_8BFloat16EEEEESt5arrayIPcLm1EEEEviT0_T1_, .Lfunc_end83-_ZN2at6native29vectorized_elementwise_kernelILi2ENS0_11FillFunctorIN3c107complexINS3_8BFloat16EEEEESt5arrayIPcLm1EEEEviT0_T1_
                                        ; -- End function
	.section	.AMDGPU.csdata,"",@progbits
; Kernel info:
; codeLenInByte = 476
; NumSgprs: 18
; NumVgprs: 4
; ScratchSize: 0
; MemoryBound: 0
; FloatMode: 240
; IeeeMode: 1
; LDSByteSize: 0 bytes/workgroup (compile time only)
; SGPRBlocks: 2
; VGPRBlocks: 0
; NumSGPRsForWavesPerEU: 18
; NumVGPRsForWavesPerEU: 4
; Occupancy: 16
; WaveLimiterHint : 1
; COMPUTE_PGM_RSRC2:SCRATCH_EN: 0
; COMPUTE_PGM_RSRC2:USER_SGPR: 15
; COMPUTE_PGM_RSRC2:TRAP_HANDLER: 0
; COMPUTE_PGM_RSRC2:TGID_X_EN: 1
; COMPUTE_PGM_RSRC2:TGID_Y_EN: 0
; COMPUTE_PGM_RSRC2:TGID_Z_EN: 0
; COMPUTE_PGM_RSRC2:TIDIG_COMP_CNT: 0
	.section	.text._ZN2at6native27unrolled_elementwise_kernelINS0_11FillFunctorIN3c107complexINS3_8BFloat16EEEEESt5arrayIPcLm1EELi4E23TrivialOffsetCalculatorILi0EjESB_ILi1EjENS0_6memory15LoadWithoutCastENSE_16StoreWithoutCastEEEviT_T0_T2_T3_T4_T5_,"axG",@progbits,_ZN2at6native27unrolled_elementwise_kernelINS0_11FillFunctorIN3c107complexINS3_8BFloat16EEEEESt5arrayIPcLm1EELi4E23TrivialOffsetCalculatorILi0EjESB_ILi1EjENS0_6memory15LoadWithoutCastENSE_16StoreWithoutCastEEEviT_T0_T2_T3_T4_T5_,comdat
	.protected	_ZN2at6native27unrolled_elementwise_kernelINS0_11FillFunctorIN3c107complexINS3_8BFloat16EEEEESt5arrayIPcLm1EELi4E23TrivialOffsetCalculatorILi0EjESB_ILi1EjENS0_6memory15LoadWithoutCastENSE_16StoreWithoutCastEEEviT_T0_T2_T3_T4_T5_ ; -- Begin function _ZN2at6native27unrolled_elementwise_kernelINS0_11FillFunctorIN3c107complexINS3_8BFloat16EEEEESt5arrayIPcLm1EELi4E23TrivialOffsetCalculatorILi0EjESB_ILi1EjENS0_6memory15LoadWithoutCastENSE_16StoreWithoutCastEEEviT_T0_T2_T3_T4_T5_
	.globl	_ZN2at6native27unrolled_elementwise_kernelINS0_11FillFunctorIN3c107complexINS3_8BFloat16EEEEESt5arrayIPcLm1EELi4E23TrivialOffsetCalculatorILi0EjESB_ILi1EjENS0_6memory15LoadWithoutCastENSE_16StoreWithoutCastEEEviT_T0_T2_T3_T4_T5_
	.p2align	8
	.type	_ZN2at6native27unrolled_elementwise_kernelINS0_11FillFunctorIN3c107complexINS3_8BFloat16EEEEESt5arrayIPcLm1EELi4E23TrivialOffsetCalculatorILi0EjESB_ILi1EjENS0_6memory15LoadWithoutCastENSE_16StoreWithoutCastEEEviT_T0_T2_T3_T4_T5_,@function
_ZN2at6native27unrolled_elementwise_kernelINS0_11FillFunctorIN3c107complexINS3_8BFloat16EEEEESt5arrayIPcLm1EELi4E23TrivialOffsetCalculatorILi0EjESB_ILi1EjENS0_6memory15LoadWithoutCastENSE_16StoreWithoutCastEEEviT_T0_T2_T3_T4_T5_: ; @_ZN2at6native27unrolled_elementwise_kernelINS0_11FillFunctorIN3c107complexINS3_8BFloat16EEEEESt5arrayIPcLm1EELi4E23TrivialOffsetCalculatorILi0EjESB_ILi1EjENS0_6memory15LoadWithoutCastENSE_16StoreWithoutCastEEEviT_T0_T2_T3_T4_T5_
; %bb.0:
	s_load_b128 s[0:3], s[0:1], 0x0
	s_lshl_b32 s4, s15, 10
	s_mov_b32 s5, exec_lo
	s_waitcnt lgkmcnt(0)
	s_sub_i32 s0, s0, s4
	s_delay_alu instid0(SALU_CYCLE_1)
	v_cmpx_gt_i32_e64 s0, v0
	s_cbranch_execnz .LBB84_5
; %bb.1:
	s_or_b32 exec_lo, exec_lo, s5
	s_delay_alu instid0(SALU_CYCLE_1)
	s_mov_b32 s5, exec_lo
	v_cmpx_gt_i32_e64 s0, v0
	s_cbranch_execnz .LBB84_6
.LBB84_2:
	s_or_b32 exec_lo, exec_lo, s5
	s_delay_alu instid0(SALU_CYCLE_1)
	s_mov_b32 s5, exec_lo
	v_cmpx_gt_i32_e64 s0, v0
	s_cbranch_execnz .LBB84_7
.LBB84_3:
	s_or_b32 exec_lo, exec_lo, s5
	v_cmp_gt_i32_e32 vcc_lo, s0, v0
	s_and_saveexec_b32 s0, vcc_lo
	s_cbranch_execnz .LBB84_8
.LBB84_4:
	s_nop 0
	s_sendmsg sendmsg(MSG_DEALLOC_VGPRS)
	s_endpgm
.LBB84_5:
	v_or_b32_e32 v1, s4, v0
	v_dual_mov_b32 v2, 0 :: v_dual_mov_b32 v3, s1
	v_or_b32_e32 v0, 0x100, v0
	s_delay_alu instid0(VALU_DEP_2) | instskip(NEXT) | instid1(VALU_DEP_1)
	v_lshlrev_b64 v[1:2], 2, v[1:2]
	v_add_co_u32 v1, vcc_lo, s2, v1
	s_delay_alu instid0(VALU_DEP_2) | instskip(SKIP_2) | instid1(SALU_CYCLE_1)
	v_add_co_ci_u32_e32 v2, vcc_lo, s3, v2, vcc_lo
	global_store_b32 v[1:2], v3, off
	s_or_b32 exec_lo, exec_lo, s5
	s_mov_b32 s5, exec_lo
	v_cmpx_gt_i32_e64 s0, v0
	s_cbranch_execz .LBB84_2
.LBB84_6:
	v_dual_mov_b32 v2, 0 :: v_dual_add_nc_u32 v1, s4, v0
	v_dual_mov_b32 v3, s1 :: v_dual_add_nc_u32 v0, 0x100, v0
	s_delay_alu instid0(VALU_DEP_2) | instskip(NEXT) | instid1(VALU_DEP_1)
	v_lshlrev_b64 v[1:2], 2, v[1:2]
	v_add_co_u32 v1, vcc_lo, s2, v1
	s_delay_alu instid0(VALU_DEP_2) | instskip(SKIP_2) | instid1(SALU_CYCLE_1)
	v_add_co_ci_u32_e32 v2, vcc_lo, s3, v2, vcc_lo
	global_store_b32 v[1:2], v3, off
	s_or_b32 exec_lo, exec_lo, s5
	s_mov_b32 s5, exec_lo
	v_cmpx_gt_i32_e64 s0, v0
	s_cbranch_execz .LBB84_3
.LBB84_7:
	v_dual_mov_b32 v2, 0 :: v_dual_add_nc_u32 v1, s4, v0
	v_dual_mov_b32 v3, s1 :: v_dual_add_nc_u32 v0, 0x100, v0
	s_delay_alu instid0(VALU_DEP_2) | instskip(NEXT) | instid1(VALU_DEP_1)
	v_lshlrev_b64 v[1:2], 2, v[1:2]
	v_add_co_u32 v1, vcc_lo, s2, v1
	s_delay_alu instid0(VALU_DEP_2)
	v_add_co_ci_u32_e32 v2, vcc_lo, s3, v2, vcc_lo
	global_store_b32 v[1:2], v3, off
	s_or_b32 exec_lo, exec_lo, s5
	v_cmp_gt_i32_e32 vcc_lo, s0, v0
	s_and_saveexec_b32 s0, vcc_lo
	s_cbranch_execz .LBB84_4
.LBB84_8:
	v_dual_mov_b32 v1, 0 :: v_dual_add_nc_u32 v0, s4, v0
	v_mov_b32_e32 v2, s1
	s_delay_alu instid0(VALU_DEP_2) | instskip(NEXT) | instid1(VALU_DEP_1)
	v_lshlrev_b64 v[0:1], 2, v[0:1]
	v_add_co_u32 v0, vcc_lo, s2, v0
	s_delay_alu instid0(VALU_DEP_2)
	v_add_co_ci_u32_e32 v1, vcc_lo, s3, v1, vcc_lo
	global_store_b32 v[0:1], v2, off
	s_nop 0
	s_sendmsg sendmsg(MSG_DEALLOC_VGPRS)
	s_endpgm
	.section	.rodata,"a",@progbits
	.p2align	6, 0x0
	.amdhsa_kernel _ZN2at6native27unrolled_elementwise_kernelINS0_11FillFunctorIN3c107complexINS3_8BFloat16EEEEESt5arrayIPcLm1EELi4E23TrivialOffsetCalculatorILi0EjESB_ILi1EjENS0_6memory15LoadWithoutCastENSE_16StoreWithoutCastEEEviT_T0_T2_T3_T4_T5_
		.amdhsa_group_segment_fixed_size 0
		.amdhsa_private_segment_fixed_size 0
		.amdhsa_kernarg_size 20
		.amdhsa_user_sgpr_count 15
		.amdhsa_user_sgpr_dispatch_ptr 0
		.amdhsa_user_sgpr_queue_ptr 0
		.amdhsa_user_sgpr_kernarg_segment_ptr 1
		.amdhsa_user_sgpr_dispatch_id 0
		.amdhsa_user_sgpr_private_segment_size 0
		.amdhsa_wavefront_size32 1
		.amdhsa_uses_dynamic_stack 0
		.amdhsa_enable_private_segment 0
		.amdhsa_system_sgpr_workgroup_id_x 1
		.amdhsa_system_sgpr_workgroup_id_y 0
		.amdhsa_system_sgpr_workgroup_id_z 0
		.amdhsa_system_sgpr_workgroup_info 0
		.amdhsa_system_vgpr_workitem_id 0
		.amdhsa_next_free_vgpr 4
		.amdhsa_next_free_sgpr 16
		.amdhsa_reserve_vcc 1
		.amdhsa_float_round_mode_32 0
		.amdhsa_float_round_mode_16_64 0
		.amdhsa_float_denorm_mode_32 3
		.amdhsa_float_denorm_mode_16_64 3
		.amdhsa_dx10_clamp 1
		.amdhsa_ieee_mode 1
		.amdhsa_fp16_overflow 0
		.amdhsa_workgroup_processor_mode 1
		.amdhsa_memory_ordered 1
		.amdhsa_forward_progress 0
		.amdhsa_shared_vgpr_count 0
		.amdhsa_exception_fp_ieee_invalid_op 0
		.amdhsa_exception_fp_denorm_src 0
		.amdhsa_exception_fp_ieee_div_zero 0
		.amdhsa_exception_fp_ieee_overflow 0
		.amdhsa_exception_fp_ieee_underflow 0
		.amdhsa_exception_fp_ieee_inexact 0
		.amdhsa_exception_int_div_zero 0
	.end_amdhsa_kernel
	.section	.text._ZN2at6native27unrolled_elementwise_kernelINS0_11FillFunctorIN3c107complexINS3_8BFloat16EEEEESt5arrayIPcLm1EELi4E23TrivialOffsetCalculatorILi0EjESB_ILi1EjENS0_6memory15LoadWithoutCastENSE_16StoreWithoutCastEEEviT_T0_T2_T3_T4_T5_,"axG",@progbits,_ZN2at6native27unrolled_elementwise_kernelINS0_11FillFunctorIN3c107complexINS3_8BFloat16EEEEESt5arrayIPcLm1EELi4E23TrivialOffsetCalculatorILi0EjESB_ILi1EjENS0_6memory15LoadWithoutCastENSE_16StoreWithoutCastEEEviT_T0_T2_T3_T4_T5_,comdat
.Lfunc_end84:
	.size	_ZN2at6native27unrolled_elementwise_kernelINS0_11FillFunctorIN3c107complexINS3_8BFloat16EEEEESt5arrayIPcLm1EELi4E23TrivialOffsetCalculatorILi0EjESB_ILi1EjENS0_6memory15LoadWithoutCastENSE_16StoreWithoutCastEEEviT_T0_T2_T3_T4_T5_, .Lfunc_end84-_ZN2at6native27unrolled_elementwise_kernelINS0_11FillFunctorIN3c107complexINS3_8BFloat16EEEEESt5arrayIPcLm1EELi4E23TrivialOffsetCalculatorILi0EjESB_ILi1EjENS0_6memory15LoadWithoutCastENSE_16StoreWithoutCastEEEviT_T0_T2_T3_T4_T5_
                                        ; -- End function
	.section	.AMDGPU.csdata,"",@progbits
; Kernel info:
; codeLenInByte = 400
; NumSgprs: 18
; NumVgprs: 4
; ScratchSize: 0
; MemoryBound: 0
; FloatMode: 240
; IeeeMode: 1
; LDSByteSize: 0 bytes/workgroup (compile time only)
; SGPRBlocks: 2
; VGPRBlocks: 0
; NumSGPRsForWavesPerEU: 18
; NumVGPRsForWavesPerEU: 4
; Occupancy: 16
; WaveLimiterHint : 0
; COMPUTE_PGM_RSRC2:SCRATCH_EN: 0
; COMPUTE_PGM_RSRC2:USER_SGPR: 15
; COMPUTE_PGM_RSRC2:TRAP_HANDLER: 0
; COMPUTE_PGM_RSRC2:TGID_X_EN: 1
; COMPUTE_PGM_RSRC2:TGID_Y_EN: 0
; COMPUTE_PGM_RSRC2:TGID_Z_EN: 0
; COMPUTE_PGM_RSRC2:TIDIG_COMP_CNT: 0
	.section	.text._ZN2at6native32elementwise_kernel_manual_unrollILi128ELi4EZNS0_22gpu_kernel_impl_nocastINS0_11FillFunctorIN3c107complexINS4_8BFloat16EEEEEEEvRNS_18TensorIteratorBaseERKT_EUlibE_EEviT1_,"axG",@progbits,_ZN2at6native32elementwise_kernel_manual_unrollILi128ELi4EZNS0_22gpu_kernel_impl_nocastINS0_11FillFunctorIN3c107complexINS4_8BFloat16EEEEEEEvRNS_18TensorIteratorBaseERKT_EUlibE_EEviT1_,comdat
	.protected	_ZN2at6native32elementwise_kernel_manual_unrollILi128ELi4EZNS0_22gpu_kernel_impl_nocastINS0_11FillFunctorIN3c107complexINS4_8BFloat16EEEEEEEvRNS_18TensorIteratorBaseERKT_EUlibE_EEviT1_ ; -- Begin function _ZN2at6native32elementwise_kernel_manual_unrollILi128ELi4EZNS0_22gpu_kernel_impl_nocastINS0_11FillFunctorIN3c107complexINS4_8BFloat16EEEEEEEvRNS_18TensorIteratorBaseERKT_EUlibE_EEviT1_
	.globl	_ZN2at6native32elementwise_kernel_manual_unrollILi128ELi4EZNS0_22gpu_kernel_impl_nocastINS0_11FillFunctorIN3c107complexINS4_8BFloat16EEEEEEEvRNS_18TensorIteratorBaseERKT_EUlibE_EEviT1_
	.p2align	8
	.type	_ZN2at6native32elementwise_kernel_manual_unrollILi128ELi4EZNS0_22gpu_kernel_impl_nocastINS0_11FillFunctorIN3c107complexINS4_8BFloat16EEEEEEEvRNS_18TensorIteratorBaseERKT_EUlibE_EEviT1_,@function
_ZN2at6native32elementwise_kernel_manual_unrollILi128ELi4EZNS0_22gpu_kernel_impl_nocastINS0_11FillFunctorIN3c107complexINS4_8BFloat16EEEEEEEvRNS_18TensorIteratorBaseERKT_EUlibE_EEviT1_: ; @_ZN2at6native32elementwise_kernel_manual_unrollILi128ELi4EZNS0_22gpu_kernel_impl_nocastINS0_11FillFunctorIN3c107complexINS4_8BFloat16EEEEEEEvRNS_18TensorIteratorBaseERKT_EUlibE_EEviT1_
; %bb.0:
	s_clause 0x1
	s_load_b32 s18, s[0:1], 0x8
	s_load_b32 s24, s[0:1], 0x0
	v_lshl_or_b32 v2, s15, 9, v0
	s_or_b32 s0, s0, 8
	s_mov_b32 s2, exec_lo
	s_delay_alu instid0(VALU_DEP_1) | instskip(SKIP_2) | instid1(SALU_CYCLE_1)
	v_or_b32_e32 v4, 0x180, v2
	s_waitcnt lgkmcnt(0)
	s_add_i32 s19, s18, -1
	s_cmp_gt_u32 s19, 1
	s_cselect_b32 s20, -1, 0
	v_cmpx_le_i32_e64 s24, v4
	s_xor_b32 s21, exec_lo, s2
	s_cbranch_execz .LBB85_7
; %bb.1:
	s_clause 0x4
	s_load_b128 s[4:7], s[0:1], 0x4
	s_load_b64 s[10:11], s[0:1], 0x14
	s_load_b64 s[8:9], s[0:1], 0xc4
	s_load_b64 s[2:3], s[0:1], 0x108
	s_load_b32 s22, s[0:1], 0x110
	s_cmp_lg_u32 s18, 0
	s_mov_b32 s27, exec_lo
	s_cselect_b32 s26, -1, 0
	s_add_u32 s12, s0, 0xc4
	s_addc_u32 s13, s1, 0
	s_min_u32 s25, s19, 15
	s_cmp_gt_u32 s18, 1
	s_cselect_b32 s23, -1, 0
	v_cmpx_gt_i32_e64 s24, v2
	s_cbranch_execz .LBB85_14
; %bb.2:
	s_and_not1_b32 vcc_lo, exec_lo, s20
	s_cbranch_vccnz .LBB85_21
; %bb.3:
	v_mov_b32_e32 v0, 0
	s_and_not1_b32 vcc_lo, exec_lo, s26
	s_cbranch_vccnz .LBB85_73
; %bb.4:
	s_add_i32 s29, s25, 1
	s_cmp_eq_u32 s19, 2
	s_mov_b32 s28, 0
	s_cbranch_scc1 .LBB85_69
; %bb.5:
	v_dual_mov_b32 v0, 0 :: v_dual_mov_b32 v1, v2
	s_and_b32 s28, s29, 28
	s_mov_b32 s30, 0
	s_mov_b64 s[14:15], s[0:1]
	s_mov_b64 s[16:17], s[12:13]
.LBB85_6:                               ; =>This Inner Loop Header: Depth=1
	s_clause 0x1
	s_load_b256 s[36:43], s[14:15], 0x4
	s_load_b128 s[44:47], s[14:15], 0x24
	s_load_b128 s[48:51], s[16:17], 0x0
	s_add_u32 s14, s14, 48
	s_addc_u32 s15, s15, 0
	s_add_i32 s30, s30, 4
	s_add_u32 s16, s16, 16
	s_addc_u32 s17, s17, 0
	s_cmp_lg_u32 s28, s30
	s_waitcnt lgkmcnt(0)
	v_mul_hi_u32 v3, s37, v1
	s_delay_alu instid0(VALU_DEP_1) | instskip(NEXT) | instid1(VALU_DEP_1)
	v_add_nc_u32_e32 v3, v1, v3
	v_lshrrev_b32_e32 v3, s38, v3
	s_delay_alu instid0(VALU_DEP_1) | instskip(SKIP_1) | instid1(VALU_DEP_2)
	v_mul_hi_u32 v4, s40, v3
	v_mul_lo_u32 v7, v3, s36
	v_add_nc_u32_e32 v4, v3, v4
	s_delay_alu instid0(VALU_DEP_2) | instskip(NEXT) | instid1(VALU_DEP_2)
	v_sub_nc_u32_e32 v7, v1, v7
	v_lshrrev_b32_e32 v4, s41, v4
	s_delay_alu instid0(VALU_DEP_2) | instskip(NEXT) | instid1(VALU_DEP_2)
	v_mul_lo_u32 v7, v7, s48
	v_mul_hi_u32 v5, s43, v4
	v_mul_lo_u32 v8, v4, s39
	s_delay_alu instid0(VALU_DEP_2) | instskip(NEXT) | instid1(VALU_DEP_2)
	v_add_nc_u32_e32 v5, v4, v5
	v_sub_nc_u32_e32 v3, v3, v8
	s_delay_alu instid0(VALU_DEP_2) | instskip(NEXT) | instid1(VALU_DEP_2)
	v_lshrrev_b32_e32 v5, s44, v5
	v_mul_lo_u32 v3, v3, s49
	s_delay_alu instid0(VALU_DEP_2) | instskip(NEXT) | instid1(VALU_DEP_2)
	v_mul_hi_u32 v6, s46, v5
	v_add3_u32 v0, v7, v0, v3
	s_delay_alu instid0(VALU_DEP_2) | instskip(NEXT) | instid1(VALU_DEP_1)
	v_add_nc_u32_e32 v6, v5, v6
	v_lshrrev_b32_e32 v1, s47, v6
	v_mul_lo_u32 v6, v5, s42
	s_delay_alu instid0(VALU_DEP_2) | instskip(NEXT) | instid1(VALU_DEP_2)
	v_mul_lo_u32 v9, v1, s45
	v_sub_nc_u32_e32 v4, v4, v6
	s_delay_alu instid0(VALU_DEP_2) | instskip(NEXT) | instid1(VALU_DEP_2)
	v_sub_nc_u32_e32 v5, v5, v9
	v_mul_lo_u32 v4, v4, s50
	s_delay_alu instid0(VALU_DEP_2) | instskip(NEXT) | instid1(VALU_DEP_1)
	v_mul_lo_u32 v5, v5, s51
	v_add3_u32 v0, v4, v0, v5
	s_cbranch_scc1 .LBB85_6
	s_branch .LBB85_70
.LBB85_7:
	s_and_not1_saveexec_b32 s2, s21
	s_cbranch_execz .LBB85_94
.LBB85_8:
	v_cndmask_b32_e64 v3, 0, 1, s20
	s_and_not1_b32 vcc_lo, exec_lo, s20
	s_cbranch_vccnz .LBB85_20
; %bb.9:
	v_mov_b32_e32 v0, 0
	s_cmp_eq_u32 s18, 0
	s_mov_b32 s6, 0
	s_cbranch_scc1 .LBB85_26
; %bb.10:
	s_min_u32 s7, s19, 15
	v_mov_b32_e32 v0, 0
	s_add_i32 s7, s7, 1
	s_cmp_eq_u32 s19, 2
	s_mov_b32 s8, 0
	s_cbranch_scc1 .LBB85_23
; %bb.11:
	v_dual_mov_b32 v0, 0 :: v_dual_mov_b32 v1, v2
	s_add_u32 s2, s0, 0xc4
	s_addc_u32 s3, s1, 0
	s_and_b32 s8, s7, 28
	s_mov_b32 s9, 0
	s_mov_b64 s[4:5], s[0:1]
.LBB85_12:                              ; =>This Inner Loop Header: Depth=1
	s_clause 0x1
	s_load_b256 s[20:27], s[4:5], 0x4
	s_load_b128 s[12:15], s[4:5], 0x24
	s_load_b128 s[28:31], s[2:3], 0x0
	s_add_u32 s4, s4, 48
	s_addc_u32 s5, s5, 0
	s_add_i32 s9, s9, 4
	s_add_u32 s2, s2, 16
	s_addc_u32 s3, s3, 0
	s_cmp_lg_u32 s8, s9
	s_waitcnt lgkmcnt(0)
	v_mul_hi_u32 v5, s21, v1
	s_delay_alu instid0(VALU_DEP_1) | instskip(NEXT) | instid1(VALU_DEP_1)
	v_add_nc_u32_e32 v5, v1, v5
	v_lshrrev_b32_e32 v5, s22, v5
	s_delay_alu instid0(VALU_DEP_1) | instskip(SKIP_1) | instid1(VALU_DEP_2)
	v_mul_hi_u32 v6, s24, v5
	v_mul_lo_u32 v9, v5, s20
	v_add_nc_u32_e32 v6, v5, v6
	s_delay_alu instid0(VALU_DEP_2) | instskip(NEXT) | instid1(VALU_DEP_2)
	v_sub_nc_u32_e32 v9, v1, v9
	v_lshrrev_b32_e32 v6, s25, v6
	s_delay_alu instid0(VALU_DEP_2) | instskip(NEXT) | instid1(VALU_DEP_2)
	v_mul_lo_u32 v9, v9, s28
	v_mul_hi_u32 v7, s27, v6
	v_mul_lo_u32 v10, v6, s23
	s_delay_alu instid0(VALU_DEP_2) | instskip(NEXT) | instid1(VALU_DEP_2)
	v_add_nc_u32_e32 v7, v6, v7
	v_sub_nc_u32_e32 v5, v5, v10
	s_delay_alu instid0(VALU_DEP_2) | instskip(NEXT) | instid1(VALU_DEP_2)
	v_lshrrev_b32_e32 v7, s12, v7
	v_mul_lo_u32 v5, v5, s29
	s_delay_alu instid0(VALU_DEP_2) | instskip(NEXT) | instid1(VALU_DEP_2)
	v_mul_hi_u32 v8, s14, v7
	v_add3_u32 v0, v9, v0, v5
	s_delay_alu instid0(VALU_DEP_2) | instskip(NEXT) | instid1(VALU_DEP_1)
	v_add_nc_u32_e32 v8, v7, v8
	v_lshrrev_b32_e32 v1, s15, v8
	v_mul_lo_u32 v8, v7, s26
	s_delay_alu instid0(VALU_DEP_2) | instskip(NEXT) | instid1(VALU_DEP_2)
	v_mul_lo_u32 v11, v1, s13
	v_sub_nc_u32_e32 v6, v6, v8
	s_delay_alu instid0(VALU_DEP_2) | instskip(NEXT) | instid1(VALU_DEP_2)
	v_sub_nc_u32_e32 v7, v7, v11
	v_mul_lo_u32 v6, v6, s30
	s_delay_alu instid0(VALU_DEP_2) | instskip(NEXT) | instid1(VALU_DEP_1)
	v_mul_lo_u32 v7, v7, s31
	v_add3_u32 v0, v6, v0, v7
	s_cbranch_scc1 .LBB85_12
; %bb.13:
	s_and_b32 s7, s7, 3
	s_delay_alu instid0(SALU_CYCLE_1)
	s_cmp_eq_u32 s7, 0
	s_cbranch_scc0 .LBB85_24
	s_branch .LBB85_26
.LBB85_14:
	s_or_b32 exec_lo, exec_lo, s27
	s_delay_alu instid0(SALU_CYCLE_1)
	s_mov_b32 s27, exec_lo
	v_cmpx_gt_i32_e64 s24, v2
	s_cbranch_execz .LBB85_77
.LBB85_15:
	s_and_not1_b32 vcc_lo, exec_lo, s20
	s_cbranch_vccnz .LBB85_22
; %bb.16:
	v_mov_b32_e32 v0, 0
	s_and_not1_b32 vcc_lo, exec_lo, s26
	s_cbranch_vccnz .LBB85_88
; %bb.17:
	s_add_i32 s29, s25, 1
	s_cmp_eq_u32 s19, 2
	s_mov_b32 s28, 0
	s_cbranch_scc1 .LBB85_84
; %bb.18:
	v_dual_mov_b32 v0, 0 :: v_dual_mov_b32 v1, v2
	s_and_b32 s28, s29, 28
	s_mov_b32 s30, 0
	s_mov_b64 s[14:15], s[0:1]
	s_mov_b64 s[16:17], s[12:13]
.LBB85_19:                              ; =>This Inner Loop Header: Depth=1
	s_clause 0x1
	s_load_b256 s[36:43], s[14:15], 0x4
	s_load_b128 s[44:47], s[14:15], 0x24
	s_load_b128 s[48:51], s[16:17], 0x0
	s_add_u32 s14, s14, 48
	s_addc_u32 s15, s15, 0
	s_add_i32 s30, s30, 4
	s_add_u32 s16, s16, 16
	s_addc_u32 s17, s17, 0
	s_cmp_eq_u32 s28, s30
	s_waitcnt lgkmcnt(0)
	v_mul_hi_u32 v3, s37, v1
	s_delay_alu instid0(VALU_DEP_1) | instskip(NEXT) | instid1(VALU_DEP_1)
	v_add_nc_u32_e32 v3, v1, v3
	v_lshrrev_b32_e32 v3, s38, v3
	s_delay_alu instid0(VALU_DEP_1) | instskip(SKIP_1) | instid1(VALU_DEP_2)
	v_mul_hi_u32 v4, s40, v3
	v_mul_lo_u32 v7, v3, s36
	v_add_nc_u32_e32 v4, v3, v4
	s_delay_alu instid0(VALU_DEP_2) | instskip(NEXT) | instid1(VALU_DEP_2)
	v_sub_nc_u32_e32 v7, v1, v7
	v_lshrrev_b32_e32 v4, s41, v4
	s_delay_alu instid0(VALU_DEP_2) | instskip(NEXT) | instid1(VALU_DEP_2)
	v_mul_lo_u32 v7, v7, s48
	v_mul_hi_u32 v5, s43, v4
	v_mul_lo_u32 v8, v4, s39
	s_delay_alu instid0(VALU_DEP_2) | instskip(NEXT) | instid1(VALU_DEP_2)
	v_add_nc_u32_e32 v5, v4, v5
	v_sub_nc_u32_e32 v3, v3, v8
	s_delay_alu instid0(VALU_DEP_2) | instskip(NEXT) | instid1(VALU_DEP_2)
	v_lshrrev_b32_e32 v5, s44, v5
	v_mul_lo_u32 v3, v3, s49
	s_delay_alu instid0(VALU_DEP_2) | instskip(NEXT) | instid1(VALU_DEP_2)
	v_mul_hi_u32 v6, s46, v5
	v_add3_u32 v0, v7, v0, v3
	s_delay_alu instid0(VALU_DEP_2) | instskip(NEXT) | instid1(VALU_DEP_1)
	v_add_nc_u32_e32 v6, v5, v6
	v_lshrrev_b32_e32 v1, s47, v6
	v_mul_lo_u32 v6, v5, s42
	s_delay_alu instid0(VALU_DEP_2) | instskip(NEXT) | instid1(VALU_DEP_2)
	v_mul_lo_u32 v9, v1, s45
	v_sub_nc_u32_e32 v4, v4, v6
	s_delay_alu instid0(VALU_DEP_2) | instskip(NEXT) | instid1(VALU_DEP_2)
	v_sub_nc_u32_e32 v5, v5, v9
	v_mul_lo_u32 v4, v4, s50
	s_delay_alu instid0(VALU_DEP_2) | instskip(NEXT) | instid1(VALU_DEP_1)
	v_mul_lo_u32 v5, v5, s51
	v_add3_u32 v0, v4, v0, v5
	s_cbranch_scc0 .LBB85_19
	s_branch .LBB85_85
.LBB85_20:
	s_mov_b32 s6, -1
                                        ; implicit-def: $vgpr0
	s_branch .LBB85_26
.LBB85_21:
                                        ; implicit-def: $vgpr0
	s_branch .LBB85_74
.LBB85_22:
                                        ; implicit-def: $vgpr0
	s_branch .LBB85_89
.LBB85_23:
	v_mov_b32_e32 v1, v2
	s_and_b32 s7, s7, 3
	s_delay_alu instid0(SALU_CYCLE_1)
	s_cmp_eq_u32 s7, 0
	s_cbranch_scc1 .LBB85_26
.LBB85_24:
	s_lshl_b32 s2, s8, 2
	s_mul_i32 s4, s8, 12
	s_add_u32 s2, s2, s0
	s_addc_u32 s3, 0, s1
	s_add_u32 s2, s2, 0xc4
	s_addc_u32 s3, s3, 0
	;; [unrolled: 2-line block ×3, first 2 shown]
	.p2align	6
.LBB85_25:                              ; =>This Inner Loop Header: Depth=1
	s_clause 0x1
	s_load_b64 s[8:9], s[4:5], 0x4
	s_load_b32 s10, s[4:5], 0xc
	s_add_u32 s4, s4, 12
	s_addc_u32 s5, s5, 0
	s_waitcnt lgkmcnt(0)
	v_mul_hi_u32 v5, s9, v1
	s_load_b32 s9, s[2:3], 0x0
	s_add_u32 s2, s2, 4
	s_addc_u32 s3, s3, 0
	s_add_i32 s7, s7, -1
	s_delay_alu instid0(SALU_CYCLE_1) | instskip(NEXT) | instid1(VALU_DEP_1)
	s_cmp_lg_u32 s7, 0
	v_add_nc_u32_e32 v5, v1, v5
	s_delay_alu instid0(VALU_DEP_1) | instskip(NEXT) | instid1(VALU_DEP_1)
	v_lshrrev_b32_e32 v7, s10, v5
	v_mul_lo_u32 v5, v7, s8
	s_delay_alu instid0(VALU_DEP_1) | instskip(SKIP_1) | instid1(VALU_DEP_1)
	v_sub_nc_u32_e32 v1, v1, v5
	s_waitcnt lgkmcnt(0)
	v_mad_u64_u32 v[5:6], null, v1, s9, v[0:1]
	s_delay_alu instid0(VALU_DEP_1)
	v_dual_mov_b32 v1, v7 :: v_dual_mov_b32 v0, v5
	s_cbranch_scc1 .LBB85_25
.LBB85_26:
	s_and_not1_b32 vcc_lo, exec_lo, s6
	s_cbranch_vccnz .LBB85_29
; %bb.27:
	s_clause 0x1
	s_load_b128 s[4:7], s[0:1], 0x4
	s_load_b32 s2, s[0:1], 0xc4
	s_cmp_lt_u32 s18, 2
	s_waitcnt lgkmcnt(0)
	v_mul_hi_u32 v0, s5, v2
	s_delay_alu instid0(VALU_DEP_1) | instskip(NEXT) | instid1(VALU_DEP_1)
	v_add_nc_u32_e32 v0, v2, v0
	v_lshrrev_b32_e32 v1, s6, v0
	s_delay_alu instid0(VALU_DEP_1) | instskip(NEXT) | instid1(VALU_DEP_1)
	v_mul_lo_u32 v0, v1, s4
	v_sub_nc_u32_e32 v0, v2, v0
	s_delay_alu instid0(VALU_DEP_1)
	v_mul_lo_u32 v0, v0, s2
	s_cbranch_scc1 .LBB85_29
; %bb.28:
	s_clause 0x1
	s_load_b128 s[4:7], s[0:1], 0x10
	s_load_b32 s2, s[0:1], 0xc8
	s_waitcnt lgkmcnt(0)
	v_mul_hi_u32 v5, s5, v1
	s_delay_alu instid0(VALU_DEP_1) | instskip(NEXT) | instid1(VALU_DEP_1)
	v_add_nc_u32_e32 v5, v1, v5
	v_lshrrev_b32_e32 v5, s6, v5
	s_delay_alu instid0(VALU_DEP_1) | instskip(NEXT) | instid1(VALU_DEP_1)
	v_mul_lo_u32 v5, v5, s4
	v_sub_nc_u32_e32 v1, v1, v5
	s_delay_alu instid0(VALU_DEP_1) | instskip(NEXT) | instid1(VALU_DEP_1)
	v_mad_u64_u32 v[5:6], null, v1, s2, v[0:1]
	v_mov_b32_e32 v0, v5
.LBB85_29:
	v_cmp_ne_u32_e32 vcc_lo, 1, v3
	v_add_nc_u32_e32 v5, 0x80, v2
	s_cbranch_vccnz .LBB85_35
; %bb.30:
	v_mov_b32_e32 v1, 0
	s_cmp_eq_u32 s18, 0
	s_mov_b32 s6, 0
	s_cbranch_scc1 .LBB85_39
; %bb.31:
	s_min_u32 s7, s19, 15
	v_mov_b32_e32 v1, 0
	s_add_i32 s7, s7, 1
	s_cmp_eq_u32 s19, 2
	s_mov_b32 s8, 0
	s_cbranch_scc1 .LBB85_36
; %bb.32:
	v_dual_mov_b32 v1, 0 :: v_dual_mov_b32 v6, v5
	s_add_u32 s2, s0, 0xc4
	s_addc_u32 s3, s1, 0
	s_and_b32 s8, s7, 28
	s_mov_b32 s9, 0
	s_mov_b64 s[4:5], s[0:1]
.LBB85_33:                              ; =>This Inner Loop Header: Depth=1
	s_clause 0x1
	s_load_b256 s[20:27], s[4:5], 0x4
	s_load_b128 s[12:15], s[4:5], 0x24
	s_load_b128 s[28:31], s[2:3], 0x0
	s_add_u32 s4, s4, 48
	s_addc_u32 s5, s5, 0
	s_add_i32 s9, s9, 4
	s_add_u32 s2, s2, 16
	s_addc_u32 s3, s3, 0
	s_cmp_lg_u32 s8, s9
	s_waitcnt lgkmcnt(0)
	v_mul_hi_u32 v7, s21, v6
	s_delay_alu instid0(VALU_DEP_1) | instskip(NEXT) | instid1(VALU_DEP_1)
	v_add_nc_u32_e32 v7, v6, v7
	v_lshrrev_b32_e32 v7, s22, v7
	s_delay_alu instid0(VALU_DEP_1) | instskip(SKIP_1) | instid1(VALU_DEP_2)
	v_mul_hi_u32 v8, s24, v7
	v_mul_lo_u32 v11, v7, s20
	v_add_nc_u32_e32 v8, v7, v8
	s_delay_alu instid0(VALU_DEP_2) | instskip(NEXT) | instid1(VALU_DEP_2)
	v_sub_nc_u32_e32 v11, v6, v11
	v_lshrrev_b32_e32 v8, s25, v8
	s_delay_alu instid0(VALU_DEP_2) | instskip(NEXT) | instid1(VALU_DEP_2)
	v_mul_lo_u32 v11, v11, s28
	v_mul_hi_u32 v9, s27, v8
	v_mul_lo_u32 v12, v8, s23
	s_delay_alu instid0(VALU_DEP_2) | instskip(NEXT) | instid1(VALU_DEP_2)
	v_add_nc_u32_e32 v9, v8, v9
	v_sub_nc_u32_e32 v7, v7, v12
	s_delay_alu instid0(VALU_DEP_2) | instskip(NEXT) | instid1(VALU_DEP_2)
	v_lshrrev_b32_e32 v9, s12, v9
	v_mul_lo_u32 v7, v7, s29
	s_delay_alu instid0(VALU_DEP_2) | instskip(NEXT) | instid1(VALU_DEP_2)
	v_mul_hi_u32 v10, s14, v9
	v_add3_u32 v1, v11, v1, v7
	s_delay_alu instid0(VALU_DEP_2) | instskip(NEXT) | instid1(VALU_DEP_1)
	v_add_nc_u32_e32 v10, v9, v10
	v_lshrrev_b32_e32 v6, s15, v10
	v_mul_lo_u32 v10, v9, s26
	s_delay_alu instid0(VALU_DEP_2) | instskip(NEXT) | instid1(VALU_DEP_2)
	v_mul_lo_u32 v13, v6, s13
	v_sub_nc_u32_e32 v8, v8, v10
	s_delay_alu instid0(VALU_DEP_2) | instskip(NEXT) | instid1(VALU_DEP_2)
	v_sub_nc_u32_e32 v9, v9, v13
	v_mul_lo_u32 v8, v8, s30
	s_delay_alu instid0(VALU_DEP_2) | instskip(NEXT) | instid1(VALU_DEP_1)
	v_mul_lo_u32 v9, v9, s31
	v_add3_u32 v1, v8, v1, v9
	s_cbranch_scc1 .LBB85_33
; %bb.34:
	s_and_b32 s7, s7, 3
	s_delay_alu instid0(SALU_CYCLE_1)
	s_cmp_eq_u32 s7, 0
	s_cbranch_scc0 .LBB85_37
	s_branch .LBB85_39
.LBB85_35:
	s_mov_b32 s6, -1
                                        ; implicit-def: $vgpr1
	s_branch .LBB85_39
.LBB85_36:
	v_mov_b32_e32 v6, v5
	s_and_b32 s7, s7, 3
	s_delay_alu instid0(SALU_CYCLE_1)
	s_cmp_eq_u32 s7, 0
	s_cbranch_scc1 .LBB85_39
.LBB85_37:
	s_lshl_b32 s2, s8, 2
	s_mul_i32 s4, s8, 12
	s_add_u32 s2, s2, s0
	s_addc_u32 s3, 0, s1
	s_add_u32 s2, s2, 0xc4
	s_addc_u32 s3, s3, 0
	;; [unrolled: 2-line block ×3, first 2 shown]
	.p2align	6
.LBB85_38:                              ; =>This Inner Loop Header: Depth=1
	s_clause 0x1
	s_load_b64 s[8:9], s[4:5], 0x4
	s_load_b32 s10, s[4:5], 0xc
	s_add_u32 s4, s4, 12
	s_addc_u32 s5, s5, 0
	s_waitcnt lgkmcnt(0)
	v_mul_hi_u32 v7, s9, v6
	s_load_b32 s9, s[2:3], 0x0
	s_add_u32 s2, s2, 4
	s_addc_u32 s3, s3, 0
	s_add_i32 s7, s7, -1
	s_delay_alu instid0(SALU_CYCLE_1) | instskip(NEXT) | instid1(VALU_DEP_1)
	s_cmp_lg_u32 s7, 0
	v_add_nc_u32_e32 v7, v6, v7
	s_delay_alu instid0(VALU_DEP_1) | instskip(NEXT) | instid1(VALU_DEP_1)
	v_lshrrev_b32_e32 v9, s10, v7
	v_mul_lo_u32 v7, v9, s8
	s_delay_alu instid0(VALU_DEP_1) | instskip(SKIP_1) | instid1(VALU_DEP_1)
	v_sub_nc_u32_e32 v6, v6, v7
	s_waitcnt lgkmcnt(0)
	v_mad_u64_u32 v[7:8], null, v6, s9, v[1:2]
	s_delay_alu instid0(VALU_DEP_1)
	v_dual_mov_b32 v6, v9 :: v_dual_mov_b32 v1, v7
	s_cbranch_scc1 .LBB85_38
.LBB85_39:
	s_and_not1_b32 vcc_lo, exec_lo, s6
	s_cbranch_vccnz .LBB85_42
; %bb.40:
	s_clause 0x1
	s_load_b128 s[4:7], s[0:1], 0x4
	s_load_b32 s2, s[0:1], 0xc4
	s_cmp_lt_u32 s18, 2
	s_waitcnt lgkmcnt(0)
	v_mul_hi_u32 v1, s5, v5
	s_delay_alu instid0(VALU_DEP_1) | instskip(NEXT) | instid1(VALU_DEP_1)
	v_add_nc_u32_e32 v1, v5, v1
	v_lshrrev_b32_e32 v6, s6, v1
	s_delay_alu instid0(VALU_DEP_1) | instskip(NEXT) | instid1(VALU_DEP_1)
	v_mul_lo_u32 v1, v6, s4
	v_sub_nc_u32_e32 v1, v5, v1
	s_delay_alu instid0(VALU_DEP_1)
	v_mul_lo_u32 v1, v1, s2
	s_cbranch_scc1 .LBB85_42
; %bb.41:
	s_clause 0x1
	s_load_b128 s[4:7], s[0:1], 0x10
	s_load_b32 s2, s[0:1], 0xc8
	s_waitcnt lgkmcnt(0)
	v_mul_hi_u32 v5, s5, v6
	s_delay_alu instid0(VALU_DEP_1) | instskip(NEXT) | instid1(VALU_DEP_1)
	v_add_nc_u32_e32 v5, v6, v5
	v_lshrrev_b32_e32 v5, s6, v5
	s_delay_alu instid0(VALU_DEP_1) | instskip(NEXT) | instid1(VALU_DEP_1)
	v_mul_lo_u32 v5, v5, s4
	v_sub_nc_u32_e32 v7, v6, v5
	s_delay_alu instid0(VALU_DEP_1) | instskip(NEXT) | instid1(VALU_DEP_1)
	v_mad_u64_u32 v[5:6], null, v7, s2, v[1:2]
	v_mov_b32_e32 v1, v5
.LBB85_42:
	v_cmp_ne_u32_e32 vcc_lo, 1, v3
	v_add_nc_u32_e32 v5, 0x100, v2
	s_cbranch_vccnz .LBB85_48
; %bb.43:
	v_mov_b32_e32 v2, 0
	s_cmp_eq_u32 s18, 0
	s_mov_b32 s6, 0
	s_cbranch_scc1 .LBB85_52
; %bb.44:
	s_min_u32 s7, s19, 15
	v_mov_b32_e32 v2, 0
	s_add_i32 s7, s7, 1
	s_cmp_eq_u32 s19, 2
	s_mov_b32 s8, 0
	s_cbranch_scc1 .LBB85_49
; %bb.45:
	v_mov_b32_e32 v2, 0
	v_mov_b32_e32 v6, v5
	s_add_u32 s2, s0, 0xc4
	s_addc_u32 s3, s1, 0
	s_and_b32 s8, s7, 28
	s_mov_b32 s9, 0
	s_mov_b64 s[4:5], s[0:1]
.LBB85_46:                              ; =>This Inner Loop Header: Depth=1
	s_clause 0x1
	s_load_b256 s[20:27], s[4:5], 0x4
	s_load_b128 s[12:15], s[4:5], 0x24
	s_load_b128 s[28:31], s[2:3], 0x0
	s_add_u32 s4, s4, 48
	s_addc_u32 s5, s5, 0
	s_add_i32 s9, s9, 4
	s_add_u32 s2, s2, 16
	s_addc_u32 s3, s3, 0
	s_cmp_lg_u32 s8, s9
	s_waitcnt lgkmcnt(0)
	v_mul_hi_u32 v7, s21, v6
	s_delay_alu instid0(VALU_DEP_1) | instskip(NEXT) | instid1(VALU_DEP_1)
	v_add_nc_u32_e32 v7, v6, v7
	v_lshrrev_b32_e32 v7, s22, v7
	s_delay_alu instid0(VALU_DEP_1) | instskip(SKIP_1) | instid1(VALU_DEP_2)
	v_mul_hi_u32 v8, s24, v7
	v_mul_lo_u32 v11, v7, s20
	v_add_nc_u32_e32 v8, v7, v8
	s_delay_alu instid0(VALU_DEP_2) | instskip(NEXT) | instid1(VALU_DEP_2)
	v_sub_nc_u32_e32 v11, v6, v11
	v_lshrrev_b32_e32 v8, s25, v8
	s_delay_alu instid0(VALU_DEP_2) | instskip(NEXT) | instid1(VALU_DEP_2)
	v_mul_lo_u32 v11, v11, s28
	v_mul_hi_u32 v9, s27, v8
	v_mul_lo_u32 v12, v8, s23
	s_delay_alu instid0(VALU_DEP_2) | instskip(NEXT) | instid1(VALU_DEP_2)
	v_add_nc_u32_e32 v9, v8, v9
	v_sub_nc_u32_e32 v7, v7, v12
	s_delay_alu instid0(VALU_DEP_2) | instskip(NEXT) | instid1(VALU_DEP_2)
	v_lshrrev_b32_e32 v9, s12, v9
	v_mul_lo_u32 v7, v7, s29
	s_delay_alu instid0(VALU_DEP_2) | instskip(NEXT) | instid1(VALU_DEP_2)
	v_mul_hi_u32 v10, s14, v9
	v_add3_u32 v2, v11, v2, v7
	s_delay_alu instid0(VALU_DEP_2) | instskip(NEXT) | instid1(VALU_DEP_1)
	v_add_nc_u32_e32 v10, v9, v10
	v_lshrrev_b32_e32 v6, s15, v10
	v_mul_lo_u32 v10, v9, s26
	s_delay_alu instid0(VALU_DEP_2) | instskip(NEXT) | instid1(VALU_DEP_2)
	v_mul_lo_u32 v13, v6, s13
	v_sub_nc_u32_e32 v8, v8, v10
	s_delay_alu instid0(VALU_DEP_2) | instskip(NEXT) | instid1(VALU_DEP_2)
	v_sub_nc_u32_e32 v9, v9, v13
	v_mul_lo_u32 v8, v8, s30
	s_delay_alu instid0(VALU_DEP_2) | instskip(NEXT) | instid1(VALU_DEP_1)
	v_mul_lo_u32 v9, v9, s31
	v_add3_u32 v2, v8, v2, v9
	s_cbranch_scc1 .LBB85_46
; %bb.47:
	s_and_b32 s7, s7, 3
	s_delay_alu instid0(SALU_CYCLE_1)
	s_cmp_eq_u32 s7, 0
	s_cbranch_scc0 .LBB85_50
	s_branch .LBB85_52
.LBB85_48:
	s_mov_b32 s6, -1
                                        ; implicit-def: $vgpr2
	s_branch .LBB85_52
.LBB85_49:
	v_mov_b32_e32 v6, v5
	s_and_b32 s7, s7, 3
	s_delay_alu instid0(SALU_CYCLE_1)
	s_cmp_eq_u32 s7, 0
	s_cbranch_scc1 .LBB85_52
.LBB85_50:
	s_lshl_b32 s2, s8, 2
	s_mul_i32 s4, s8, 12
	s_add_u32 s2, s2, s0
	s_addc_u32 s3, 0, s1
	s_add_u32 s2, s2, 0xc4
	s_addc_u32 s3, s3, 0
	s_add_u32 s4, s0, s4
	s_addc_u32 s5, 0, s1
	.p2align	6
.LBB85_51:                              ; =>This Inner Loop Header: Depth=1
	s_clause 0x1
	s_load_b64 s[8:9], s[4:5], 0x4
	s_load_b32 s10, s[4:5], 0xc
	s_add_u32 s4, s4, 12
	s_addc_u32 s5, s5, 0
	s_waitcnt lgkmcnt(0)
	v_mul_hi_u32 v7, s9, v6
	s_load_b32 s9, s[2:3], 0x0
	s_add_u32 s2, s2, 4
	s_addc_u32 s3, s3, 0
	s_add_i32 s7, s7, -1
	s_delay_alu instid0(SALU_CYCLE_1) | instskip(NEXT) | instid1(VALU_DEP_1)
	s_cmp_lg_u32 s7, 0
	v_add_nc_u32_e32 v7, v6, v7
	s_delay_alu instid0(VALU_DEP_1) | instskip(NEXT) | instid1(VALU_DEP_1)
	v_lshrrev_b32_e32 v9, s10, v7
	v_mul_lo_u32 v7, v9, s8
	s_delay_alu instid0(VALU_DEP_1) | instskip(SKIP_1) | instid1(VALU_DEP_1)
	v_sub_nc_u32_e32 v6, v6, v7
	s_waitcnt lgkmcnt(0)
	v_mad_u64_u32 v[7:8], null, v6, s9, v[2:3]
	v_mov_b32_e32 v6, v9
	s_delay_alu instid0(VALU_DEP_2)
	v_mov_b32_e32 v2, v7
	s_cbranch_scc1 .LBB85_51
.LBB85_52:
	s_and_not1_b32 vcc_lo, exec_lo, s6
	s_cbranch_vccnz .LBB85_55
; %bb.53:
	s_clause 0x1
	s_load_b128 s[4:7], s[0:1], 0x4
	s_load_b32 s2, s[0:1], 0xc4
	s_cmp_lt_u32 s18, 2
	s_waitcnt lgkmcnt(0)
	v_mul_hi_u32 v2, s5, v5
	s_delay_alu instid0(VALU_DEP_1) | instskip(NEXT) | instid1(VALU_DEP_1)
	v_add_nc_u32_e32 v2, v5, v2
	v_lshrrev_b32_e32 v6, s6, v2
	s_delay_alu instid0(VALU_DEP_1) | instskip(NEXT) | instid1(VALU_DEP_1)
	v_mul_lo_u32 v2, v6, s4
	v_sub_nc_u32_e32 v2, v5, v2
	s_delay_alu instid0(VALU_DEP_1)
	v_mul_lo_u32 v2, v2, s2
	s_cbranch_scc1 .LBB85_55
; %bb.54:
	s_clause 0x1
	s_load_b128 s[4:7], s[0:1], 0x10
	s_load_b32 s2, s[0:1], 0xc8
	s_waitcnt lgkmcnt(0)
	v_mul_hi_u32 v5, s5, v6
	s_delay_alu instid0(VALU_DEP_1) | instskip(NEXT) | instid1(VALU_DEP_1)
	v_add_nc_u32_e32 v5, v6, v5
	v_lshrrev_b32_e32 v5, s6, v5
	s_delay_alu instid0(VALU_DEP_1) | instskip(NEXT) | instid1(VALU_DEP_1)
	v_mul_lo_u32 v5, v5, s4
	v_sub_nc_u32_e32 v7, v6, v5
	s_delay_alu instid0(VALU_DEP_1) | instskip(NEXT) | instid1(VALU_DEP_1)
	v_mad_u64_u32 v[5:6], null, v7, s2, v[2:3]
	v_mov_b32_e32 v2, v5
.LBB85_55:
	v_cmp_ne_u32_e32 vcc_lo, 1, v3
	s_cbranch_vccnz .LBB85_61
; %bb.56:
	v_mov_b32_e32 v3, 0
	s_cmp_eq_u32 s18, 0
	s_mov_b32 s6, 0
	s_cbranch_scc1 .LBB85_65
; %bb.57:
	s_min_u32 s7, s19, 15
	v_mov_b32_e32 v3, 0
	s_add_i32 s7, s7, 1
	s_cmp_eq_u32 s19, 2
	s_mov_b32 s8, 0
	s_cbranch_scc1 .LBB85_62
; %bb.58:
	v_mov_b32_e32 v3, 0
	v_mov_b32_e32 v5, v4
	s_add_u32 s2, s0, 0xc4
	s_addc_u32 s3, s1, 0
	s_and_b32 s8, s7, 28
	s_mov_b32 s9, 0
	s_mov_b64 s[4:5], s[0:1]
.LBB85_59:                              ; =>This Inner Loop Header: Depth=1
	s_clause 0x1
	s_load_b256 s[20:27], s[4:5], 0x4
	s_load_b128 s[12:15], s[4:5], 0x24
	s_load_b128 s[28:31], s[2:3], 0x0
	s_add_u32 s4, s4, 48
	s_addc_u32 s5, s5, 0
	s_add_i32 s9, s9, 4
	s_add_u32 s2, s2, 16
	s_addc_u32 s3, s3, 0
	s_cmp_lg_u32 s8, s9
	s_waitcnt lgkmcnt(0)
	v_mul_hi_u32 v6, s21, v5
	s_delay_alu instid0(VALU_DEP_1) | instskip(NEXT) | instid1(VALU_DEP_1)
	v_add_nc_u32_e32 v6, v5, v6
	v_lshrrev_b32_e32 v6, s22, v6
	s_delay_alu instid0(VALU_DEP_1) | instskip(SKIP_1) | instid1(VALU_DEP_2)
	v_mul_hi_u32 v7, s24, v6
	v_mul_lo_u32 v10, v6, s20
	v_add_nc_u32_e32 v7, v6, v7
	s_delay_alu instid0(VALU_DEP_2) | instskip(NEXT) | instid1(VALU_DEP_2)
	v_sub_nc_u32_e32 v10, v5, v10
	v_lshrrev_b32_e32 v7, s25, v7
	s_delay_alu instid0(VALU_DEP_2) | instskip(NEXT) | instid1(VALU_DEP_2)
	v_mul_lo_u32 v10, v10, s28
	v_mul_hi_u32 v8, s27, v7
	v_mul_lo_u32 v11, v7, s23
	s_delay_alu instid0(VALU_DEP_2) | instskip(NEXT) | instid1(VALU_DEP_2)
	v_add_nc_u32_e32 v8, v7, v8
	v_sub_nc_u32_e32 v6, v6, v11
	s_delay_alu instid0(VALU_DEP_2) | instskip(NEXT) | instid1(VALU_DEP_2)
	v_lshrrev_b32_e32 v8, s12, v8
	v_mul_lo_u32 v6, v6, s29
	s_delay_alu instid0(VALU_DEP_2) | instskip(NEXT) | instid1(VALU_DEP_2)
	v_mul_hi_u32 v9, s14, v8
	v_add3_u32 v3, v10, v3, v6
	s_delay_alu instid0(VALU_DEP_2) | instskip(NEXT) | instid1(VALU_DEP_1)
	v_add_nc_u32_e32 v9, v8, v9
	v_lshrrev_b32_e32 v5, s15, v9
	v_mul_lo_u32 v9, v8, s26
	s_delay_alu instid0(VALU_DEP_2) | instskip(NEXT) | instid1(VALU_DEP_2)
	v_mul_lo_u32 v12, v5, s13
	v_sub_nc_u32_e32 v7, v7, v9
	s_delay_alu instid0(VALU_DEP_2) | instskip(NEXT) | instid1(VALU_DEP_2)
	v_sub_nc_u32_e32 v8, v8, v12
	v_mul_lo_u32 v7, v7, s30
	s_delay_alu instid0(VALU_DEP_2) | instskip(NEXT) | instid1(VALU_DEP_1)
	v_mul_lo_u32 v8, v8, s31
	v_add3_u32 v3, v7, v3, v8
	s_cbranch_scc1 .LBB85_59
; %bb.60:
	s_and_b32 s7, s7, 3
	s_delay_alu instid0(SALU_CYCLE_1)
	s_cmp_eq_u32 s7, 0
	s_cbranch_scc0 .LBB85_63
	s_branch .LBB85_65
.LBB85_61:
	s_mov_b32 s6, -1
                                        ; implicit-def: $vgpr3
	s_branch .LBB85_65
.LBB85_62:
	v_mov_b32_e32 v5, v4
	s_and_b32 s7, s7, 3
	s_delay_alu instid0(SALU_CYCLE_1)
	s_cmp_eq_u32 s7, 0
	s_cbranch_scc1 .LBB85_65
.LBB85_63:
	s_lshl_b32 s2, s8, 2
	s_mul_i32 s4, s8, 12
	s_add_u32 s2, s2, s0
	s_addc_u32 s3, 0, s1
	s_add_u32 s2, s2, 0xc4
	s_addc_u32 s3, s3, 0
	;; [unrolled: 2-line block ×3, first 2 shown]
	.p2align	6
.LBB85_64:                              ; =>This Inner Loop Header: Depth=1
	s_clause 0x1
	s_load_b64 s[8:9], s[4:5], 0x4
	s_load_b32 s10, s[4:5], 0xc
	s_add_u32 s4, s4, 12
	s_addc_u32 s5, s5, 0
	s_waitcnt lgkmcnt(0)
	v_mul_hi_u32 v6, s9, v5
	s_load_b32 s9, s[2:3], 0x0
	s_add_u32 s2, s2, 4
	s_addc_u32 s3, s3, 0
	s_add_i32 s7, s7, -1
	s_delay_alu instid0(SALU_CYCLE_1) | instskip(NEXT) | instid1(VALU_DEP_1)
	s_cmp_lg_u32 s7, 0
	v_add_nc_u32_e32 v6, v5, v6
	s_delay_alu instid0(VALU_DEP_1) | instskip(NEXT) | instid1(VALU_DEP_1)
	v_lshrrev_b32_e32 v8, s10, v6
	v_mul_lo_u32 v6, v8, s8
	s_delay_alu instid0(VALU_DEP_1) | instskip(SKIP_1) | instid1(VALU_DEP_1)
	v_sub_nc_u32_e32 v5, v5, v6
	s_waitcnt lgkmcnt(0)
	v_mad_u64_u32 v[6:7], null, v5, s9, v[3:4]
	v_mov_b32_e32 v5, v8
	s_delay_alu instid0(VALU_DEP_2)
	v_mov_b32_e32 v3, v6
	s_cbranch_scc1 .LBB85_64
.LBB85_65:
	s_and_not1_b32 vcc_lo, exec_lo, s6
	s_cbranch_vccnz .LBB85_68
; %bb.66:
	s_clause 0x1
	s_load_b128 s[4:7], s[0:1], 0x4
	s_load_b32 s2, s[0:1], 0xc4
	s_cmp_lt_u32 s18, 2
	s_waitcnt lgkmcnt(0)
	v_mul_hi_u32 v3, s5, v4
	s_delay_alu instid0(VALU_DEP_1) | instskip(NEXT) | instid1(VALU_DEP_1)
	v_add_nc_u32_e32 v3, v4, v3
	v_lshrrev_b32_e32 v5, s6, v3
	s_delay_alu instid0(VALU_DEP_1) | instskip(NEXT) | instid1(VALU_DEP_1)
	v_mul_lo_u32 v3, v5, s4
	v_sub_nc_u32_e32 v3, v4, v3
	s_delay_alu instid0(VALU_DEP_1)
	v_mul_lo_u32 v3, v3, s2
	s_cbranch_scc1 .LBB85_68
; %bb.67:
	s_clause 0x1
	s_load_b128 s[4:7], s[0:1], 0x10
	s_load_b32 s2, s[0:1], 0xc8
	s_waitcnt lgkmcnt(0)
	v_mul_hi_u32 v4, s5, v5
	s_delay_alu instid0(VALU_DEP_1) | instskip(NEXT) | instid1(VALU_DEP_1)
	v_add_nc_u32_e32 v4, v5, v4
	v_lshrrev_b32_e32 v4, s6, v4
	s_delay_alu instid0(VALU_DEP_1) | instskip(NEXT) | instid1(VALU_DEP_1)
	v_mul_lo_u32 v4, v4, s4
	v_sub_nc_u32_e32 v6, v5, v4
	s_delay_alu instid0(VALU_DEP_1) | instskip(NEXT) | instid1(VALU_DEP_1)
	v_mad_u64_u32 v[4:5], null, v6, s2, v[3:4]
	v_mov_b32_e32 v3, v4
.LBB85_68:
	s_clause 0x1
	s_load_b32 s2, s[0:1], 0x110
	s_load_b64 s[0:1], s[0:1], 0x108
	s_waitcnt lgkmcnt(0)
	v_mov_b32_e32 v4, s2
	s_clause 0x3
	global_store_b32 v0, v4, s[0:1]
	global_store_b32 v1, v4, s[0:1]
	;; [unrolled: 1-line block ×4, first 2 shown]
	s_nop 0
	s_sendmsg sendmsg(MSG_DEALLOC_VGPRS)
	s_endpgm
.LBB85_69:
	v_mov_b32_e32 v1, v2
.LBB85_70:
	s_and_b32 s29, s29, 3
	s_delay_alu instid0(SALU_CYCLE_1)
	s_cmp_eq_u32 s29, 0
	s_cbranch_scc1 .LBB85_73
; %bb.71:
	s_lshl_b32 s14, s28, 2
	s_mul_i32 s16, s28, 12
	s_add_u32 s14, s14, s0
	s_addc_u32 s15, s1, 0
	s_add_u32 s14, s14, 0xc4
	s_addc_u32 s15, s15, 0
	;; [unrolled: 2-line block ×3, first 2 shown]
	.p2align	6
.LBB85_72:                              ; =>This Inner Loop Header: Depth=1
	s_clause 0x1
	s_load_b64 s[30:31], s[16:17], 0x4
	s_load_b32 s28, s[16:17], 0xc
	s_add_u32 s16, s16, 12
	s_addc_u32 s17, s17, 0
	s_waitcnt lgkmcnt(0)
	v_mul_hi_u32 v3, s31, v1
	s_load_b32 s31, s[14:15], 0x0
	s_add_u32 s14, s14, 4
	s_addc_u32 s15, s15, 0
	s_add_i32 s29, s29, -1
	s_delay_alu instid0(SALU_CYCLE_1) | instskip(NEXT) | instid1(VALU_DEP_1)
	s_cmp_lg_u32 s29, 0
	v_add_nc_u32_e32 v3, v1, v3
	s_delay_alu instid0(VALU_DEP_1) | instskip(NEXT) | instid1(VALU_DEP_1)
	v_lshrrev_b32_e32 v5, s28, v3
	v_mul_lo_u32 v3, v5, s30
	s_delay_alu instid0(VALU_DEP_1) | instskip(SKIP_1) | instid1(VALU_DEP_1)
	v_sub_nc_u32_e32 v1, v1, v3
	s_waitcnt lgkmcnt(0)
	v_mad_u64_u32 v[3:4], null, v1, s31, v[0:1]
	s_delay_alu instid0(VALU_DEP_1)
	v_dual_mov_b32 v1, v5 :: v_dual_mov_b32 v0, v3
	s_cbranch_scc1 .LBB85_72
.LBB85_73:
	s_cbranch_execnz .LBB85_76
.LBB85_74:
	s_waitcnt lgkmcnt(0)
	v_mul_hi_u32 v0, s5, v2
	s_and_not1_b32 vcc_lo, exec_lo, s23
	s_delay_alu instid0(VALU_DEP_1) | instskip(NEXT) | instid1(VALU_DEP_1)
	v_add_nc_u32_e32 v0, v2, v0
	v_lshrrev_b32_e32 v1, s6, v0
	s_delay_alu instid0(VALU_DEP_1) | instskip(NEXT) | instid1(VALU_DEP_1)
	v_mul_lo_u32 v0, v1, s4
	v_sub_nc_u32_e32 v0, v2, v0
	s_delay_alu instid0(VALU_DEP_1)
	v_mul_lo_u32 v0, v0, s8
	s_cbranch_vccnz .LBB85_76
; %bb.75:
	v_mul_hi_u32 v3, s10, v1
	s_delay_alu instid0(VALU_DEP_1) | instskip(NEXT) | instid1(VALU_DEP_1)
	v_add_nc_u32_e32 v3, v1, v3
	v_lshrrev_b32_e32 v3, s11, v3
	s_delay_alu instid0(VALU_DEP_1) | instskip(NEXT) | instid1(VALU_DEP_1)
	v_mul_lo_u32 v3, v3, s7
	v_sub_nc_u32_e32 v1, v1, v3
	s_delay_alu instid0(VALU_DEP_1) | instskip(NEXT) | instid1(VALU_DEP_1)
	v_mad_u64_u32 v[3:4], null, v1, s9, v[0:1]
	v_mov_b32_e32 v0, v3
.LBB85_76:
	s_waitcnt lgkmcnt(0)
	v_dual_mov_b32 v1, s22 :: v_dual_add_nc_u32 v2, 0x80, v2
	global_store_b32 v0, v1, s[2:3]
	s_or_b32 exec_lo, exec_lo, s27
	s_delay_alu instid0(SALU_CYCLE_1)
	s_mov_b32 s27, exec_lo
	v_cmpx_gt_i32_e64 s24, v2
	s_cbranch_execnz .LBB85_15
.LBB85_77:
	s_or_b32 exec_lo, exec_lo, s27
	s_delay_alu instid0(SALU_CYCLE_1)
	s_mov_b32 s27, exec_lo
	v_cmpx_gt_i32_e64 s24, v2
	s_cbranch_execz .LBB85_92
.LBB85_78:
	s_and_not1_b32 vcc_lo, exec_lo, s20
	s_cbranch_vccnz .LBB85_83
; %bb.79:
	v_mov_b32_e32 v0, 0
	s_and_not1_b32 vcc_lo, exec_lo, s26
	s_cbranch_vccnz .LBB85_99
; %bb.80:
	s_add_i32 s29, s25, 1
	s_cmp_eq_u32 s19, 2
	s_mov_b32 s28, 0
	s_cbranch_scc1 .LBB85_95
; %bb.81:
	v_dual_mov_b32 v0, 0 :: v_dual_mov_b32 v1, v2
	s_and_b32 s28, s29, 28
	s_mov_b32 s30, 0
	s_mov_b64 s[14:15], s[0:1]
	s_mov_b64 s[16:17], s[12:13]
.LBB85_82:                              ; =>This Inner Loop Header: Depth=1
	s_clause 0x1
	s_load_b256 s[36:43], s[14:15], 0x4
	s_load_b128 s[44:47], s[14:15], 0x24
	s_load_b128 s[48:51], s[16:17], 0x0
	s_add_u32 s14, s14, 48
	s_addc_u32 s15, s15, 0
	s_add_i32 s30, s30, 4
	s_add_u32 s16, s16, 16
	s_addc_u32 s17, s17, 0
	s_cmp_eq_u32 s28, s30
	s_waitcnt lgkmcnt(0)
	v_mul_hi_u32 v3, s37, v1
	s_delay_alu instid0(VALU_DEP_1) | instskip(NEXT) | instid1(VALU_DEP_1)
	v_add_nc_u32_e32 v3, v1, v3
	v_lshrrev_b32_e32 v3, s38, v3
	s_delay_alu instid0(VALU_DEP_1) | instskip(SKIP_1) | instid1(VALU_DEP_2)
	v_mul_hi_u32 v4, s40, v3
	v_mul_lo_u32 v7, v3, s36
	v_add_nc_u32_e32 v4, v3, v4
	s_delay_alu instid0(VALU_DEP_2) | instskip(NEXT) | instid1(VALU_DEP_2)
	v_sub_nc_u32_e32 v7, v1, v7
	v_lshrrev_b32_e32 v4, s41, v4
	s_delay_alu instid0(VALU_DEP_2) | instskip(NEXT) | instid1(VALU_DEP_2)
	v_mul_lo_u32 v7, v7, s48
	v_mul_hi_u32 v5, s43, v4
	v_mul_lo_u32 v8, v4, s39
	s_delay_alu instid0(VALU_DEP_2) | instskip(NEXT) | instid1(VALU_DEP_2)
	v_add_nc_u32_e32 v5, v4, v5
	v_sub_nc_u32_e32 v3, v3, v8
	s_delay_alu instid0(VALU_DEP_2) | instskip(NEXT) | instid1(VALU_DEP_2)
	v_lshrrev_b32_e32 v5, s44, v5
	v_mul_lo_u32 v3, v3, s49
	s_delay_alu instid0(VALU_DEP_2) | instskip(NEXT) | instid1(VALU_DEP_2)
	v_mul_hi_u32 v6, s46, v5
	v_add3_u32 v0, v7, v0, v3
	s_delay_alu instid0(VALU_DEP_2) | instskip(NEXT) | instid1(VALU_DEP_1)
	v_add_nc_u32_e32 v6, v5, v6
	v_lshrrev_b32_e32 v1, s47, v6
	v_mul_lo_u32 v6, v5, s42
	s_delay_alu instid0(VALU_DEP_2) | instskip(NEXT) | instid1(VALU_DEP_2)
	v_mul_lo_u32 v9, v1, s45
	v_sub_nc_u32_e32 v4, v4, v6
	s_delay_alu instid0(VALU_DEP_2) | instskip(NEXT) | instid1(VALU_DEP_2)
	v_sub_nc_u32_e32 v5, v5, v9
	v_mul_lo_u32 v4, v4, s50
	s_delay_alu instid0(VALU_DEP_2) | instskip(NEXT) | instid1(VALU_DEP_1)
	v_mul_lo_u32 v5, v5, s51
	v_add3_u32 v0, v4, v0, v5
	s_cbranch_scc0 .LBB85_82
	s_branch .LBB85_96
.LBB85_83:
                                        ; implicit-def: $vgpr0
	s_branch .LBB85_100
.LBB85_84:
	v_mov_b32_e32 v1, v2
.LBB85_85:
	s_and_b32 s29, s29, 3
	s_delay_alu instid0(SALU_CYCLE_1)
	s_cmp_eq_u32 s29, 0
	s_cbranch_scc1 .LBB85_88
; %bb.86:
	s_lshl_b32 s14, s28, 2
	s_mul_i32 s16, s28, 12
	s_add_u32 s14, s14, s0
	s_addc_u32 s15, s1, 0
	s_add_u32 s14, s14, 0xc4
	s_addc_u32 s15, s15, 0
	;; [unrolled: 2-line block ×3, first 2 shown]
	.p2align	6
.LBB85_87:                              ; =>This Inner Loop Header: Depth=1
	s_clause 0x1
	s_load_b64 s[30:31], s[16:17], 0x4
	s_load_b32 s28, s[16:17], 0xc
	s_add_u32 s16, s16, 12
	s_addc_u32 s17, s17, 0
	s_waitcnt lgkmcnt(0)
	v_mul_hi_u32 v3, s31, v1
	s_load_b32 s31, s[14:15], 0x0
	s_add_u32 s14, s14, 4
	s_addc_u32 s15, s15, 0
	s_add_i32 s29, s29, -1
	s_delay_alu instid0(SALU_CYCLE_1) | instskip(NEXT) | instid1(VALU_DEP_1)
	s_cmp_lg_u32 s29, 0
	v_add_nc_u32_e32 v3, v1, v3
	s_delay_alu instid0(VALU_DEP_1) | instskip(NEXT) | instid1(VALU_DEP_1)
	v_lshrrev_b32_e32 v5, s28, v3
	v_mul_lo_u32 v3, v5, s30
	s_delay_alu instid0(VALU_DEP_1) | instskip(SKIP_1) | instid1(VALU_DEP_1)
	v_sub_nc_u32_e32 v1, v1, v3
	s_waitcnt lgkmcnt(0)
	v_mad_u64_u32 v[3:4], null, v1, s31, v[0:1]
	s_delay_alu instid0(VALU_DEP_1)
	v_dual_mov_b32 v1, v5 :: v_dual_mov_b32 v0, v3
	s_cbranch_scc1 .LBB85_87
.LBB85_88:
	s_cbranch_execnz .LBB85_91
.LBB85_89:
	s_waitcnt lgkmcnt(0)
	v_mul_hi_u32 v0, s5, v2
	s_and_not1_b32 vcc_lo, exec_lo, s23
	s_delay_alu instid0(VALU_DEP_1) | instskip(NEXT) | instid1(VALU_DEP_1)
	v_add_nc_u32_e32 v0, v2, v0
	v_lshrrev_b32_e32 v1, s6, v0
	s_delay_alu instid0(VALU_DEP_1) | instskip(NEXT) | instid1(VALU_DEP_1)
	v_mul_lo_u32 v0, v1, s4
	v_sub_nc_u32_e32 v0, v2, v0
	s_delay_alu instid0(VALU_DEP_1)
	v_mul_lo_u32 v0, v0, s8
	s_cbranch_vccnz .LBB85_91
; %bb.90:
	v_mul_hi_u32 v3, s10, v1
	s_delay_alu instid0(VALU_DEP_1) | instskip(NEXT) | instid1(VALU_DEP_1)
	v_add_nc_u32_e32 v3, v1, v3
	v_lshrrev_b32_e32 v3, s11, v3
	s_delay_alu instid0(VALU_DEP_1) | instskip(NEXT) | instid1(VALU_DEP_1)
	v_mul_lo_u32 v3, v3, s7
	v_sub_nc_u32_e32 v1, v1, v3
	s_delay_alu instid0(VALU_DEP_1) | instskip(NEXT) | instid1(VALU_DEP_1)
	v_mad_u64_u32 v[3:4], null, v1, s9, v[0:1]
	v_mov_b32_e32 v0, v3
.LBB85_91:
	s_waitcnt lgkmcnt(0)
	v_dual_mov_b32 v1, s22 :: v_dual_add_nc_u32 v2, 0x80, v2
	global_store_b32 v0, v1, s[2:3]
	s_or_b32 exec_lo, exec_lo, s27
	s_delay_alu instid0(SALU_CYCLE_1)
	s_mov_b32 s27, exec_lo
	v_cmpx_gt_i32_e64 s24, v2
	s_cbranch_execnz .LBB85_78
.LBB85_92:
	s_or_b32 exec_lo, exec_lo, s27
	s_delay_alu instid0(SALU_CYCLE_1)
	s_mov_b32 s16, exec_lo
	v_cmpx_gt_i32_e64 s24, v2
	s_cbranch_execnz .LBB85_103
.LBB85_93:
	s_or_b32 exec_lo, exec_lo, s16
                                        ; implicit-def: $vgpr4
                                        ; implicit-def: $vgpr2
	s_waitcnt lgkmcnt(0)
	s_and_not1_saveexec_b32 s2, s21
	s_cbranch_execnz .LBB85_8
.LBB85_94:
	s_nop 0
	s_sendmsg sendmsg(MSG_DEALLOC_VGPRS)
	s_endpgm
.LBB85_95:
	v_mov_b32_e32 v1, v2
.LBB85_96:
	s_and_b32 s29, s29, 3
	s_delay_alu instid0(SALU_CYCLE_1)
	s_cmp_eq_u32 s29, 0
	s_cbranch_scc1 .LBB85_99
; %bb.97:
	s_lshl_b32 s14, s28, 2
	s_mul_i32 s16, s28, 12
	s_add_u32 s14, s14, s0
	s_addc_u32 s15, s1, 0
	s_add_u32 s14, s14, 0xc4
	s_addc_u32 s15, s15, 0
	;; [unrolled: 2-line block ×3, first 2 shown]
	.p2align	6
.LBB85_98:                              ; =>This Inner Loop Header: Depth=1
	s_clause 0x1
	s_load_b64 s[30:31], s[16:17], 0x4
	s_load_b32 s28, s[16:17], 0xc
	s_add_u32 s16, s16, 12
	s_addc_u32 s17, s17, 0
	s_waitcnt lgkmcnt(0)
	v_mul_hi_u32 v3, s31, v1
	s_load_b32 s31, s[14:15], 0x0
	s_add_u32 s14, s14, 4
	s_addc_u32 s15, s15, 0
	s_add_i32 s29, s29, -1
	s_delay_alu instid0(SALU_CYCLE_1) | instskip(NEXT) | instid1(VALU_DEP_1)
	s_cmp_lg_u32 s29, 0
	v_add_nc_u32_e32 v3, v1, v3
	s_delay_alu instid0(VALU_DEP_1) | instskip(NEXT) | instid1(VALU_DEP_1)
	v_lshrrev_b32_e32 v5, s28, v3
	v_mul_lo_u32 v3, v5, s30
	s_delay_alu instid0(VALU_DEP_1) | instskip(SKIP_1) | instid1(VALU_DEP_1)
	v_sub_nc_u32_e32 v1, v1, v3
	s_waitcnt lgkmcnt(0)
	v_mad_u64_u32 v[3:4], null, v1, s31, v[0:1]
	s_delay_alu instid0(VALU_DEP_1)
	v_dual_mov_b32 v1, v5 :: v_dual_mov_b32 v0, v3
	s_cbranch_scc1 .LBB85_98
.LBB85_99:
	s_cbranch_execnz .LBB85_102
.LBB85_100:
	s_waitcnt lgkmcnt(0)
	v_mul_hi_u32 v0, s5, v2
	s_and_not1_b32 vcc_lo, exec_lo, s23
	s_delay_alu instid0(VALU_DEP_1) | instskip(NEXT) | instid1(VALU_DEP_1)
	v_add_nc_u32_e32 v0, v2, v0
	v_lshrrev_b32_e32 v1, s6, v0
	s_delay_alu instid0(VALU_DEP_1) | instskip(NEXT) | instid1(VALU_DEP_1)
	v_mul_lo_u32 v0, v1, s4
	v_sub_nc_u32_e32 v0, v2, v0
	s_delay_alu instid0(VALU_DEP_1)
	v_mul_lo_u32 v0, v0, s8
	s_cbranch_vccnz .LBB85_102
; %bb.101:
	v_mul_hi_u32 v3, s10, v1
	s_delay_alu instid0(VALU_DEP_1) | instskip(NEXT) | instid1(VALU_DEP_1)
	v_add_nc_u32_e32 v3, v1, v3
	v_lshrrev_b32_e32 v3, s11, v3
	s_delay_alu instid0(VALU_DEP_1) | instskip(NEXT) | instid1(VALU_DEP_1)
	v_mul_lo_u32 v3, v3, s7
	v_sub_nc_u32_e32 v1, v1, v3
	s_delay_alu instid0(VALU_DEP_1) | instskip(NEXT) | instid1(VALU_DEP_1)
	v_mad_u64_u32 v[3:4], null, v1, s9, v[0:1]
	v_mov_b32_e32 v0, v3
.LBB85_102:
	s_waitcnt lgkmcnt(0)
	v_dual_mov_b32 v1, s22 :: v_dual_add_nc_u32 v2, 0x80, v2
	global_store_b32 v0, v1, s[2:3]
	s_or_b32 exec_lo, exec_lo, s27
	s_delay_alu instid0(SALU_CYCLE_1)
	s_mov_b32 s16, exec_lo
	v_cmpx_gt_i32_e64 s24, v2
	s_cbranch_execz .LBB85_93
.LBB85_103:
	s_and_not1_b32 vcc_lo, exec_lo, s20
	s_cbranch_vccnz .LBB85_108
; %bb.104:
	v_mov_b32_e32 v0, 0
	s_and_not1_b32 vcc_lo, exec_lo, s26
	s_cbranch_vccnz .LBB85_113
; %bb.105:
	s_add_i32 s25, s25, 1
	s_cmp_eq_u32 s19, 2
	s_mov_b32 s17, 0
	s_cbranch_scc1 .LBB85_109
; %bb.106:
	v_dual_mov_b32 v0, 0 :: v_dual_mov_b32 v1, v2
	s_and_b32 s17, s25, 28
	s_mov_b32 s24, 0
	s_mov_b64 s[14:15], s[0:1]
.LBB85_107:                             ; =>This Inner Loop Header: Depth=1
	s_clause 0x1
	s_load_b256 s[36:43], s[14:15], 0x4
	s_load_b128 s[28:31], s[14:15], 0x24
	s_load_b128 s[44:47], s[12:13], 0x0
	s_add_u32 s14, s14, 48
	s_addc_u32 s15, s15, 0
	s_add_i32 s24, s24, 4
	s_add_u32 s12, s12, 16
	s_addc_u32 s13, s13, 0
	s_cmp_eq_u32 s17, s24
	s_waitcnt lgkmcnt(0)
	v_mul_hi_u32 v3, s37, v1
	s_delay_alu instid0(VALU_DEP_1) | instskip(NEXT) | instid1(VALU_DEP_1)
	v_add_nc_u32_e32 v3, v1, v3
	v_lshrrev_b32_e32 v3, s38, v3
	s_delay_alu instid0(VALU_DEP_1) | instskip(SKIP_1) | instid1(VALU_DEP_2)
	v_mul_hi_u32 v4, s40, v3
	v_mul_lo_u32 v7, v3, s36
	v_add_nc_u32_e32 v4, v3, v4
	s_delay_alu instid0(VALU_DEP_2) | instskip(NEXT) | instid1(VALU_DEP_2)
	v_sub_nc_u32_e32 v7, v1, v7
	v_lshrrev_b32_e32 v4, s41, v4
	s_delay_alu instid0(VALU_DEP_2) | instskip(NEXT) | instid1(VALU_DEP_2)
	v_mul_lo_u32 v7, v7, s44
	v_mul_hi_u32 v5, s43, v4
	v_mul_lo_u32 v8, v4, s39
	s_delay_alu instid0(VALU_DEP_2) | instskip(NEXT) | instid1(VALU_DEP_2)
	v_add_nc_u32_e32 v5, v4, v5
	v_sub_nc_u32_e32 v3, v3, v8
	s_delay_alu instid0(VALU_DEP_2) | instskip(NEXT) | instid1(VALU_DEP_2)
	v_lshrrev_b32_e32 v5, s28, v5
	v_mul_lo_u32 v3, v3, s45
	s_delay_alu instid0(VALU_DEP_2) | instskip(NEXT) | instid1(VALU_DEP_2)
	v_mul_hi_u32 v6, s30, v5
	v_add3_u32 v0, v7, v0, v3
	s_delay_alu instid0(VALU_DEP_2) | instskip(NEXT) | instid1(VALU_DEP_1)
	v_add_nc_u32_e32 v6, v5, v6
	v_lshrrev_b32_e32 v1, s31, v6
	v_mul_lo_u32 v6, v5, s42
	s_delay_alu instid0(VALU_DEP_2) | instskip(NEXT) | instid1(VALU_DEP_2)
	v_mul_lo_u32 v9, v1, s29
	v_sub_nc_u32_e32 v4, v4, v6
	s_delay_alu instid0(VALU_DEP_2) | instskip(NEXT) | instid1(VALU_DEP_2)
	v_sub_nc_u32_e32 v5, v5, v9
	v_mul_lo_u32 v4, v4, s46
	s_delay_alu instid0(VALU_DEP_2) | instskip(NEXT) | instid1(VALU_DEP_1)
	v_mul_lo_u32 v5, v5, s47
	v_add3_u32 v0, v4, v0, v5
	s_cbranch_scc0 .LBB85_107
	s_branch .LBB85_110
.LBB85_108:
                                        ; implicit-def: $vgpr0
	s_branch .LBB85_114
.LBB85_109:
	v_mov_b32_e32 v1, v2
.LBB85_110:
	s_and_b32 s24, s25, 3
	s_delay_alu instid0(SALU_CYCLE_1)
	s_cmp_eq_u32 s24, 0
	s_cbranch_scc1 .LBB85_113
; %bb.111:
	s_lshl_b32 s12, s17, 2
	s_mul_i32 s14, s17, 12
	s_add_u32 s12, s12, s0
	s_addc_u32 s13, s1, 0
	s_add_u32 s12, s12, 0xc4
	s_addc_u32 s13, s13, 0
	;; [unrolled: 2-line block ×3, first 2 shown]
	.p2align	6
.LBB85_112:                             ; =>This Inner Loop Header: Depth=1
	s_clause 0x1
	s_load_b64 s[26:27], s[14:15], 0x4
	s_load_b32 s17, s[14:15], 0xc
	s_load_b32 s25, s[12:13], 0x0
	s_add_u32 s14, s14, 12
	s_addc_u32 s15, s15, 0
	s_add_u32 s12, s12, 4
	s_addc_u32 s13, s13, 0
	s_add_i32 s24, s24, -1
	s_delay_alu instid0(SALU_CYCLE_1) | instskip(SKIP_2) | instid1(VALU_DEP_1)
	s_cmp_lg_u32 s24, 0
	s_waitcnt lgkmcnt(0)
	v_mul_hi_u32 v3, s27, v1
	v_add_nc_u32_e32 v3, v1, v3
	s_delay_alu instid0(VALU_DEP_1) | instskip(NEXT) | instid1(VALU_DEP_1)
	v_lshrrev_b32_e32 v5, s17, v3
	v_mul_lo_u32 v3, v5, s26
	s_delay_alu instid0(VALU_DEP_1) | instskip(NEXT) | instid1(VALU_DEP_1)
	v_sub_nc_u32_e32 v1, v1, v3
	v_mad_u64_u32 v[3:4], null, v1, s25, v[0:1]
	s_delay_alu instid0(VALU_DEP_1)
	v_dual_mov_b32 v1, v5 :: v_dual_mov_b32 v0, v3
	s_cbranch_scc1 .LBB85_112
.LBB85_113:
	s_cbranch_execnz .LBB85_116
.LBB85_114:
	s_waitcnt lgkmcnt(0)
	v_mul_hi_u32 v0, s5, v2
	s_and_not1_b32 vcc_lo, exec_lo, s23
	s_delay_alu instid0(VALU_DEP_1) | instskip(NEXT) | instid1(VALU_DEP_1)
	v_add_nc_u32_e32 v0, v2, v0
	v_lshrrev_b32_e32 v1, s6, v0
	s_delay_alu instid0(VALU_DEP_1) | instskip(NEXT) | instid1(VALU_DEP_1)
	v_mul_lo_u32 v0, v1, s4
	v_sub_nc_u32_e32 v0, v2, v0
	s_delay_alu instid0(VALU_DEP_1)
	v_mul_lo_u32 v0, v0, s8
	s_cbranch_vccnz .LBB85_116
; %bb.115:
	v_mul_hi_u32 v2, s10, v1
	s_delay_alu instid0(VALU_DEP_1) | instskip(NEXT) | instid1(VALU_DEP_1)
	v_add_nc_u32_e32 v2, v1, v2
	v_lshrrev_b32_e32 v2, s11, v2
	s_delay_alu instid0(VALU_DEP_1) | instskip(NEXT) | instid1(VALU_DEP_1)
	v_mul_lo_u32 v2, v2, s7
	v_sub_nc_u32_e32 v3, v1, v2
	s_delay_alu instid0(VALU_DEP_1) | instskip(NEXT) | instid1(VALU_DEP_1)
	v_mad_u64_u32 v[1:2], null, v3, s9, v[0:1]
	v_mov_b32_e32 v0, v1
.LBB85_116:
	s_waitcnt lgkmcnt(0)
	v_mov_b32_e32 v1, s22
	global_store_b32 v0, v1, s[2:3]
	s_or_b32 exec_lo, exec_lo, s16
                                        ; implicit-def: $vgpr4
                                        ; implicit-def: $vgpr2
	s_and_not1_saveexec_b32 s2, s21
	s_cbranch_execz .LBB85_94
	s_branch .LBB85_8
	.section	.rodata,"a",@progbits
	.p2align	6, 0x0
	.amdhsa_kernel _ZN2at6native32elementwise_kernel_manual_unrollILi128ELi4EZNS0_22gpu_kernel_impl_nocastINS0_11FillFunctorIN3c107complexINS4_8BFloat16EEEEEEEvRNS_18TensorIteratorBaseERKT_EUlibE_EEviT1_
		.amdhsa_group_segment_fixed_size 0
		.amdhsa_private_segment_fixed_size 0
		.amdhsa_kernarg_size 288
		.amdhsa_user_sgpr_count 15
		.amdhsa_user_sgpr_dispatch_ptr 0
		.amdhsa_user_sgpr_queue_ptr 0
		.amdhsa_user_sgpr_kernarg_segment_ptr 1
		.amdhsa_user_sgpr_dispatch_id 0
		.amdhsa_user_sgpr_private_segment_size 0
		.amdhsa_wavefront_size32 1
		.amdhsa_uses_dynamic_stack 0
		.amdhsa_enable_private_segment 0
		.amdhsa_system_sgpr_workgroup_id_x 1
		.amdhsa_system_sgpr_workgroup_id_y 0
		.amdhsa_system_sgpr_workgroup_id_z 0
		.amdhsa_system_sgpr_workgroup_info 0
		.amdhsa_system_vgpr_workitem_id 0
		.amdhsa_next_free_vgpr 14
		.amdhsa_next_free_sgpr 52
		.amdhsa_reserve_vcc 1
		.amdhsa_float_round_mode_32 0
		.amdhsa_float_round_mode_16_64 0
		.amdhsa_float_denorm_mode_32 3
		.amdhsa_float_denorm_mode_16_64 3
		.amdhsa_dx10_clamp 1
		.amdhsa_ieee_mode 1
		.amdhsa_fp16_overflow 0
		.amdhsa_workgroup_processor_mode 1
		.amdhsa_memory_ordered 1
		.amdhsa_forward_progress 0
		.amdhsa_shared_vgpr_count 0
		.amdhsa_exception_fp_ieee_invalid_op 0
		.amdhsa_exception_fp_denorm_src 0
		.amdhsa_exception_fp_ieee_div_zero 0
		.amdhsa_exception_fp_ieee_overflow 0
		.amdhsa_exception_fp_ieee_underflow 0
		.amdhsa_exception_fp_ieee_inexact 0
		.amdhsa_exception_int_div_zero 0
	.end_amdhsa_kernel
	.section	.text._ZN2at6native32elementwise_kernel_manual_unrollILi128ELi4EZNS0_22gpu_kernel_impl_nocastINS0_11FillFunctorIN3c107complexINS4_8BFloat16EEEEEEEvRNS_18TensorIteratorBaseERKT_EUlibE_EEviT1_,"axG",@progbits,_ZN2at6native32elementwise_kernel_manual_unrollILi128ELi4EZNS0_22gpu_kernel_impl_nocastINS0_11FillFunctorIN3c107complexINS4_8BFloat16EEEEEEEvRNS_18TensorIteratorBaseERKT_EUlibE_EEviT1_,comdat
.Lfunc_end85:
	.size	_ZN2at6native32elementwise_kernel_manual_unrollILi128ELi4EZNS0_22gpu_kernel_impl_nocastINS0_11FillFunctorIN3c107complexINS4_8BFloat16EEEEEEEvRNS_18TensorIteratorBaseERKT_EUlibE_EEviT1_, .Lfunc_end85-_ZN2at6native32elementwise_kernel_manual_unrollILi128ELi4EZNS0_22gpu_kernel_impl_nocastINS0_11FillFunctorIN3c107complexINS4_8BFloat16EEEEEEEvRNS_18TensorIteratorBaseERKT_EUlibE_EEviT1_
                                        ; -- End function
	.section	.AMDGPU.csdata,"",@progbits
; Kernel info:
; codeLenInByte = 5924
; NumSgprs: 54
; NumVgprs: 14
; ScratchSize: 0
; MemoryBound: 0
; FloatMode: 240
; IeeeMode: 1
; LDSByteSize: 0 bytes/workgroup (compile time only)
; SGPRBlocks: 6
; VGPRBlocks: 1
; NumSGPRsForWavesPerEU: 54
; NumVGPRsForWavesPerEU: 14
; Occupancy: 16
; WaveLimiterHint : 1
; COMPUTE_PGM_RSRC2:SCRATCH_EN: 0
; COMPUTE_PGM_RSRC2:USER_SGPR: 15
; COMPUTE_PGM_RSRC2:TRAP_HANDLER: 0
; COMPUTE_PGM_RSRC2:TGID_X_EN: 1
; COMPUTE_PGM_RSRC2:TGID_Y_EN: 0
; COMPUTE_PGM_RSRC2:TGID_Z_EN: 0
; COMPUTE_PGM_RSRC2:TIDIG_COMP_CNT: 0
	.section	.text._ZN2at6native32elementwise_kernel_manual_unrollILi128ELi4EZNS0_15gpu_kernel_implINS0_11FillFunctorIN3c107complexINS4_8BFloat16EEEEEEEvRNS_18TensorIteratorBaseERKT_EUlibE_EEviT1_,"axG",@progbits,_ZN2at6native32elementwise_kernel_manual_unrollILi128ELi4EZNS0_15gpu_kernel_implINS0_11FillFunctorIN3c107complexINS4_8BFloat16EEEEEEEvRNS_18TensorIteratorBaseERKT_EUlibE_EEviT1_,comdat
	.protected	_ZN2at6native32elementwise_kernel_manual_unrollILi128ELi4EZNS0_15gpu_kernel_implINS0_11FillFunctorIN3c107complexINS4_8BFloat16EEEEEEEvRNS_18TensorIteratorBaseERKT_EUlibE_EEviT1_ ; -- Begin function _ZN2at6native32elementwise_kernel_manual_unrollILi128ELi4EZNS0_15gpu_kernel_implINS0_11FillFunctorIN3c107complexINS4_8BFloat16EEEEEEEvRNS_18TensorIteratorBaseERKT_EUlibE_EEviT1_
	.globl	_ZN2at6native32elementwise_kernel_manual_unrollILi128ELi4EZNS0_15gpu_kernel_implINS0_11FillFunctorIN3c107complexINS4_8BFloat16EEEEEEEvRNS_18TensorIteratorBaseERKT_EUlibE_EEviT1_
	.p2align	8
	.type	_ZN2at6native32elementwise_kernel_manual_unrollILi128ELi4EZNS0_15gpu_kernel_implINS0_11FillFunctorIN3c107complexINS4_8BFloat16EEEEEEEvRNS_18TensorIteratorBaseERKT_EUlibE_EEviT1_,@function
_ZN2at6native32elementwise_kernel_manual_unrollILi128ELi4EZNS0_15gpu_kernel_implINS0_11FillFunctorIN3c107complexINS4_8BFloat16EEEEEEEvRNS_18TensorIteratorBaseERKT_EUlibE_EEviT1_: ; @_ZN2at6native32elementwise_kernel_manual_unrollILi128ELi4EZNS0_15gpu_kernel_implINS0_11FillFunctorIN3c107complexINS4_8BFloat16EEEEEEEvRNS_18TensorIteratorBaseERKT_EUlibE_EEviT1_
; %bb.0:
	s_clause 0x2
	s_load_b32 s33, s[0:1], 0x0
	s_load_b128 s[4:7], s[0:1], 0x8
	s_load_b32 s8, s[0:1], 0x18
	v_lshl_or_b32 v15, s15, 9, v0
	s_mov_b32 s3, 0
	s_mov_b32 s1, 0
	s_mov_b32 s0, exec_lo
	s_delay_alu instid0(VALU_DEP_1) | instskip(SKIP_1) | instid1(VALU_DEP_1)
	v_or_b32_e32 v0, 0x180, v15
	s_waitcnt lgkmcnt(0)
	v_cmpx_le_i32_e64 s33, v0
	s_xor_b32 s2, exec_lo, s0
	s_cbranch_execz .LBB86_151
; %bb.1:
	s_lshl_b32 s1, s7, 16
	s_bfe_u32 s0, s7, 0x90007
	s_bfe_u32 s9, s1, 0x80017
	s_or_b32 s10, s0, s1
	s_cmpk_eq_i32 s9, 0xff
	v_add_f32_e64 v0, 0x46000000, |s1|
	s_cselect_b32 s31, -1, 0
	s_bitcmp1_b32 s7, 6
	v_trunc_f32_e32 v4, s1
	s_cselect_b32 s9, -1, 0
	s_and_b32 s10, s10, 0x3f00ff
	v_readfirstlane_b32 s26, v0
	s_cmp_lg_u32 s10, 0
	v_add_f32_e64 v0, 0x42800000, |s1|
	s_cselect_b32 s10, -1, 0
	s_and_b32 s16, s1, 0x7fffffff
	s_and_b32 s24, s9, s10
	s_cmp_lt_u32 s16, 0x43800000
	v_readfirstlane_b32 s17, v0
	s_cselect_b32 s29, -1, 0
	s_cmp_gt_u32 s16, 0x3bffffff
	s_movk_i32 s21, 0x7f
	s_cselect_b32 s27, -1, 0
	s_bfe_u32 s9, s7, 0x10004
	s_and_b32 s11, s26, 0xff
	s_or_b32 s9, s1, s9
	v_mul_f32_e32 v0, 0x2f800000, v4
	s_add_i32 s10, s9, 0x487ffff
	v_mul_f32_e64 v7, 0x2f800000, |v4|
	s_lshr_b32 s28, s10, 20
	s_cmp_lg_u32 s11, 0
	v_floor_f32_e32 v5, v0
	s_cselect_b32 s30, -1, 0
	s_lshr_b32 s10, s7, 8
	v_cvt_f64_f32_e32 v[0:1], s1
	s_and_b32 s10, s10, 0x80
	s_cmp_gt_u32 s16, 0x477fffff
	v_floor_f32_e32 v9, v7
	s_cselect_b32 s11, -1, 0
	s_cmp_lt_u32 s16, 0x47800000
	v_cndmask_b32_e64 v8, 0, 1, s24
	s_cselect_b32 s22, -1, 0
	s_cmp_gt_u32 s16, 0x37ffffff
	v_fmamk_f32 v6, v5, 0xcf800000, v4
	s_cselect_b32 s18, -1, 0
	s_bfe_u32 s12, s7, 0x10005
	s_and_b32 s13, s17, 0xff
	s_or_b32 s15, s1, s12
	v_cvt_u32_f32_e32 v7, v5
	s_add_i32 s12, s15, 0x88fffff
	v_fma_f32 v5, 0xcf800000, v9, |v4|
	s_lshr_b32 s20, s12, 21
	s_cmp_lg_u32 s13, 0
	v_add_nc_u32_e32 v16, s0, v8
	s_cselect_b32 s23, -1, 0
	s_cmp_gt_u32 s16, 0x43efffff
	v_cvt_f16_f32_e32 v11, s1
	s_cselect_b32 s12, -1, 0
	s_cmp_lt_u32 s16, 0x3c800000
	v_cvt_u32_f32_e32 v5, v5
	s_cselect_b32 s14, -1, 0
	s_add_i32 s9, s9, 0x407ffff
	v_ashrrev_i32_e32 v17, 31, v4
	s_and_b32 s13, s9, 0xff00000
	s_lshr_b32 s9, s9, 20
	s_cmp_lg_u32 s13, 0x7f00000
	v_add_f32_e64 v10, 0x46800000, |s1|
	s_cselect_b32 s19, s9, 0x7e
	s_cmp_lt_u32 s16, 0x38800000
	s_movk_i32 s9, 0x7c
	s_cselect_b32 s13, -1, 0
	s_add_i32 s15, s15, 0x80fffff
	v_xor_b32_e32 v5, v5, v17
	s_lshr_b32 s15, s15, 21
	s_cmp_gt_u32 s16, 0x7f800000
	v_readfirstlane_b32 s25, v10
	s_cselect_b32 s21, s21, 0x7e
	s_cselect_b32 s16, 0x7f, s9
	s_and_b32 s9, s7, 0x7fff7fff
	v_add_f32_e64 v10, 0x43000000, |s1|
	s_cmp_lg_u32 s9, 0
	v_cvt_u32_f32_e32 v6, v6
	s_cselect_b32 s34, -1, 0
	s_and_b32 s9, s7, 0xffff0000
	v_cvt_u32_f32_e32 v14, s1
	v_cvt_f64_f32_e32 v[2:3], s9
	v_cvt_f16_f32_e32 v8, s9
	v_readfirstlane_b32 s24, v10
	v_cndmask_b32_e64 v13, 0, 1, s34
	v_cvt_i32_f32_e32 v10, s1
	s_mov_b32 s36, 0
	v_lshlrev_b32_e32 v4, 16, v8
	v_cvt_u32_f32_e32 v8, v9
	v_and_b32_e32 v9, 0xffff, v11
	s_mov_b32 s0, -1
	s_mov_b32 s34, 0
	s_mov_b32 s35, exec_lo
	v_xor_b32_e32 v8, v8, v17
	v_or_b32_e32 v12, v4, v9
	v_sub_co_u32 v4, vcc_lo, v5, v17
	s_delay_alu instid0(VALU_DEP_3)
	v_sub_co_ci_u32_e32 v5, vcc_lo, v8, v17, vcc_lo
	v_cmpx_gt_i32_e64 s33, v15
	s_cbranch_execz .LBB86_100
; %bb.2:
	v_mul_lo_u32 v8, v15, s6
	v_and_b32_e64 v17, 0xff, s8
	s_delay_alu instid0(VALU_DEP_1) | instskip(NEXT) | instid1(VALU_DEP_3)
	v_cmp_gt_i16_e32 vcc_lo, 11, v17
	v_ashrrev_i32_e32 v9, 31, v8
	v_add_co_u32 v8, s0, s4, v8
	s_delay_alu instid0(VALU_DEP_1)
	v_add_co_ci_u32_e64 v9, s0, s5, v9, s0
	s_cbranch_vccnz .LBB86_9
; %bb.3:
	v_cmp_lt_i16_e32 vcc_lo, 25, v17
	s_cbranch_vccz .LBB86_12
; %bb.4:
	v_cmp_lt_i16_e32 vcc_lo, 28, v17
	s_cbranch_vccz .LBB86_13
	;; [unrolled: 3-line block ×4, first 2 shown]
; %bb.7:
	v_cmp_eq_u16_e32 vcc_lo, 46, v17
	s_mov_b32 s37, 0
	s_mov_b32 s0, -1
	s_cbranch_vccz .LBB86_16
; %bb.8:
	v_mov_b32_e32 v18, s7
	s_mov_b32 s34, -1
	s_mov_b32 s0, 0
	global_store_b32 v[8:9], v18, off
	s_branch .LBB86_16
.LBB86_9:
	s_mov_b32 s0, 0
	s_cbranch_execnz .LBB86_60
.LBB86_10:
	s_and_not1_b32 vcc_lo, exec_lo, s34
	s_cbranch_vccnz .LBB86_98
.LBB86_11:
	v_add_nc_u32_e32 v15, 0x80, v15
	s_mov_b32 s37, -1
	s_branch .LBB86_99
.LBB86_12:
	s_mov_b32 s0, 0
	s_cbranch_execnz .LBB86_38
	s_branch .LBB86_59
.LBB86_13:
	s_mov_b32 s37, -1
	s_mov_b32 s0, 0
	s_branch .LBB86_24
.LBB86_14:
	s_mov_b32 s37, -1
	s_mov_b32 s0, 0
	s_branch .LBB86_20
.LBB86_15:
	s_mov_b32 s37, -1
	s_mov_b32 s0, 0
.LBB86_16:
	s_and_b32 vcc_lo, exec_lo, s37
	s_cbranch_vccz .LBB86_19
; %bb.17:
	v_cmp_eq_u16_e32 vcc_lo, 44, v17
	s_mov_b32 s0, -1
	s_cbranch_vccz .LBB86_19
; %bb.18:
	v_cndmask_b32_e64 v18, v16, 0xff, s31
	s_mov_b32 s34, -1
	s_mov_b32 s0, 0
	s_mov_b32 s37, 0
	global_store_b8 v[8:9], v18, off
	s_branch .LBB86_20
.LBB86_19:
	s_mov_b32 s37, 0
.LBB86_20:
	s_delay_alu instid0(SALU_CYCLE_1)
	s_and_b32 vcc_lo, exec_lo, s37
	s_cbranch_vccz .LBB86_23
; %bb.21:
	v_cmp_eq_u16_e32 vcc_lo, 29, v17
	s_mov_b32 s0, -1
	s_cbranch_vccz .LBB86_23
; %bb.22:
	s_mov_b32 s34, -1
	s_mov_b32 s0, 0
	global_store_b64 v[8:9], v[6:7], off
.LBB86_23:
	s_mov_b32 s37, 0
.LBB86_24:
	s_delay_alu instid0(SALU_CYCLE_1)
	s_and_b32 vcc_lo, exec_lo, s37
	s_cbranch_vccz .LBB86_37
; %bb.25:
	v_cmp_gt_i16_e32 vcc_lo, 27, v17
	s_mov_b32 s34, -1
	s_cbranch_vccnz .LBB86_31
; %bb.26:
	v_cmp_lt_i16_e32 vcc_lo, 27, v17
	s_cbranch_vccz .LBB86_28
; %bb.27:
	s_mov_b32 s34, 0
	global_store_b32 v[8:9], v14, off
.LBB86_28:
	s_and_not1_b32 vcc_lo, exec_lo, s34
	s_cbranch_vccnz .LBB86_30
; %bb.29:
	global_store_b16 v[8:9], v14, off
.LBB86_30:
	s_mov_b32 s34, 0
.LBB86_31:
	s_delay_alu instid0(SALU_CYCLE_1)
	s_and_not1_b32 vcc_lo, exec_lo, s34
	s_cbranch_vccnz .LBB86_36
; %bb.32:
	s_and_not1_b32 vcc_lo, exec_lo, s29
	s_movk_i32 s34, 0x80
	s_cbranch_vccnz .LBB86_35
; %bb.33:
	s_or_b32 s34, s27, s30
	s_delay_alu instid0(SALU_CYCLE_1)
	s_and_not1_b32 vcc_lo, exec_lo, s34
	s_mov_b32 s34, 0
	s_cbranch_vccnz .LBB86_35
; %bb.34:
	s_and_b32 s34, s27, exec_lo
	s_cselect_b32 s34, s28, s26
	s_delay_alu instid0(SALU_CYCLE_1)
	s_or_b32 s34, s34, s10
.LBB86_35:
	s_delay_alu instid0(SALU_CYCLE_1)
	v_mov_b32_e32 v18, s34
	global_store_b8 v[8:9], v18, off
.LBB86_36:
	s_mov_b32 s34, -1
.LBB86_37:
	s_branch .LBB86_59
.LBB86_38:
	v_cmp_lt_i16_e32 vcc_lo, 22, v17
	s_mov_b32 s37, -1
	s_cbranch_vccz .LBB86_51
; %bb.39:
	v_cmp_gt_i16_e32 vcc_lo, 24, v17
	s_mov_b32 s34, -1
	s_cbranch_vccnz .LBB86_48
; %bb.40:
	v_cmp_lt_i16_e32 vcc_lo, 24, v17
	s_cbranch_vccz .LBB86_45
; %bb.41:
	s_and_not1_b32 vcc_lo, exec_lo, s22
	s_movk_i32 s34, 0x80
	s_cbranch_vccnz .LBB86_44
; %bb.42:
	s_or_b32 s34, s18, s23
	s_delay_alu instid0(SALU_CYCLE_1)
	s_and_not1_b32 vcc_lo, exec_lo, s34
	s_mov_b32 s34, 0
	s_cbranch_vccnz .LBB86_44
; %bb.43:
	s_and_b32 s34, s18, exec_lo
	s_cselect_b32 s34, s20, s17
	s_delay_alu instid0(SALU_CYCLE_1)
	s_or_b32 s34, s34, s10
.LBB86_44:
	s_delay_alu instid0(SALU_CYCLE_1)
	v_mov_b32_e32 v18, s34
	s_mov_b32 s34, 0
	global_store_b8 v[8:9], v18, off
.LBB86_45:
	s_and_b32 vcc_lo, exec_lo, s34
	s_cbranch_vccz .LBB86_47
; %bb.46:
	s_and_b32 s34, s14, exec_lo
	s_cselect_b32 s34, s25, s19
	s_and_b32 s37, s12, exec_lo
	s_cselect_b32 s34, s21, s34
	s_delay_alu instid0(SALU_CYCLE_1) | instskip(NEXT) | instid1(SALU_CYCLE_1)
	s_or_b32 s34, s34, s10
	v_mov_b32_e32 v18, s34
	global_store_b8 v[8:9], v18, off
.LBB86_47:
	s_mov_b32 s34, 0
.LBB86_48:
	s_delay_alu instid0(SALU_CYCLE_1)
	s_and_not1_b32 vcc_lo, exec_lo, s34
	s_cbranch_vccnz .LBB86_50
; %bb.49:
	s_and_b32 s34, s13, exec_lo
	s_cselect_b32 s34, s24, s15
	s_and_b32 s37, s11, exec_lo
	s_cselect_b32 s34, s16, s34
	s_delay_alu instid0(SALU_CYCLE_1) | instskip(NEXT) | instid1(SALU_CYCLE_1)
	s_or_b32 s34, s34, s10
	v_mov_b32_e32 v18, s34
	global_store_b8 v[8:9], v18, off
.LBB86_50:
	s_mov_b32 s37, 0
	s_mov_b32 s34, -1
.LBB86_51:
	s_and_not1_b32 vcc_lo, exec_lo, s37
	s_cbranch_vccnz .LBB86_59
; %bb.52:
	v_cmp_lt_i16_e32 vcc_lo, 14, v17
	s_mov_b32 s37, -1
	s_cbranch_vccz .LBB86_56
; %bb.53:
	v_cmp_eq_u16_e32 vcc_lo, 15, v17
	s_mov_b32 s0, -1
	s_cbranch_vccz .LBB86_55
; %bb.54:
	v_mov_b32_e32 v18, s7
	s_mov_b32 s34, -1
	s_mov_b32 s0, 0
	global_store_b16 v[8:9], v18, off
.LBB86_55:
	s_mov_b32 s37, 0
.LBB86_56:
	s_delay_alu instid0(SALU_CYCLE_1)
	s_and_b32 vcc_lo, exec_lo, s37
	s_cbranch_vccz .LBB86_59
; %bb.57:
	v_cmp_eq_u16_e32 vcc_lo, 11, v17
	s_mov_b32 s0, -1
	s_cbranch_vccz .LBB86_59
; %bb.58:
	s_mov_b32 s34, -1
	s_mov_b32 s0, 0
	global_store_b8 v[8:9], v13, off
.LBB86_59:
	s_branch .LBB86_10
.LBB86_60:
	v_cmp_gt_i16_e32 vcc_lo, 5, v17
	s_mov_b32 s34, -1
	s_cbranch_vccnz .LBB86_81
; %bb.61:
	v_cmp_gt_i16_e32 vcc_lo, 8, v17
	s_cbranch_vccnz .LBB86_71
; %bb.62:
	v_cmp_gt_i16_e32 vcc_lo, 9, v17
	s_cbranch_vccnz .LBB86_68
; %bb.63:
	v_cmp_lt_i16_e32 vcc_lo, 9, v17
	s_cbranch_vccz .LBB86_65
; %bb.64:
	s_mov_b32 s34, 0
	global_store_b128 v[8:9], v[0:3], off
.LBB86_65:
	s_and_not1_b32 vcc_lo, exec_lo, s34
	s_cbranch_vccnz .LBB86_67
; %bb.66:
	v_dual_mov_b32 v18, s1 :: v_dual_mov_b32 v19, s9
	global_store_b64 v[8:9], v[18:19], off
.LBB86_67:
	s_mov_b32 s34, 0
.LBB86_68:
	s_delay_alu instid0(SALU_CYCLE_1)
	s_and_not1_b32 vcc_lo, exec_lo, s34
	s_cbranch_vccnz .LBB86_70
; %bb.69:
	global_store_b32 v[8:9], v12, off
.LBB86_70:
	s_mov_b32 s34, 0
.LBB86_71:
	s_delay_alu instid0(SALU_CYCLE_1)
	s_and_not1_b32 vcc_lo, exec_lo, s34
	s_cbranch_vccnz .LBB86_80
; %bb.72:
	v_cmp_gt_i16_e32 vcc_lo, 6, v17
	s_mov_b32 s34, -1
	s_cbranch_vccnz .LBB86_78
; %bb.73:
	v_cmp_lt_i16_e32 vcc_lo, 6, v17
	s_cbranch_vccz .LBB86_75
; %bb.74:
	s_mov_b32 s34, 0
	global_store_b64 v[8:9], v[0:1], off
.LBB86_75:
	s_and_not1_b32 vcc_lo, exec_lo, s34
	s_cbranch_vccnz .LBB86_77
; %bb.76:
	v_mov_b32_e32 v18, s1
	global_store_b32 v[8:9], v18, off
.LBB86_77:
	s_mov_b32 s34, 0
.LBB86_78:
	s_delay_alu instid0(SALU_CYCLE_1)
	s_and_not1_b32 vcc_lo, exec_lo, s34
	s_cbranch_vccnz .LBB86_80
; %bb.79:
	global_store_b16 v[8:9], v11, off
.LBB86_80:
	s_mov_b32 s34, 0
.LBB86_81:
	s_delay_alu instid0(SALU_CYCLE_1)
	s_and_not1_b32 vcc_lo, exec_lo, s34
	s_cbranch_vccnz .LBB86_97
; %bb.82:
	v_cmp_gt_i16_e32 vcc_lo, 2, v17
	s_mov_b32 s34, -1
	s_cbranch_vccnz .LBB86_92
; %bb.83:
	v_cmp_gt_i16_e32 vcc_lo, 3, v17
	s_cbranch_vccnz .LBB86_89
; %bb.84:
	v_cmp_lt_i16_e32 vcc_lo, 3, v17
	s_cbranch_vccz .LBB86_86
; %bb.85:
	s_mov_b32 s34, 0
	global_store_b64 v[8:9], v[4:5], off
.LBB86_86:
	s_and_not1_b32 vcc_lo, exec_lo, s34
	s_cbranch_vccnz .LBB86_88
; %bb.87:
	global_store_b32 v[8:9], v10, off
.LBB86_88:
	s_mov_b32 s34, 0
.LBB86_89:
	s_delay_alu instid0(SALU_CYCLE_1)
	s_and_not1_b32 vcc_lo, exec_lo, s34
	s_cbranch_vccnz .LBB86_91
; %bb.90:
	global_store_b16 v[8:9], v10, off
.LBB86_91:
	s_mov_b32 s34, 0
.LBB86_92:
	s_delay_alu instid0(SALU_CYCLE_1)
	s_and_not1_b32 vcc_lo, exec_lo, s34
	s_cbranch_vccnz .LBB86_97
; %bb.93:
	v_cmp_lt_i16_e32 vcc_lo, 0, v17
	s_mov_b32 s34, -1
	s_cbranch_vccz .LBB86_95
; %bb.94:
	s_mov_b32 s34, 0
	global_store_b8 v[8:9], v10, off
.LBB86_95:
	s_and_not1_b32 vcc_lo, exec_lo, s34
	s_cbranch_vccnz .LBB86_97
; %bb.96:
	global_store_b8 v[8:9], v4, off
.LBB86_97:
	s_branch .LBB86_11
.LBB86_98:
	s_mov_b32 s37, 0
                                        ; implicit-def: $vgpr15
.LBB86_99:
	s_and_b32 s34, s0, exec_lo
	s_or_not1_b32 s0, s37, exec_lo
.LBB86_100:
	s_or_b32 exec_lo, exec_lo, s35
	s_mov_b32 s37, 0
                                        ; implicit-def: $vgpr17
                                        ; implicit-def: $vgpr8_vgpr9
	s_and_saveexec_b32 s35, s0
	s_cbranch_execz .LBB86_109
; %bb.101:
	s_mov_b32 s39, -1
	s_mov_b32 s36, s34
	s_mov_b32 s37, exec_lo
	v_cmpx_gt_i32_e64 s33, v15
	s_cbranch_execz .LBB86_326
; %bb.102:
	v_mul_lo_u32 v8, v15, s6
	v_and_b32_e64 v17, 0xff, s8
	s_delay_alu instid0(VALU_DEP_1) | instskip(NEXT) | instid1(VALU_DEP_3)
	v_cmp_gt_i16_e32 vcc_lo, 11, v17
	v_ashrrev_i32_e32 v9, 31, v8
	v_add_co_u32 v8, s0, s4, v8
	s_delay_alu instid0(VALU_DEP_1)
	v_add_co_ci_u32_e64 v9, s0, s5, v9, s0
	s_cbranch_vccnz .LBB86_219
; %bb.103:
	v_cmp_lt_i16_e32 vcc_lo, 25, v17
	s_cbranch_vccz .LBB86_222
; %bb.104:
	v_cmp_lt_i16_e32 vcc_lo, 28, v17
	s_cbranch_vccz .LBB86_223
	;; [unrolled: 3-line block ×4, first 2 shown]
; %bb.107:
	v_cmp_eq_u16_e32 vcc_lo, 46, v17
	s_mov_b32 s38, 0
	s_mov_b32 s0, -1
	s_mov_b32 s36, 0
	s_cbranch_vccz .LBB86_241
; %bb.108:
	v_mov_b32_e32 v18, s7
	s_mov_b32 s36, -1
	s_mov_b32 s0, 0
	global_store_b32 v[8:9], v18, off
	s_branch .LBB86_241
.LBB86_109:
	s_or_b32 exec_lo, exec_lo, s35
	s_mov_b32 s0, 0
	s_and_saveexec_b32 s10, s34
	s_cbranch_execnz .LBB86_883
.LBB86_110:
	s_or_b32 exec_lo, exec_lo, s10
	s_and_saveexec_b32 s10, s36
	s_delay_alu instid0(SALU_CYCLE_1)
	s_xor_b32 s10, exec_lo, s10
	s_cbranch_execz .LBB86_112
.LBB86_111:
	global_store_b8 v[8:9], v13, off
.LBB86_112:
	s_or_b32 exec_lo, exec_lo, s10
	s_and_saveexec_b32 s10, s37
	s_delay_alu instid0(SALU_CYCLE_1)
	s_xor_b32 s10, exec_lo, s10
	s_cbranch_execz .LBB86_150
; %bb.113:
	v_cmp_gt_i16_e32 vcc_lo, 5, v17
	s_mov_b32 s11, -1
	s_cbranch_vccnz .LBB86_134
; %bb.114:
	v_cmp_gt_i16_e32 vcc_lo, 8, v17
	s_cbranch_vccnz .LBB86_124
; %bb.115:
	v_cmp_gt_i16_e32 vcc_lo, 9, v17
	s_cbranch_vccnz .LBB86_121
; %bb.116:
	v_cmp_lt_i16_e32 vcc_lo, 9, v17
	s_cbranch_vccz .LBB86_118
; %bb.117:
	s_mov_b32 s11, 0
	global_store_b128 v[8:9], v[0:3], off
.LBB86_118:
	s_and_not1_b32 vcc_lo, exec_lo, s11
	s_cbranch_vccnz .LBB86_120
; %bb.119:
	v_dual_mov_b32 v2, s1 :: v_dual_mov_b32 v3, s9
	global_store_b64 v[8:9], v[2:3], off
.LBB86_120:
	s_mov_b32 s11, 0
.LBB86_121:
	s_delay_alu instid0(SALU_CYCLE_1)
	s_and_not1_b32 vcc_lo, exec_lo, s11
	s_cbranch_vccnz .LBB86_123
; %bb.122:
	global_store_b32 v[8:9], v12, off
.LBB86_123:
	s_mov_b32 s11, 0
.LBB86_124:
	s_delay_alu instid0(SALU_CYCLE_1)
	s_and_not1_b32 vcc_lo, exec_lo, s11
	s_cbranch_vccnz .LBB86_133
; %bb.125:
	v_cmp_gt_i16_e32 vcc_lo, 6, v17
	s_mov_b32 s9, -1
	s_cbranch_vccnz .LBB86_131
; %bb.126:
	v_cmp_lt_i16_e32 vcc_lo, 6, v17
	s_cbranch_vccz .LBB86_128
; %bb.127:
	s_mov_b32 s9, 0
	global_store_b64 v[8:9], v[0:1], off
.LBB86_128:
	s_and_not1_b32 vcc_lo, exec_lo, s9
	s_cbranch_vccnz .LBB86_130
; %bb.129:
	v_mov_b32_e32 v0, s1
	global_store_b32 v[8:9], v0, off
.LBB86_130:
	s_mov_b32 s9, 0
.LBB86_131:
	s_delay_alu instid0(SALU_CYCLE_1)
	s_and_not1_b32 vcc_lo, exec_lo, s9
	s_cbranch_vccnz .LBB86_133
; %bb.132:
	global_store_b16 v[8:9], v11, off
.LBB86_133:
	s_mov_b32 s11, 0
.LBB86_134:
	s_delay_alu instid0(SALU_CYCLE_1)
	s_and_not1_b32 vcc_lo, exec_lo, s11
	s_cbranch_vccnz .LBB86_150
; %bb.135:
	v_cmp_gt_i16_e32 vcc_lo, 2, v17
	s_mov_b32 s1, -1
	s_cbranch_vccnz .LBB86_145
; %bb.136:
	v_cmp_gt_i16_e32 vcc_lo, 3, v17
	s_cbranch_vccnz .LBB86_142
; %bb.137:
	v_cmp_lt_i16_e32 vcc_lo, 3, v17
	s_cbranch_vccz .LBB86_139
; %bb.138:
	s_mov_b32 s1, 0
	global_store_b64 v[8:9], v[4:5], off
.LBB86_139:
	s_and_not1_b32 vcc_lo, exec_lo, s1
	s_cbranch_vccnz .LBB86_141
; %bb.140:
	global_store_b32 v[8:9], v10, off
.LBB86_141:
	s_mov_b32 s1, 0
.LBB86_142:
	s_delay_alu instid0(SALU_CYCLE_1)
	s_and_not1_b32 vcc_lo, exec_lo, s1
	s_cbranch_vccnz .LBB86_144
; %bb.143:
	global_store_b16 v[8:9], v10, off
.LBB86_144:
	s_mov_b32 s1, 0
.LBB86_145:
	s_delay_alu instid0(SALU_CYCLE_1)
	s_and_not1_b32 vcc_lo, exec_lo, s1
	s_cbranch_vccnz .LBB86_150
; %bb.146:
	v_cmp_lt_i16_e32 vcc_lo, 0, v17
	s_mov_b32 s1, -1
	s_cbranch_vccz .LBB86_148
; %bb.147:
	s_mov_b32 s1, 0
	global_store_b8 v[8:9], v10, off
.LBB86_148:
	s_and_not1_b32 vcc_lo, exec_lo, s1
	s_cbranch_vccnz .LBB86_150
; %bb.149:
	global_store_b8 v[8:9], v4, off
.LBB86_150:
	s_or_b32 exec_lo, exec_lo, s10
	s_delay_alu instid0(SALU_CYCLE_1)
	s_and_b32 s1, s0, exec_lo
                                        ; implicit-def: $vgpr15
.LBB86_151:
	s_or_saveexec_b32 s2, s2
	s_mov_b32 s0, 0
                                        ; implicit-def: $vgpr2
                                        ; implicit-def: $vgpr0_vgpr1
	s_xor_b32 exec_lo, exec_lo, s2
	s_cbranch_execz .LBB86_681
; %bb.152:
	v_mul_lo_u32 v3, s6, v15
	v_and_b32_e64 v2, 0xff, s8
	s_delay_alu instid0(VALU_DEP_1) | instskip(NEXT) | instid1(VALU_DEP_3)
	v_cmp_gt_i16_e32 vcc_lo, 11, v2
	v_ashrrev_i32_e32 v1, 31, v3
	v_add_co_u32 v0, s0, s4, v3
	s_delay_alu instid0(VALU_DEP_1)
	v_add_co_ci_u32_e64 v1, s0, s5, v1, s0
	s_cbranch_vccnz .LBB86_180
; %bb.153:
	v_cmp_lt_i16_e32 vcc_lo, 25, v2
	s_mov_b32 s3, -1
	s_mov_b32 s8, 0
	s_mov_b32 s9, 0
	;; [unrolled: 1-line block ×3, first 2 shown]
	s_cbranch_vccz .LBB86_233
; %bb.154:
	v_cmp_lt_i16_e32 vcc_lo, 28, v2
	s_cbranch_vccz .LBB86_169
; %bb.155:
	v_cmp_lt_i16_e32 vcc_lo, 43, v2
	;; [unrolled: 3-line block ×3, first 2 shown]
	s_cbranch_vccz .LBB86_159
; %bb.157:
	v_cmp_eq_u16_e32 vcc_lo, 46, v2
	s_mov_b32 s0, -1
	s_mov_b32 s3, 0
	s_cbranch_vccz .LBB86_159
; %bb.158:
	v_mov_b32_e32 v4, s7
	s_mov_b32 s0, 0
	s_mov_b32 s9, -1
	global_store_b32 v[0:1], v4, off
.LBB86_159:
	s_and_b32 vcc_lo, exec_lo, s3
	s_cbranch_vccz .LBB86_164
; %bb.160:
	v_cmp_eq_u16_e32 vcc_lo, 44, v2
	s_mov_b32 s0, -1
	s_cbranch_vccz .LBB86_164
; %bb.161:
	s_lshl_b32 s0, s7, 16
	v_mov_b32_e32 v4, 0xff
	s_bfe_u32 s3, s0, 0x80017
	s_delay_alu instid0(SALU_CYCLE_1)
	s_cmpk_eq_i32 s3, 0xff
	s_cbranch_scc1 .LBB86_163
; %bb.162:
	s_bfe_u32 s9, s7, 0x90007
	s_bitcmp1_b32 s7, 6
	s_cselect_b32 s10, -1, 0
	s_and_b32 s0, s0, 0x3f0000
	s_delay_alu instid0(SALU_CYCLE_1) | instskip(NEXT) | instid1(SALU_CYCLE_1)
	s_or_b32 s0, s3, s0
	s_cmp_lg_u32 s0, 0
	s_cselect_b32 s0, -1, 0
	s_delay_alu instid0(SALU_CYCLE_1) | instskip(NEXT) | instid1(SALU_CYCLE_1)
	s_and_b32 s0, s10, s0
	v_cndmask_b32_e64 v4, 0, 1, s0
	s_delay_alu instid0(VALU_DEP_1)
	v_add_nc_u32_e32 v4, s9, v4
.LBB86_163:
	s_mov_b32 s0, 0
	s_mov_b32 s9, -1
	global_store_b8 v[0:1], v4, off
.LBB86_164:
	s_mov_b32 s3, 0
.LBB86_165:
	s_delay_alu instid0(SALU_CYCLE_1)
	s_and_b32 vcc_lo, exec_lo, s3
	s_cbranch_vccz .LBB86_168
; %bb.166:
	v_cmp_eq_u16_e32 vcc_lo, 29, v2
	s_mov_b32 s0, -1
	s_cbranch_vccz .LBB86_168
; %bb.167:
	s_lshl_b32 s0, s7, 16
	s_mov_b32 s9, -1
	v_trunc_f32_e32 v4, s0
	s_mov_b32 s0, 0
	s_delay_alu instid0(VALU_DEP_1) | instskip(NEXT) | instid1(VALU_DEP_1)
	v_mul_f32_e32 v5, 0x2f800000, v4
	v_floor_f32_e32 v5, v5
	s_delay_alu instid0(VALU_DEP_1) | instskip(SKIP_1) | instid1(VALU_DEP_2)
	v_fmamk_f32 v4, v5, 0xcf800000, v4
	v_cvt_u32_f32_e32 v5, v5
	v_cvt_u32_f32_e32 v4, v4
	global_store_b64 v[0:1], v[4:5], off
.LBB86_168:
	s_mov_b32 s3, 0
.LBB86_169:
	s_delay_alu instid0(SALU_CYCLE_1)
	s_and_b32 vcc_lo, exec_lo, s3
	s_cbranch_vccz .LBB86_232
; %bb.170:
	v_cmp_gt_i16_e32 vcc_lo, 27, v2
	s_mov_b32 s3, -1
	s_cbranch_vccnz .LBB86_176
; %bb.171:
	v_cmp_lt_i16_e32 vcc_lo, 27, v2
	s_cbranch_vccz .LBB86_173
; %bb.172:
	s_lshl_b32 s3, s7, 16
	s_delay_alu instid0(SALU_CYCLE_1)
	v_cvt_u32_f32_e32 v4, s3
	s_mov_b32 s3, 0
	global_store_b32 v[0:1], v4, off
.LBB86_173:
	s_and_not1_b32 vcc_lo, exec_lo, s3
	s_cbranch_vccnz .LBB86_175
; %bb.174:
	s_lshl_b32 s3, s7, 16
	s_delay_alu instid0(SALU_CYCLE_1)
	v_cvt_u32_f32_e32 v4, s3
	global_store_b16 v[0:1], v4, off
.LBB86_175:
	s_mov_b32 s3, 0
.LBB86_176:
	s_delay_alu instid0(SALU_CYCLE_1)
	s_and_not1_b32 vcc_lo, exec_lo, s3
	s_cbranch_vccnz .LBB86_231
; %bb.177:
	s_lshl_b32 s3, s7, 16
	v_mov_b32_e32 v5, 0x80
	s_and_b32 s9, s3, 0x7fffffff
	s_delay_alu instid0(SALU_CYCLE_1)
	s_cmp_gt_u32 s9, 0x437fffff
	s_cbranch_scc1 .LBB86_230
; %bb.178:
	s_cmp_gt_u32 s9, 0x3bffffff
	s_cbranch_scc0 .LBB86_225
; %bb.179:
	s_bfe_u32 s9, s3, 0x10014
	s_mov_b32 s10, 0
	s_add_i32 s9, s3, s9
	s_delay_alu instid0(SALU_CYCLE_1) | instskip(NEXT) | instid1(SALU_CYCLE_1)
	s_add_i32 s9, s9, 0x487ffff
	s_lshr_b32 s11, s9, 20
	s_mov_b32 s9, -1
	s_branch .LBB86_226
.LBB86_180:
	s_mov_b32 s9, 0
	s_mov_b32 s3, s1
	s_cbranch_execz .LBB86_382
; %bb.181:
	v_cmp_gt_i16_e32 vcc_lo, 5, v2
	s_mov_b32 s0, -1
	s_cbranch_vccnz .LBB86_202
; %bb.182:
	v_cmp_gt_i16_e32 vcc_lo, 8, v2
	s_cbranch_vccnz .LBB86_192
; %bb.183:
	v_cmp_gt_i16_e32 vcc_lo, 9, v2
	s_cbranch_vccnz .LBB86_189
; %bb.184:
	v_cmp_lt_i16_e32 vcc_lo, 9, v2
	s_cbranch_vccz .LBB86_186
; %bb.185:
	s_lshl_b32 s0, s7, 16
	s_and_b32 s8, s7, 0xffff0000
	v_cvt_f64_f32_e32 v[4:5], s0
	v_cvt_f64_f32_e32 v[6:7], s8
	s_mov_b32 s0, 0
	global_store_b128 v[0:1], v[4:7], off
.LBB86_186:
	s_and_not1_b32 vcc_lo, exec_lo, s0
	s_cbranch_vccnz .LBB86_188
; %bb.187:
	s_lshl_b32 s0, s7, 16
	s_and_b32 s8, s7, 0xffff0000
	s_delay_alu instid0(SALU_CYCLE_1)
	v_dual_mov_b32 v4, s0 :: v_dual_mov_b32 v5, s8
	global_store_b64 v[0:1], v[4:5], off
.LBB86_188:
	s_mov_b32 s0, 0
.LBB86_189:
	s_delay_alu instid0(SALU_CYCLE_1)
	s_and_not1_b32 vcc_lo, exec_lo, s0
	s_cbranch_vccnz .LBB86_191
; %bb.190:
	s_and_b32 s0, s7, 0xffff0000
	s_lshl_b32 s8, s7, 16
	v_cvt_f16_f32_e32 v4, s0
	v_cvt_f16_f32_e32 v5, s8
	s_delay_alu instid0(VALU_DEP_2) | instskip(NEXT) | instid1(VALU_DEP_2)
	v_lshlrev_b32_e32 v4, 16, v4
	v_and_b32_e32 v5, 0xffff, v5
	s_delay_alu instid0(VALU_DEP_1)
	v_or_b32_e32 v4, v4, v5
	global_store_b32 v[0:1], v4, off
.LBB86_191:
	s_mov_b32 s0, 0
.LBB86_192:
	s_delay_alu instid0(SALU_CYCLE_1)
	s_and_not1_b32 vcc_lo, exec_lo, s0
	s_cbranch_vccnz .LBB86_201
; %bb.193:
	v_cmp_gt_i16_e32 vcc_lo, 6, v2
	s_mov_b32 s0, -1
	s_cbranch_vccnz .LBB86_199
; %bb.194:
	v_cmp_lt_i16_e32 vcc_lo, 6, v2
	s_cbranch_vccz .LBB86_196
; %bb.195:
	s_lshl_b32 s0, s7, 16
	s_delay_alu instid0(SALU_CYCLE_1)
	v_cvt_f64_f32_e32 v[4:5], s0
	s_mov_b32 s0, 0
	global_store_b64 v[0:1], v[4:5], off
.LBB86_196:
	s_and_not1_b32 vcc_lo, exec_lo, s0
	s_cbranch_vccnz .LBB86_198
; %bb.197:
	s_lshl_b32 s0, s7, 16
	s_delay_alu instid0(SALU_CYCLE_1)
	v_mov_b32_e32 v4, s0
	global_store_b32 v[0:1], v4, off
.LBB86_198:
	s_mov_b32 s0, 0
.LBB86_199:
	s_delay_alu instid0(SALU_CYCLE_1)
	s_and_not1_b32 vcc_lo, exec_lo, s0
	s_cbranch_vccnz .LBB86_201
; %bb.200:
	s_lshl_b32 s0, s7, 16
	s_delay_alu instid0(SALU_CYCLE_1)
	v_cvt_f16_f32_e32 v4, s0
	global_store_b16 v[0:1], v4, off
.LBB86_201:
	s_mov_b32 s0, 0
.LBB86_202:
	s_delay_alu instid0(SALU_CYCLE_1)
	s_and_not1_b32 vcc_lo, exec_lo, s0
	s_cbranch_vccnz .LBB86_218
; %bb.203:
	v_cmp_gt_i16_e32 vcc_lo, 2, v2
	s_mov_b32 s0, -1
	s_cbranch_vccnz .LBB86_213
; %bb.204:
	v_cmp_gt_i16_e32 vcc_lo, 3, v2
	s_cbranch_vccnz .LBB86_210
; %bb.205:
	v_cmp_lt_i16_e32 vcc_lo, 3, v2
	s_cbranch_vccz .LBB86_207
; %bb.206:
	s_lshl_b32 s0, s7, 16
	s_delay_alu instid0(SALU_CYCLE_1) | instskip(SKIP_1) | instid1(VALU_DEP_1)
	v_trunc_f32_e32 v4, s0
	s_mov_b32 s0, 0
	v_mul_f32_e64 v5, 0x2f800000, |v4|
	v_ashrrev_i32_e32 v7, 31, v4
	s_delay_alu instid0(VALU_DEP_2) | instskip(NEXT) | instid1(VALU_DEP_1)
	v_floor_f32_e32 v5, v5
	v_fma_f32 v6, 0xcf800000, v5, |v4|
	v_cvt_u32_f32_e32 v5, v5
	s_delay_alu instid0(VALU_DEP_2) | instskip(NEXT) | instid1(VALU_DEP_2)
	v_cvt_u32_f32_e32 v4, v6
	v_xor_b32_e32 v5, v5, v7
	s_delay_alu instid0(VALU_DEP_2) | instskip(NEXT) | instid1(VALU_DEP_1)
	v_xor_b32_e32 v4, v4, v7
	v_sub_co_u32 v4, vcc_lo, v4, v7
	s_delay_alu instid0(VALU_DEP_3)
	v_sub_co_ci_u32_e32 v5, vcc_lo, v5, v7, vcc_lo
	global_store_b64 v[0:1], v[4:5], off
.LBB86_207:
	s_and_not1_b32 vcc_lo, exec_lo, s0
	s_cbranch_vccnz .LBB86_209
; %bb.208:
	s_lshl_b32 s0, s7, 16
	s_delay_alu instid0(SALU_CYCLE_1)
	v_cvt_i32_f32_e32 v4, s0
	global_store_b32 v[0:1], v4, off
.LBB86_209:
	s_mov_b32 s0, 0
.LBB86_210:
	s_delay_alu instid0(SALU_CYCLE_1)
	s_and_not1_b32 vcc_lo, exec_lo, s0
	s_cbranch_vccnz .LBB86_212
; %bb.211:
	s_lshl_b32 s0, s7, 16
	s_delay_alu instid0(SALU_CYCLE_1)
	v_cvt_i32_f32_e32 v4, s0
	global_store_b16 v[0:1], v4, off
.LBB86_212:
	s_mov_b32 s0, 0
.LBB86_213:
	s_delay_alu instid0(SALU_CYCLE_1)
	s_and_not1_b32 vcc_lo, exec_lo, s0
	s_cbranch_vccnz .LBB86_218
; %bb.214:
	v_cmp_lt_i16_e32 vcc_lo, 0, v2
	s_mov_b32 s0, -1
	s_cbranch_vccz .LBB86_216
; %bb.215:
	s_lshl_b32 s0, s7, 16
	s_delay_alu instid0(SALU_CYCLE_1)
	v_cvt_i32_f32_e32 v4, s0
	s_mov_b32 s0, 0
	global_store_b8 v[0:1], v4, off
.LBB86_216:
	s_and_not1_b32 vcc_lo, exec_lo, s0
	s_cbranch_vccnz .LBB86_218
; %bb.217:
	s_lshl_b32 s0, s7, 16
	s_delay_alu instid0(SALU_CYCLE_1) | instskip(NEXT) | instid1(VALU_DEP_1)
	v_trunc_f32_e32 v4, s0
	v_mul_f32_e64 v5, 0x2f800000, |v4|
	s_delay_alu instid0(VALU_DEP_1) | instskip(NEXT) | instid1(VALU_DEP_1)
	v_floor_f32_e32 v5, v5
	v_fma_f32 v5, 0xcf800000, v5, |v4|
	v_ashrrev_i32_e32 v4, 31, v4
	s_delay_alu instid0(VALU_DEP_2) | instskip(NEXT) | instid1(VALU_DEP_1)
	v_cvt_u32_f32_e32 v5, v5
	v_xor_b32_e32 v5, v5, v4
	s_delay_alu instid0(VALU_DEP_1)
	v_sub_nc_u32_e32 v4, v5, v4
	global_store_b8 v[0:1], v4, off
.LBB86_218:
	s_branch .LBB86_383
.LBB86_219:
	s_mov_b32 s36, 0
	s_mov_b32 s0, s34
	s_cbranch_execnz .LBB86_286
.LBB86_220:
	s_and_not1_b32 vcc_lo, exec_lo, s36
	s_cbranch_vccnz .LBB86_324
.LBB86_221:
	v_add_nc_u32_e32 v15, 0x80, v15
	s_mov_b32 s38, -1
	s_branch .LBB86_325
.LBB86_222:
	s_mov_b32 s38, -1
	s_mov_b32 s36, 0
	s_mov_b32 s0, s34
	s_branch .LBB86_263
.LBB86_223:
	s_mov_b32 s38, -1
	s_mov_b32 s36, 0
	s_mov_b32 s0, s34
	s_branch .LBB86_249
.LBB86_224:
	s_mov_b32 s38, -1
	s_mov_b32 s36, 0
	s_mov_b32 s0, s34
	s_branch .LBB86_245
.LBB86_225:
	s_mov_b32 s10, -1
	s_mov_b32 s9, 0
                                        ; implicit-def: $sgpr11
.LBB86_226:
	v_mov_b32_e32 v4, s11
	s_and_not1_b32 vcc_lo, exec_lo, s10
                                        ; implicit-def: $sgpr10
	s_cbranch_vccnz .LBB86_228
; %bb.227:
	v_add_f32_e64 v4, 0x46000000, |s3|
	s_mov_b32 s10, 0
	s_delay_alu instid0(VALU_DEP_1) | instskip(NEXT) | instid1(VALU_DEP_1)
	v_and_b32_e32 v4, 0xff, v4
	v_cmp_ne_u32_e64 s9, 0, v4
.LBB86_228:
	v_mov_b32_e32 v5, s10
	s_delay_alu instid0(VALU_DEP_2)
	s_and_not1_b32 vcc_lo, exec_lo, s9
	s_cbranch_vccnz .LBB86_230
; %bb.229:
	s_lshr_b32 s3, s3, 24
	s_delay_alu instid0(SALU_CYCLE_1) | instskip(NEXT) | instid1(SALU_CYCLE_1)
	s_and_b32 s3, s3, 0x80
	v_or_b32_e32 v5, s3, v4
.LBB86_230:
	global_store_b8 v[0:1], v5, off
.LBB86_231:
	s_mov_b32 s9, -1
.LBB86_232:
	s_mov_b32 s3, 0
.LBB86_233:
	s_delay_alu instid0(SALU_CYCLE_1)
	s_and_b32 vcc_lo, exec_lo, s3
	s_cbranch_vccz .LBB86_378
; %bb.234:
	v_cmp_lt_i16_e32 vcc_lo, 22, v2
	s_mov_b32 s3, -1
	s_cbranch_vccz .LBB86_371
; %bb.235:
	v_cmp_gt_i16_e32 vcc_lo, 24, v2
	s_cbranch_vccnz .LBB86_358
; %bb.236:
	v_cmp_lt_i16_e32 vcc_lo, 24, v2
	s_cbranch_vccz .LBB86_345
; %bb.237:
	s_lshl_b32 s3, s7, 16
	v_mov_b32_e32 v5, 0x80
	s_and_b32 s8, s3, 0x7fffffff
	s_delay_alu instid0(SALU_CYCLE_1)
	s_cmp_gt_u32 s8, 0x477fffff
	s_cbranch_scc1 .LBB86_344
; %bb.238:
	s_cmp_gt_u32 s8, 0x37ffffff
	s_cbranch_scc0 .LBB86_339
; %bb.239:
	s_bfe_u32 s8, s3, 0x10015
	s_mov_b32 s9, 0
	s_add_i32 s8, s3, s8
	s_delay_alu instid0(SALU_CYCLE_1) | instskip(NEXT) | instid1(SALU_CYCLE_1)
	s_add_i32 s8, s8, 0x88fffff
	s_lshr_b32 s10, s8, 21
	s_mov_b32 s8, -1
	s_branch .LBB86_340
.LBB86_240:
	s_mov_b32 s38, -1
	s_mov_b32 s36, 0
	s_mov_b32 s0, s34
.LBB86_241:
	s_and_b32 vcc_lo, exec_lo, s38
	s_cbranch_vccz .LBB86_244
; %bb.242:
	v_cmp_eq_u16_e32 vcc_lo, 44, v17
	s_mov_b32 s0, -1
	s_cbranch_vccz .LBB86_244
; %bb.243:
	v_cndmask_b32_e64 v18, v16, 0xff, s31
	s_mov_b32 s36, -1
	s_mov_b32 s0, 0
	global_store_b8 v[8:9], v18, off
.LBB86_244:
	s_mov_b32 s38, 0
.LBB86_245:
	s_delay_alu instid0(SALU_CYCLE_1)
	s_and_b32 vcc_lo, exec_lo, s38
	s_cbranch_vccz .LBB86_248
; %bb.246:
	v_cmp_eq_u16_e32 vcc_lo, 29, v17
	s_mov_b32 s0, -1
	s_cbranch_vccz .LBB86_248
; %bb.247:
	s_mov_b32 s36, -1
	s_mov_b32 s0, 0
	global_store_b64 v[8:9], v[6:7], off
.LBB86_248:
	s_mov_b32 s38, 0
.LBB86_249:
	s_delay_alu instid0(SALU_CYCLE_1)
	s_and_b32 vcc_lo, exec_lo, s38
	s_cbranch_vccz .LBB86_262
; %bb.250:
	v_cmp_gt_i16_e32 vcc_lo, 27, v17
	s_mov_b32 s36, -1
	s_cbranch_vccnz .LBB86_256
; %bb.251:
	v_cmp_lt_i16_e32 vcc_lo, 27, v17
	s_cbranch_vccz .LBB86_253
; %bb.252:
	s_mov_b32 s36, 0
	global_store_b32 v[8:9], v14, off
.LBB86_253:
	s_and_not1_b32 vcc_lo, exec_lo, s36
	s_cbranch_vccnz .LBB86_255
; %bb.254:
	global_store_b16 v[8:9], v14, off
.LBB86_255:
	s_mov_b32 s36, 0
.LBB86_256:
	s_delay_alu instid0(SALU_CYCLE_1)
	s_and_not1_b32 vcc_lo, exec_lo, s36
	s_cbranch_vccnz .LBB86_261
; %bb.257:
	s_and_not1_b32 vcc_lo, exec_lo, s29
	s_movk_i32 s36, 0x80
	s_cbranch_vccnz .LBB86_260
; %bb.258:
	s_or_b32 s36, s27, s30
	s_delay_alu instid0(SALU_CYCLE_1)
	s_and_not1_b32 vcc_lo, exec_lo, s36
	s_mov_b32 s36, 0
	s_cbranch_vccnz .LBB86_260
; %bb.259:
	s_and_b32 s36, s27, exec_lo
	s_cselect_b32 s36, s28, s26
	s_delay_alu instid0(SALU_CYCLE_1)
	s_or_b32 s36, s36, s10
.LBB86_260:
	s_delay_alu instid0(SALU_CYCLE_1)
	v_mov_b32_e32 v18, s36
	global_store_b8 v[8:9], v18, off
.LBB86_261:
	s_mov_b32 s36, -1
.LBB86_262:
	s_mov_b32 s38, 0
.LBB86_263:
	s_delay_alu instid0(SALU_CYCLE_1)
	s_and_b32 vcc_lo, exec_lo, s38
	s_cbranch_vccz .LBB86_285
; %bb.264:
	v_cmp_lt_i16_e32 vcc_lo, 22, v17
	s_mov_b32 s38, -1
	s_cbranch_vccz .LBB86_277
; %bb.265:
	v_cmp_gt_i16_e32 vcc_lo, 24, v17
	s_mov_b32 s36, -1
	s_cbranch_vccnz .LBB86_274
; %bb.266:
	v_cmp_lt_i16_e32 vcc_lo, 24, v17
	s_cbranch_vccz .LBB86_271
; %bb.267:
	s_and_not1_b32 vcc_lo, exec_lo, s22
	s_movk_i32 s36, 0x80
	s_cbranch_vccnz .LBB86_270
; %bb.268:
	s_or_b32 s36, s18, s23
	s_delay_alu instid0(SALU_CYCLE_1)
	s_and_not1_b32 vcc_lo, exec_lo, s36
	s_mov_b32 s36, 0
	s_cbranch_vccnz .LBB86_270
; %bb.269:
	s_and_b32 s36, s18, exec_lo
	s_cselect_b32 s36, s20, s17
	s_delay_alu instid0(SALU_CYCLE_1)
	s_or_b32 s36, s36, s10
.LBB86_270:
	s_delay_alu instid0(SALU_CYCLE_1)
	v_mov_b32_e32 v18, s36
	s_mov_b32 s36, 0
	global_store_b8 v[8:9], v18, off
.LBB86_271:
	s_and_b32 vcc_lo, exec_lo, s36
	s_cbranch_vccz .LBB86_273
; %bb.272:
	s_and_b32 s36, s14, exec_lo
	s_cselect_b32 s36, s25, s19
	s_and_b32 s38, s12, exec_lo
	s_cselect_b32 s36, s21, s36
	s_delay_alu instid0(SALU_CYCLE_1) | instskip(NEXT) | instid1(SALU_CYCLE_1)
	s_or_b32 s36, s36, s10
	v_mov_b32_e32 v18, s36
	global_store_b8 v[8:9], v18, off
.LBB86_273:
	s_mov_b32 s36, 0
.LBB86_274:
	s_delay_alu instid0(SALU_CYCLE_1)
	s_and_not1_b32 vcc_lo, exec_lo, s36
	s_cbranch_vccnz .LBB86_276
; %bb.275:
	s_and_b32 s36, s13, exec_lo
	s_cselect_b32 s36, s24, s15
	s_and_b32 s38, s11, exec_lo
	s_cselect_b32 s36, s16, s36
	s_delay_alu instid0(SALU_CYCLE_1) | instskip(NEXT) | instid1(SALU_CYCLE_1)
	s_or_b32 s36, s36, s10
	v_mov_b32_e32 v18, s36
	global_store_b8 v[8:9], v18, off
.LBB86_276:
	s_mov_b32 s38, 0
	s_mov_b32 s36, -1
.LBB86_277:
	s_and_not1_b32 vcc_lo, exec_lo, s38
	s_cbranch_vccnz .LBB86_285
; %bb.278:
	v_cmp_lt_i16_e32 vcc_lo, 14, v17
	s_mov_b32 s38, -1
	s_cbranch_vccz .LBB86_282
; %bb.279:
	v_cmp_eq_u16_e32 vcc_lo, 15, v17
	s_mov_b32 s0, -1
	s_cbranch_vccz .LBB86_281
; %bb.280:
	v_mov_b32_e32 v18, s7
	s_mov_b32 s36, -1
	s_mov_b32 s0, 0
	global_store_b16 v[8:9], v18, off
.LBB86_281:
	s_mov_b32 s38, 0
.LBB86_282:
	s_delay_alu instid0(SALU_CYCLE_1)
	s_and_b32 vcc_lo, exec_lo, s38
	s_cbranch_vccz .LBB86_285
; %bb.283:
	v_cmp_eq_u16_e32 vcc_lo, 11, v17
	s_mov_b32 s0, -1
	s_cbranch_vccz .LBB86_285
; %bb.284:
	s_mov_b32 s36, -1
	s_mov_b32 s0, 0
	global_store_b8 v[8:9], v13, off
.LBB86_285:
	s_branch .LBB86_220
.LBB86_286:
	v_cmp_gt_i16_e32 vcc_lo, 5, v17
	s_mov_b32 s36, -1
	s_cbranch_vccnz .LBB86_307
; %bb.287:
	v_cmp_gt_i16_e32 vcc_lo, 8, v17
	s_cbranch_vccnz .LBB86_297
; %bb.288:
	v_cmp_gt_i16_e32 vcc_lo, 9, v17
	s_cbranch_vccnz .LBB86_294
; %bb.289:
	v_cmp_lt_i16_e32 vcc_lo, 9, v17
	s_cbranch_vccz .LBB86_291
; %bb.290:
	s_mov_b32 s36, 0
	global_store_b128 v[8:9], v[0:3], off
.LBB86_291:
	s_and_not1_b32 vcc_lo, exec_lo, s36
	s_cbranch_vccnz .LBB86_293
; %bb.292:
	v_dual_mov_b32 v18, s1 :: v_dual_mov_b32 v19, s9
	global_store_b64 v[8:9], v[18:19], off
.LBB86_293:
	s_mov_b32 s36, 0
.LBB86_294:
	s_delay_alu instid0(SALU_CYCLE_1)
	s_and_not1_b32 vcc_lo, exec_lo, s36
	s_cbranch_vccnz .LBB86_296
; %bb.295:
	global_store_b32 v[8:9], v12, off
.LBB86_296:
	s_mov_b32 s36, 0
.LBB86_297:
	s_delay_alu instid0(SALU_CYCLE_1)
	s_and_not1_b32 vcc_lo, exec_lo, s36
	s_cbranch_vccnz .LBB86_306
; %bb.298:
	v_cmp_gt_i16_e32 vcc_lo, 6, v17
	s_mov_b32 s36, -1
	s_cbranch_vccnz .LBB86_304
; %bb.299:
	v_cmp_lt_i16_e32 vcc_lo, 6, v17
	s_cbranch_vccz .LBB86_301
; %bb.300:
	s_mov_b32 s36, 0
	global_store_b64 v[8:9], v[0:1], off
.LBB86_301:
	s_and_not1_b32 vcc_lo, exec_lo, s36
	s_cbranch_vccnz .LBB86_303
; %bb.302:
	v_mov_b32_e32 v18, s1
	global_store_b32 v[8:9], v18, off
.LBB86_303:
	s_mov_b32 s36, 0
.LBB86_304:
	s_delay_alu instid0(SALU_CYCLE_1)
	s_and_not1_b32 vcc_lo, exec_lo, s36
	s_cbranch_vccnz .LBB86_306
; %bb.305:
	global_store_b16 v[8:9], v11, off
.LBB86_306:
	s_mov_b32 s36, 0
.LBB86_307:
	s_delay_alu instid0(SALU_CYCLE_1)
	s_and_not1_b32 vcc_lo, exec_lo, s36
	s_cbranch_vccnz .LBB86_323
; %bb.308:
	v_cmp_gt_i16_e32 vcc_lo, 2, v17
	s_mov_b32 s36, -1
	s_cbranch_vccnz .LBB86_318
; %bb.309:
	v_cmp_gt_i16_e32 vcc_lo, 3, v17
	s_cbranch_vccnz .LBB86_315
; %bb.310:
	v_cmp_lt_i16_e32 vcc_lo, 3, v17
	s_cbranch_vccz .LBB86_312
; %bb.311:
	s_mov_b32 s36, 0
	global_store_b64 v[8:9], v[4:5], off
.LBB86_312:
	s_and_not1_b32 vcc_lo, exec_lo, s36
	s_cbranch_vccnz .LBB86_314
; %bb.313:
	global_store_b32 v[8:9], v10, off
.LBB86_314:
	s_mov_b32 s36, 0
.LBB86_315:
	s_delay_alu instid0(SALU_CYCLE_1)
	s_and_not1_b32 vcc_lo, exec_lo, s36
	s_cbranch_vccnz .LBB86_317
; %bb.316:
	global_store_b16 v[8:9], v10, off
.LBB86_317:
	s_mov_b32 s36, 0
.LBB86_318:
	s_delay_alu instid0(SALU_CYCLE_1)
	s_and_not1_b32 vcc_lo, exec_lo, s36
	s_cbranch_vccnz .LBB86_323
; %bb.319:
	v_cmp_lt_i16_e32 vcc_lo, 0, v17
	s_mov_b32 s36, -1
	s_cbranch_vccz .LBB86_321
; %bb.320:
	s_mov_b32 s36, 0
	global_store_b8 v[8:9], v10, off
.LBB86_321:
	s_and_not1_b32 vcc_lo, exec_lo, s36
	s_cbranch_vccnz .LBB86_323
; %bb.322:
	global_store_b8 v[8:9], v4, off
.LBB86_323:
	s_branch .LBB86_221
.LBB86_324:
	s_mov_b32 s38, 0
                                        ; implicit-def: $vgpr15
.LBB86_325:
	s_and_not1_b32 s36, s34, exec_lo
	s_and_b32 s0, s0, exec_lo
	s_or_not1_b32 s39, s38, exec_lo
	s_or_b32 s36, s36, s0
.LBB86_326:
	s_or_b32 exec_lo, exec_lo, s37
	s_mov_b32 s0, 0
	s_mov_b32 s38, 0
                                        ; implicit-def: $vgpr17
                                        ; implicit-def: $vgpr8_vgpr9
	s_and_saveexec_b32 s37, s39
	s_cbranch_execz .LBB86_882
; %bb.327:
	s_mov_b32 s41, -1
	s_mov_b32 s39, s36
	s_mov_b32 s38, exec_lo
	v_cmpx_gt_i32_e64 s33, v15
	s_cbranch_execz .LBB86_558
; %bb.328:
	v_mul_lo_u32 v8, v15, s6
	v_and_b32_e64 v17, 0xff, s8
	s_delay_alu instid0(VALU_DEP_1) | instskip(NEXT) | instid1(VALU_DEP_3)
	v_cmp_gt_i16_e32 vcc_lo, 11, v17
	v_ashrrev_i32_e32 v9, 31, v8
	v_add_co_u32 v8, s0, s4, v8
	s_delay_alu instid0(VALU_DEP_1)
	v_add_co_ci_u32_e64 v9, s0, s5, v9, s0
	s_cbranch_vccnz .LBB86_335
; %bb.329:
	v_cmp_lt_i16_e32 vcc_lo, 25, v17
	s_cbranch_vccz .LBB86_336
; %bb.330:
	v_cmp_lt_i16_e32 vcc_lo, 28, v17
	s_cbranch_vccz .LBB86_337
	;; [unrolled: 3-line block ×4, first 2 shown]
; %bb.333:
	v_cmp_eq_u16_e32 vcc_lo, 46, v17
	s_mov_b32 s40, 0
	s_mov_b32 s0, -1
	s_mov_b32 s39, 0
	s_cbranch_vccz .LBB86_470
; %bb.334:
	v_mov_b32_e32 v18, s7
	s_mov_b32 s39, -1
	s_mov_b32 s0, 0
	global_store_b32 v[8:9], v18, off
	s_branch .LBB86_470
.LBB86_335:
	s_mov_b32 s40, -1
	s_mov_b32 s39, 0
	s_mov_b32 s0, s36
	s_branch .LBB86_515
.LBB86_336:
	s_mov_b32 s40, -1
	s_mov_b32 s39, 0
	s_mov_b32 s0, s36
	s_branch .LBB86_492
.LBB86_337:
	s_mov_b32 s40, -1
	s_mov_b32 s39, 0
	s_mov_b32 s0, s36
	s_branch .LBB86_478
.LBB86_338:
	s_mov_b32 s40, -1
	s_mov_b32 s39, 0
	s_mov_b32 s0, s36
	s_branch .LBB86_474
.LBB86_339:
	s_mov_b32 s9, -1
	s_mov_b32 s8, 0
                                        ; implicit-def: $sgpr10
.LBB86_340:
	v_mov_b32_e32 v4, s10
	s_and_not1_b32 vcc_lo, exec_lo, s9
                                        ; implicit-def: $sgpr9
	s_cbranch_vccnz .LBB86_342
; %bb.341:
	v_add_f32_e64 v4, 0x42800000, |s3|
	s_mov_b32 s9, 0
	s_delay_alu instid0(VALU_DEP_1) | instskip(NEXT) | instid1(VALU_DEP_1)
	v_and_b32_e32 v4, 0xff, v4
	v_cmp_ne_u32_e64 s8, 0, v4
.LBB86_342:
	v_mov_b32_e32 v5, s9
	s_delay_alu instid0(VALU_DEP_2)
	s_and_not1_b32 vcc_lo, exec_lo, s8
	s_cbranch_vccnz .LBB86_344
; %bb.343:
	s_lshr_b32 s3, s3, 24
	s_delay_alu instid0(SALU_CYCLE_1) | instskip(NEXT) | instid1(SALU_CYCLE_1)
	s_and_b32 s3, s3, 0x80
	v_or_b32_e32 v5, s3, v4
.LBB86_344:
	s_mov_b32 s3, 0
	global_store_b8 v[0:1], v5, off
.LBB86_345:
	s_and_b32 vcc_lo, exec_lo, s3
	s_cbranch_vccz .LBB86_357
; %bb.346:
	s_lshl_b32 s3, s7, 16
	s_delay_alu instid0(SALU_CYCLE_1) | instskip(NEXT) | instid1(SALU_CYCLE_1)
	s_and_b32 s8, s3, 0x7fffffff
	s_cmp_lt_u32 s8, 0x43f00000
	s_cbranch_scc0 .LBB86_349
; %bb.347:
	s_cmp_gt_u32 s8, 0x3c7fffff
	s_cbranch_scc0 .LBB86_350
; %bb.348:
	s_bfe_u32 s9, s3, 0x10014
	s_delay_alu instid0(SALU_CYCLE_1) | instskip(NEXT) | instid1(SALU_CYCLE_1)
	s_add_i32 s9, s3, s9
	s_add_i32 s9, s9, 0x407ffff
	s_delay_alu instid0(SALU_CYCLE_1)
	s_and_b32 s10, s9, 0xff00000
	s_lshr_b32 s9, s9, 20
	s_cmp_lg_u32 s10, 0x7f00000
	s_cselect_b32 s10, s9, 0x7e
	s_mov_b32 s9, 0
	s_branch .LBB86_351
.LBB86_349:
	s_mov_b32 s9, -1
                                        ; implicit-def: $vgpr4
	s_branch .LBB86_354
.LBB86_350:
	s_mov_b32 s9, -1
                                        ; implicit-def: $sgpr10
.LBB86_351:
	v_mov_b32_e32 v4, s10
	s_and_not1_b32 vcc_lo, exec_lo, s9
	s_cbranch_vccnz .LBB86_353
; %bb.352:
	v_add_f32_e64 v4, 0x46800000, |s3|
.LBB86_353:
	s_mov_b32 s9, 0
.LBB86_354:
	s_delay_alu instid0(SALU_CYCLE_1)
	s_and_not1_b32 vcc_lo, exec_lo, s9
	s_cbranch_vccnz .LBB86_356
; %bb.355:
	s_cmp_gt_u32 s8, 0x7f800000
	s_movk_i32 s8, 0x7f
	s_delay_alu instid0(SALU_CYCLE_1) | instskip(NEXT) | instid1(SALU_CYCLE_1)
	s_cselect_b32 s8, s8, 0x7e
	v_mov_b32_e32 v4, s8
.LBB86_356:
	s_lshr_b32 s3, s3, 24
	s_delay_alu instid0(SALU_CYCLE_1)
	s_and_b32 s3, s3, 0x80
	s_delay_alu instid0(VALU_DEP_1) | instid1(SALU_CYCLE_1)
	v_or_b32_e32 v4, s3, v4
	global_store_b8 v[0:1], v4, off
.LBB86_357:
	s_mov_b32 s3, 0
.LBB86_358:
	s_delay_alu instid0(SALU_CYCLE_1)
	s_and_not1_b32 vcc_lo, exec_lo, s3
	s_cbranch_vccnz .LBB86_370
; %bb.359:
	s_lshl_b32 s3, s7, 16
	s_delay_alu instid0(SALU_CYCLE_1) | instskip(NEXT) | instid1(SALU_CYCLE_1)
	s_and_b32 s8, s3, 0x7fffffff
	s_cmp_lt_u32 s8, 0x47800000
	s_cbranch_scc0 .LBB86_362
; %bb.360:
	s_cmp_gt_u32 s8, 0x387fffff
	s_cbranch_scc0 .LBB86_363
; %bb.361:
	s_bfe_u32 s9, s3, 0x10015
	s_delay_alu instid0(SALU_CYCLE_1) | instskip(NEXT) | instid1(SALU_CYCLE_1)
	s_add_i32 s9, s3, s9
	s_add_i32 s9, s9, 0x80fffff
	s_delay_alu instid0(SALU_CYCLE_1)
	s_lshr_b32 s10, s9, 21
	s_mov_b32 s9, 0
	s_branch .LBB86_364
.LBB86_362:
	s_mov_b32 s9, -1
                                        ; implicit-def: $vgpr4
	s_branch .LBB86_367
.LBB86_363:
	s_mov_b32 s9, -1
                                        ; implicit-def: $sgpr10
.LBB86_364:
	v_mov_b32_e32 v4, s10
	s_and_not1_b32 vcc_lo, exec_lo, s9
	s_cbranch_vccnz .LBB86_366
; %bb.365:
	v_add_f32_e64 v4, 0x43000000, |s3|
.LBB86_366:
	s_mov_b32 s9, 0
.LBB86_367:
	s_delay_alu instid0(SALU_CYCLE_1)
	s_and_not1_b32 vcc_lo, exec_lo, s9
	s_cbranch_vccnz .LBB86_369
; %bb.368:
	s_cmp_gt_u32 s8, 0x7f800000
	s_movk_i32 s8, 0x7f
	s_delay_alu instid0(SALU_CYCLE_1) | instskip(NEXT) | instid1(SALU_CYCLE_1)
	s_cselect_b32 s8, s8, 0x7c
	v_mov_b32_e32 v4, s8
.LBB86_369:
	s_lshr_b32 s3, s3, 24
	s_delay_alu instid0(SALU_CYCLE_1)
	s_and_b32 s3, s3, 0x80
	s_delay_alu instid0(VALU_DEP_1) | instid1(SALU_CYCLE_1)
	v_or_b32_e32 v4, s3, v4
	global_store_b8 v[0:1], v4, off
.LBB86_370:
	s_mov_b32 s3, 0
	s_mov_b32 s9, -1
.LBB86_371:
	s_and_not1_b32 vcc_lo, exec_lo, s3
	s_mov_b32 s8, 0
	s_cbranch_vccnz .LBB86_378
; %bb.372:
	v_cmp_lt_i16_e32 vcc_lo, 14, v2
	s_mov_b32 s3, -1
	s_cbranch_vccz .LBB86_376
; %bb.373:
	v_cmp_eq_u16_e32 vcc_lo, 15, v2
	s_mov_b32 s0, -1
	s_cbranch_vccz .LBB86_375
; %bb.374:
	v_mov_b32_e32 v4, s7
	s_mov_b32 s0, 0
	s_mov_b32 s9, -1
	global_store_b16 v[0:1], v4, off
.LBB86_375:
	s_mov_b32 s3, 0
.LBB86_376:
	s_delay_alu instid0(SALU_CYCLE_1)
	s_and_b32 vcc_lo, exec_lo, s3
	s_cbranch_vccz .LBB86_378
; %bb.377:
	v_cmp_ne_u16_e64 s0, 11, v2
	s_mov_b32 s8, -1
.LBB86_378:
	s_delay_alu instid0(VALU_DEP_1)
	s_and_b32 vcc_lo, exec_lo, s0
	s_mov_b32 s3, s1
	s_cbranch_vccnz .LBB86_450
; %bb.379:
	s_and_not1_b32 vcc_lo, exec_lo, s8
	s_cbranch_vccnz .LBB86_381
.LBB86_380:
	s_and_b32 s0, s7, 0x7fff7fff
	s_mov_b32 s9, -1
	s_cmp_lg_u32 s0, 0
	s_cselect_b32 s0, -1, 0
	s_delay_alu instid0(SALU_CYCLE_1)
	v_cndmask_b32_e64 v4, 0, 1, s0
	global_store_b8 v[0:1], v4, off
.LBB86_381:
.LBB86_382:
	s_and_not1_b32 vcc_lo, exec_lo, s9
	s_cbranch_vccnz .LBB86_679
.LBB86_383:
	s_lshl_b32 s6, s6, 7
	v_cmp_gt_i16_e32 vcc_lo, 11, v2
	v_add_nc_u32_e32 v3, s6, v3
	s_delay_alu instid0(VALU_DEP_1) | instskip(SKIP_1) | instid1(VALU_DEP_1)
	v_ashrrev_i32_e32 v1, 31, v3
	v_add_co_u32 v0, s0, s4, v3
	v_add_co_ci_u32_e64 v1, s0, s5, v1, s0
	s_cbranch_vccnz .LBB86_411
; %bb.384:
	v_cmp_lt_i16_e32 vcc_lo, 25, v2
	s_mov_b32 s10, -1
	s_mov_b32 s8, 0
	s_mov_b32 s9, 0
	;; [unrolled: 1-line block ×3, first 2 shown]
	s_cbranch_vccz .LBB86_462
; %bb.385:
	v_cmp_lt_i16_e32 vcc_lo, 28, v2
	s_cbranch_vccz .LBB86_400
; %bb.386:
	v_cmp_lt_i16_e32 vcc_lo, 43, v2
	;; [unrolled: 3-line block ×3, first 2 shown]
	s_cbranch_vccz .LBB86_390
; %bb.388:
	v_cmp_eq_u16_e32 vcc_lo, 46, v2
	s_mov_b32 s0, -1
	s_mov_b32 s10, 0
	s_cbranch_vccz .LBB86_390
; %bb.389:
	v_mov_b32_e32 v4, s7
	s_mov_b32 s0, 0
	s_mov_b32 s9, -1
	global_store_b32 v[0:1], v4, off
.LBB86_390:
	s_and_b32 vcc_lo, exec_lo, s10
	s_cbranch_vccz .LBB86_395
; %bb.391:
	v_cmp_eq_u16_e32 vcc_lo, 44, v2
	s_mov_b32 s0, -1
	s_cbranch_vccz .LBB86_395
; %bb.392:
	s_lshl_b32 s0, s7, 16
	v_mov_b32_e32 v4, 0xff
	s_bfe_u32 s9, s0, 0x80017
	s_delay_alu instid0(SALU_CYCLE_1)
	s_cmpk_eq_i32 s9, 0xff
	s_cbranch_scc1 .LBB86_394
; %bb.393:
	s_bfe_u32 s10, s7, 0x90007
	s_bitcmp1_b32 s7, 6
	s_cselect_b32 s11, -1, 0
	s_and_b32 s0, s0, 0x3f0000
	s_delay_alu instid0(SALU_CYCLE_1) | instskip(NEXT) | instid1(SALU_CYCLE_1)
	s_or_b32 s0, s9, s0
	s_cmp_lg_u32 s0, 0
	s_cselect_b32 s0, -1, 0
	s_delay_alu instid0(SALU_CYCLE_1) | instskip(NEXT) | instid1(SALU_CYCLE_1)
	s_and_b32 s0, s11, s0
	v_cndmask_b32_e64 v4, 0, 1, s0
	s_delay_alu instid0(VALU_DEP_1)
	v_add_nc_u32_e32 v4, s10, v4
.LBB86_394:
	s_mov_b32 s0, 0
	s_mov_b32 s9, -1
	global_store_b8 v[0:1], v4, off
.LBB86_395:
	s_mov_b32 s10, 0
.LBB86_396:
	s_delay_alu instid0(SALU_CYCLE_1)
	s_and_b32 vcc_lo, exec_lo, s10
	s_cbranch_vccz .LBB86_399
; %bb.397:
	v_cmp_eq_u16_e32 vcc_lo, 29, v2
	s_mov_b32 s0, -1
	s_cbranch_vccz .LBB86_399
; %bb.398:
	s_lshl_b32 s0, s7, 16
	s_mov_b32 s9, -1
	v_trunc_f32_e32 v4, s0
	s_mov_b32 s0, 0
	s_delay_alu instid0(VALU_DEP_1) | instskip(NEXT) | instid1(VALU_DEP_1)
	v_mul_f32_e32 v5, 0x2f800000, v4
	v_floor_f32_e32 v5, v5
	s_delay_alu instid0(VALU_DEP_1) | instskip(SKIP_1) | instid1(VALU_DEP_2)
	v_fmamk_f32 v4, v5, 0xcf800000, v4
	v_cvt_u32_f32_e32 v5, v5
	v_cvt_u32_f32_e32 v4, v4
	global_store_b64 v[0:1], v[4:5], off
.LBB86_399:
	s_mov_b32 s10, 0
.LBB86_400:
	s_delay_alu instid0(SALU_CYCLE_1)
	s_and_b32 vcc_lo, exec_lo, s10
	s_cbranch_vccz .LBB86_461
; %bb.401:
	v_cmp_gt_i16_e32 vcc_lo, 27, v2
	s_mov_b32 s9, -1
	s_cbranch_vccnz .LBB86_407
; %bb.402:
	v_cmp_lt_i16_e32 vcc_lo, 27, v2
	s_cbranch_vccz .LBB86_404
; %bb.403:
	s_lshl_b32 s9, s7, 16
	s_delay_alu instid0(SALU_CYCLE_1)
	v_cvt_u32_f32_e32 v4, s9
	s_mov_b32 s9, 0
	global_store_b32 v[0:1], v4, off
.LBB86_404:
	s_and_not1_b32 vcc_lo, exec_lo, s9
	s_cbranch_vccnz .LBB86_406
; %bb.405:
	s_lshl_b32 s9, s7, 16
	s_delay_alu instid0(SALU_CYCLE_1)
	v_cvt_u32_f32_e32 v4, s9
	global_store_b16 v[0:1], v4, off
.LBB86_406:
	s_mov_b32 s9, 0
.LBB86_407:
	s_delay_alu instid0(SALU_CYCLE_1)
	s_and_not1_b32 vcc_lo, exec_lo, s9
	s_cbranch_vccnz .LBB86_460
; %bb.408:
	s_lshl_b32 s9, s7, 16
	v_mov_b32_e32 v5, 0x80
	s_and_b32 s10, s9, 0x7fffffff
	s_delay_alu instid0(SALU_CYCLE_1)
	s_cmp_gt_u32 s10, 0x437fffff
	s_cbranch_scc1 .LBB86_459
; %bb.409:
	s_cmp_gt_u32 s10, 0x3bffffff
	s_cbranch_scc0 .LBB86_454
; %bb.410:
	s_bfe_u32 s10, s9, 0x10014
	s_mov_b32 s11, 0
	s_add_i32 s10, s9, s10
	s_delay_alu instid0(SALU_CYCLE_1) | instskip(NEXT) | instid1(SALU_CYCLE_1)
	s_add_i32 s10, s10, 0x487ffff
	s_lshr_b32 s12, s10, 20
	s_mov_b32 s10, -1
	s_branch .LBB86_455
.LBB86_411:
	s_mov_b32 s9, 0
	s_cbranch_execz .LBB86_611
; %bb.412:
	v_cmp_gt_i16_e32 vcc_lo, 5, v2
	s_mov_b32 s0, -1
	s_cbranch_vccnz .LBB86_433
; %bb.413:
	v_cmp_gt_i16_e32 vcc_lo, 8, v2
	s_cbranch_vccnz .LBB86_423
; %bb.414:
	v_cmp_gt_i16_e32 vcc_lo, 9, v2
	s_cbranch_vccnz .LBB86_420
; %bb.415:
	v_cmp_lt_i16_e32 vcc_lo, 9, v2
	s_cbranch_vccz .LBB86_417
; %bb.416:
	s_lshl_b32 s0, s7, 16
	s_and_b32 s8, s7, 0xffff0000
	v_cvt_f64_f32_e32 v[4:5], s0
	v_cvt_f64_f32_e32 v[6:7], s8
	s_mov_b32 s0, 0
	global_store_b128 v[0:1], v[4:7], off
.LBB86_417:
	s_and_not1_b32 vcc_lo, exec_lo, s0
	s_cbranch_vccnz .LBB86_419
; %bb.418:
	s_lshl_b32 s0, s7, 16
	s_and_b32 s8, s7, 0xffff0000
	s_delay_alu instid0(SALU_CYCLE_1)
	v_dual_mov_b32 v4, s0 :: v_dual_mov_b32 v5, s8
	global_store_b64 v[0:1], v[4:5], off
.LBB86_419:
	s_mov_b32 s0, 0
.LBB86_420:
	s_delay_alu instid0(SALU_CYCLE_1)
	s_and_not1_b32 vcc_lo, exec_lo, s0
	s_cbranch_vccnz .LBB86_422
; %bb.421:
	s_and_b32 s0, s7, 0xffff0000
	s_lshl_b32 s8, s7, 16
	v_cvt_f16_f32_e32 v4, s0
	v_cvt_f16_f32_e32 v5, s8
	s_delay_alu instid0(VALU_DEP_2) | instskip(NEXT) | instid1(VALU_DEP_2)
	v_lshlrev_b32_e32 v4, 16, v4
	v_and_b32_e32 v5, 0xffff, v5
	s_delay_alu instid0(VALU_DEP_1)
	v_or_b32_e32 v4, v4, v5
	global_store_b32 v[0:1], v4, off
.LBB86_422:
	s_mov_b32 s0, 0
.LBB86_423:
	s_delay_alu instid0(SALU_CYCLE_1)
	s_and_not1_b32 vcc_lo, exec_lo, s0
	s_cbranch_vccnz .LBB86_432
; %bb.424:
	v_cmp_gt_i16_e32 vcc_lo, 6, v2
	s_mov_b32 s0, -1
	s_cbranch_vccnz .LBB86_430
; %bb.425:
	v_cmp_lt_i16_e32 vcc_lo, 6, v2
	s_cbranch_vccz .LBB86_427
; %bb.426:
	s_lshl_b32 s0, s7, 16
	s_delay_alu instid0(SALU_CYCLE_1)
	v_cvt_f64_f32_e32 v[4:5], s0
	s_mov_b32 s0, 0
	global_store_b64 v[0:1], v[4:5], off
.LBB86_427:
	s_and_not1_b32 vcc_lo, exec_lo, s0
	s_cbranch_vccnz .LBB86_429
; %bb.428:
	s_lshl_b32 s0, s7, 16
	s_delay_alu instid0(SALU_CYCLE_1)
	v_mov_b32_e32 v4, s0
	global_store_b32 v[0:1], v4, off
.LBB86_429:
	s_mov_b32 s0, 0
.LBB86_430:
	s_delay_alu instid0(SALU_CYCLE_1)
	s_and_not1_b32 vcc_lo, exec_lo, s0
	s_cbranch_vccnz .LBB86_432
; %bb.431:
	s_lshl_b32 s0, s7, 16
	s_delay_alu instid0(SALU_CYCLE_1)
	v_cvt_f16_f32_e32 v4, s0
	global_store_b16 v[0:1], v4, off
.LBB86_432:
	s_mov_b32 s0, 0
.LBB86_433:
	s_delay_alu instid0(SALU_CYCLE_1)
	s_and_not1_b32 vcc_lo, exec_lo, s0
	s_cbranch_vccnz .LBB86_449
; %bb.434:
	v_cmp_gt_i16_e32 vcc_lo, 2, v2
	s_mov_b32 s0, -1
	s_cbranch_vccnz .LBB86_444
; %bb.435:
	v_cmp_gt_i16_e32 vcc_lo, 3, v2
	s_cbranch_vccnz .LBB86_441
; %bb.436:
	v_cmp_lt_i16_e32 vcc_lo, 3, v2
	s_cbranch_vccz .LBB86_438
; %bb.437:
	s_lshl_b32 s0, s7, 16
	s_delay_alu instid0(SALU_CYCLE_1) | instskip(SKIP_1) | instid1(VALU_DEP_1)
	v_trunc_f32_e32 v4, s0
	s_mov_b32 s0, 0
	v_mul_f32_e64 v5, 0x2f800000, |v4|
	v_ashrrev_i32_e32 v7, 31, v4
	s_delay_alu instid0(VALU_DEP_2) | instskip(NEXT) | instid1(VALU_DEP_1)
	v_floor_f32_e32 v5, v5
	v_fma_f32 v6, 0xcf800000, v5, |v4|
	v_cvt_u32_f32_e32 v5, v5
	s_delay_alu instid0(VALU_DEP_2) | instskip(NEXT) | instid1(VALU_DEP_2)
	v_cvt_u32_f32_e32 v4, v6
	v_xor_b32_e32 v5, v5, v7
	s_delay_alu instid0(VALU_DEP_2) | instskip(NEXT) | instid1(VALU_DEP_1)
	v_xor_b32_e32 v4, v4, v7
	v_sub_co_u32 v4, vcc_lo, v4, v7
	s_delay_alu instid0(VALU_DEP_3)
	v_sub_co_ci_u32_e32 v5, vcc_lo, v5, v7, vcc_lo
	global_store_b64 v[0:1], v[4:5], off
.LBB86_438:
	s_and_not1_b32 vcc_lo, exec_lo, s0
	s_cbranch_vccnz .LBB86_440
; %bb.439:
	s_lshl_b32 s0, s7, 16
	s_delay_alu instid0(SALU_CYCLE_1)
	v_cvt_i32_f32_e32 v4, s0
	global_store_b32 v[0:1], v4, off
.LBB86_440:
	s_mov_b32 s0, 0
.LBB86_441:
	s_delay_alu instid0(SALU_CYCLE_1)
	s_and_not1_b32 vcc_lo, exec_lo, s0
	s_cbranch_vccnz .LBB86_443
; %bb.442:
	s_lshl_b32 s0, s7, 16
	s_delay_alu instid0(SALU_CYCLE_1)
	v_cvt_i32_f32_e32 v4, s0
	global_store_b16 v[0:1], v4, off
.LBB86_443:
	s_mov_b32 s0, 0
.LBB86_444:
	s_delay_alu instid0(SALU_CYCLE_1)
	s_and_not1_b32 vcc_lo, exec_lo, s0
	s_cbranch_vccnz .LBB86_449
; %bb.445:
	v_cmp_lt_i16_e32 vcc_lo, 0, v2
	s_mov_b32 s0, -1
	s_cbranch_vccz .LBB86_447
; %bb.446:
	s_lshl_b32 s0, s7, 16
	s_delay_alu instid0(SALU_CYCLE_1)
	v_cvt_i32_f32_e32 v4, s0
	s_mov_b32 s0, 0
	global_store_b8 v[0:1], v4, off
.LBB86_447:
	s_and_not1_b32 vcc_lo, exec_lo, s0
	s_cbranch_vccnz .LBB86_449
; %bb.448:
	s_lshl_b32 s0, s7, 16
	s_delay_alu instid0(SALU_CYCLE_1) | instskip(NEXT) | instid1(VALU_DEP_1)
	v_trunc_f32_e32 v4, s0
	v_mul_f32_e64 v5, 0x2f800000, |v4|
	s_delay_alu instid0(VALU_DEP_1) | instskip(NEXT) | instid1(VALU_DEP_1)
	v_floor_f32_e32 v5, v5
	v_fma_f32 v5, 0xcf800000, v5, |v4|
	v_ashrrev_i32_e32 v4, 31, v4
	s_delay_alu instid0(VALU_DEP_2) | instskip(NEXT) | instid1(VALU_DEP_1)
	v_cvt_u32_f32_e32 v5, v5
	v_xor_b32_e32 v5, v5, v4
	s_delay_alu instid0(VALU_DEP_1)
	v_sub_nc_u32_e32 v4, v5, v4
	global_store_b8 v[0:1], v4, off
.LBB86_449:
	s_branch .LBB86_612
.LBB86_450:
	s_cbranch_execnz .LBB86_452
; %bb.451:
	s_or_b32 s3, s1, exec_lo
	s_cbranch_execz .LBB86_380
	s_branch .LBB86_381
.LBB86_452:
	s_trap 2
	s_sendmsg_rtn_b32 s0, sendmsg(MSG_RTN_GET_DOORBELL)
	s_mov_b32 ttmp2, m0
	s_waitcnt lgkmcnt(0)
	s_and_b32 s0, s0, 0x3ff
	s_delay_alu instid0(SALU_CYCLE_1) | instskip(NEXT) | instid1(SALU_CYCLE_1)
	s_bitset1_b32 s0, 10
	s_mov_b32 m0, s0
	s_sendmsg sendmsg(MSG_INTERRUPT)
	s_mov_b32 m0, ttmp2
.LBB86_453:                             ; =>This Inner Loop Header: Depth=1
	s_sethalt 5
	s_branch .LBB86_453
.LBB86_454:
	s_mov_b32 s11, -1
	s_mov_b32 s10, 0
                                        ; implicit-def: $sgpr12
.LBB86_455:
	v_mov_b32_e32 v4, s12
	s_and_not1_b32 vcc_lo, exec_lo, s11
                                        ; implicit-def: $sgpr11
	s_cbranch_vccnz .LBB86_457
; %bb.456:
	v_add_f32_e64 v4, 0x46000000, |s9|
	s_mov_b32 s11, 0
	s_delay_alu instid0(VALU_DEP_1) | instskip(NEXT) | instid1(VALU_DEP_1)
	v_and_b32_e32 v4, 0xff, v4
	v_cmp_ne_u32_e64 s10, 0, v4
.LBB86_457:
	v_mov_b32_e32 v5, s11
	s_delay_alu instid0(VALU_DEP_2)
	s_and_not1_b32 vcc_lo, exec_lo, s10
	s_cbranch_vccnz .LBB86_459
; %bb.458:
	s_lshr_b32 s9, s9, 24
	s_delay_alu instid0(SALU_CYCLE_1) | instskip(NEXT) | instid1(SALU_CYCLE_1)
	s_and_b32 s9, s9, 0x80
	v_or_b32_e32 v5, s9, v4
.LBB86_459:
	global_store_b8 v[0:1], v5, off
.LBB86_460:
	s_mov_b32 s9, -1
.LBB86_461:
	s_mov_b32 s10, 0
.LBB86_462:
	s_delay_alu instid0(SALU_CYCLE_1)
	s_and_b32 vcc_lo, exec_lo, s10
	s_cbranch_vccz .LBB86_607
; %bb.463:
	v_cmp_lt_i16_e32 vcc_lo, 22, v2
	s_mov_b32 s8, -1
	s_cbranch_vccz .LBB86_600
; %bb.464:
	v_cmp_gt_i16_e32 vcc_lo, 24, v2
	s_cbranch_vccnz .LBB86_587
; %bb.465:
	v_cmp_lt_i16_e32 vcc_lo, 24, v2
	s_cbranch_vccz .LBB86_574
; %bb.466:
	s_lshl_b32 s8, s7, 16
	v_mov_b32_e32 v5, 0x80
	s_and_b32 s9, s8, 0x7fffffff
	s_delay_alu instid0(SALU_CYCLE_1)
	s_cmp_gt_u32 s9, 0x477fffff
	s_cbranch_scc1 .LBB86_573
; %bb.467:
	s_cmp_gt_u32 s9, 0x37ffffff
	s_cbranch_scc0 .LBB86_568
; %bb.468:
	s_bfe_u32 s9, s8, 0x10015
	s_mov_b32 s10, 0
	s_add_i32 s9, s8, s9
	s_delay_alu instid0(SALU_CYCLE_1) | instskip(NEXT) | instid1(SALU_CYCLE_1)
	s_add_i32 s9, s9, 0x88fffff
	s_lshr_b32 s11, s9, 21
	s_mov_b32 s9, -1
	s_branch .LBB86_569
.LBB86_469:
	s_mov_b32 s40, -1
	s_mov_b32 s39, 0
	s_mov_b32 s0, s36
.LBB86_470:
	s_and_b32 vcc_lo, exec_lo, s40
	s_cbranch_vccz .LBB86_473
; %bb.471:
	v_cmp_eq_u16_e32 vcc_lo, 44, v17
	s_mov_b32 s0, -1
	s_cbranch_vccz .LBB86_473
; %bb.472:
	v_cndmask_b32_e64 v18, v16, 0xff, s31
	s_mov_b32 s39, -1
	s_mov_b32 s0, 0
	global_store_b8 v[8:9], v18, off
.LBB86_473:
	s_mov_b32 s40, 0
.LBB86_474:
	s_delay_alu instid0(SALU_CYCLE_1)
	s_and_b32 vcc_lo, exec_lo, s40
	s_cbranch_vccz .LBB86_477
; %bb.475:
	v_cmp_eq_u16_e32 vcc_lo, 29, v17
	s_mov_b32 s0, -1
	s_cbranch_vccz .LBB86_477
; %bb.476:
	s_mov_b32 s39, -1
	s_mov_b32 s0, 0
	global_store_b64 v[8:9], v[6:7], off
.LBB86_477:
	s_mov_b32 s40, 0
.LBB86_478:
	s_delay_alu instid0(SALU_CYCLE_1)
	s_and_b32 vcc_lo, exec_lo, s40
	s_cbranch_vccz .LBB86_491
; %bb.479:
	v_cmp_gt_i16_e32 vcc_lo, 27, v17
	s_mov_b32 s39, -1
	s_cbranch_vccnz .LBB86_485
; %bb.480:
	v_cmp_lt_i16_e32 vcc_lo, 27, v17
	s_cbranch_vccz .LBB86_482
; %bb.481:
	s_mov_b32 s39, 0
	global_store_b32 v[8:9], v14, off
.LBB86_482:
	s_and_not1_b32 vcc_lo, exec_lo, s39
	s_cbranch_vccnz .LBB86_484
; %bb.483:
	global_store_b16 v[8:9], v14, off
.LBB86_484:
	s_mov_b32 s39, 0
.LBB86_485:
	s_delay_alu instid0(SALU_CYCLE_1)
	s_and_not1_b32 vcc_lo, exec_lo, s39
	s_cbranch_vccnz .LBB86_490
; %bb.486:
	s_and_not1_b32 vcc_lo, exec_lo, s29
	s_movk_i32 s39, 0x80
	s_cbranch_vccnz .LBB86_489
; %bb.487:
	s_or_b32 s39, s27, s30
	s_delay_alu instid0(SALU_CYCLE_1)
	s_and_not1_b32 vcc_lo, exec_lo, s39
	s_mov_b32 s39, 0
	s_cbranch_vccnz .LBB86_489
; %bb.488:
	s_and_b32 s39, s27, exec_lo
	s_cselect_b32 s39, s28, s26
	s_delay_alu instid0(SALU_CYCLE_1)
	s_or_b32 s39, s39, s10
.LBB86_489:
	s_delay_alu instid0(SALU_CYCLE_1)
	v_mov_b32_e32 v18, s39
	global_store_b8 v[8:9], v18, off
.LBB86_490:
	s_mov_b32 s39, -1
.LBB86_491:
	s_mov_b32 s40, 0
.LBB86_492:
	s_delay_alu instid0(SALU_CYCLE_1)
	s_and_b32 vcc_lo, exec_lo, s40
	s_cbranch_vccz .LBB86_514
; %bb.493:
	v_cmp_lt_i16_e32 vcc_lo, 22, v17
	s_mov_b32 s40, -1
	s_cbranch_vccz .LBB86_506
; %bb.494:
	v_cmp_gt_i16_e32 vcc_lo, 24, v17
	s_mov_b32 s39, -1
	s_cbranch_vccnz .LBB86_503
; %bb.495:
	v_cmp_lt_i16_e32 vcc_lo, 24, v17
	s_cbranch_vccz .LBB86_500
; %bb.496:
	s_and_not1_b32 vcc_lo, exec_lo, s22
	s_movk_i32 s39, 0x80
	s_cbranch_vccnz .LBB86_499
; %bb.497:
	s_or_b32 s39, s18, s23
	s_delay_alu instid0(SALU_CYCLE_1)
	s_and_not1_b32 vcc_lo, exec_lo, s39
	s_mov_b32 s39, 0
	s_cbranch_vccnz .LBB86_499
; %bb.498:
	s_and_b32 s39, s18, exec_lo
	s_cselect_b32 s39, s20, s17
	s_delay_alu instid0(SALU_CYCLE_1)
	s_or_b32 s39, s39, s10
.LBB86_499:
	s_delay_alu instid0(SALU_CYCLE_1)
	v_mov_b32_e32 v18, s39
	s_mov_b32 s39, 0
	global_store_b8 v[8:9], v18, off
.LBB86_500:
	s_and_b32 vcc_lo, exec_lo, s39
	s_cbranch_vccz .LBB86_502
; %bb.501:
	s_and_b32 s39, s14, exec_lo
	s_cselect_b32 s39, s25, s19
	s_and_b32 s40, s12, exec_lo
	s_cselect_b32 s39, s21, s39
	s_delay_alu instid0(SALU_CYCLE_1) | instskip(NEXT) | instid1(SALU_CYCLE_1)
	s_or_b32 s39, s39, s10
	v_mov_b32_e32 v18, s39
	global_store_b8 v[8:9], v18, off
.LBB86_502:
	s_mov_b32 s39, 0
.LBB86_503:
	s_delay_alu instid0(SALU_CYCLE_1)
	s_and_not1_b32 vcc_lo, exec_lo, s39
	s_cbranch_vccnz .LBB86_505
; %bb.504:
	s_and_b32 s39, s13, exec_lo
	s_cselect_b32 s39, s24, s15
	s_and_b32 s40, s11, exec_lo
	s_cselect_b32 s39, s16, s39
	s_delay_alu instid0(SALU_CYCLE_1) | instskip(NEXT) | instid1(SALU_CYCLE_1)
	s_or_b32 s39, s39, s10
	v_mov_b32_e32 v18, s39
	global_store_b8 v[8:9], v18, off
.LBB86_505:
	s_mov_b32 s40, 0
	s_mov_b32 s39, -1
.LBB86_506:
	s_and_not1_b32 vcc_lo, exec_lo, s40
	s_cbranch_vccnz .LBB86_514
; %bb.507:
	v_cmp_lt_i16_e32 vcc_lo, 14, v17
	s_mov_b32 s40, -1
	s_cbranch_vccz .LBB86_511
; %bb.508:
	v_cmp_eq_u16_e32 vcc_lo, 15, v17
	s_mov_b32 s0, -1
	s_cbranch_vccz .LBB86_510
; %bb.509:
	v_mov_b32_e32 v18, s7
	s_mov_b32 s39, -1
	s_mov_b32 s0, 0
	global_store_b16 v[8:9], v18, off
.LBB86_510:
	s_mov_b32 s40, 0
.LBB86_511:
	s_delay_alu instid0(SALU_CYCLE_1)
	s_and_b32 vcc_lo, exec_lo, s40
	s_cbranch_vccz .LBB86_514
; %bb.512:
	v_cmp_eq_u16_e32 vcc_lo, 11, v17
	s_mov_b32 s0, -1
	s_cbranch_vccz .LBB86_514
; %bb.513:
	s_mov_b32 s39, -1
	s_mov_b32 s0, 0
	global_store_b8 v[8:9], v13, off
.LBB86_514:
	s_mov_b32 s40, 0
.LBB86_515:
	s_delay_alu instid0(SALU_CYCLE_1)
	s_and_b32 vcc_lo, exec_lo, s40
	s_cbranch_vccz .LBB86_554
; %bb.516:
	v_cmp_gt_i16_e32 vcc_lo, 5, v17
	s_mov_b32 s39, -1
	s_cbranch_vccnz .LBB86_537
; %bb.517:
	v_cmp_gt_i16_e32 vcc_lo, 8, v17
	s_cbranch_vccnz .LBB86_527
; %bb.518:
	v_cmp_gt_i16_e32 vcc_lo, 9, v17
	s_cbranch_vccnz .LBB86_524
; %bb.519:
	v_cmp_lt_i16_e32 vcc_lo, 9, v17
	s_cbranch_vccz .LBB86_521
; %bb.520:
	s_mov_b32 s39, 0
	global_store_b128 v[8:9], v[0:3], off
.LBB86_521:
	s_and_not1_b32 vcc_lo, exec_lo, s39
	s_cbranch_vccnz .LBB86_523
; %bb.522:
	v_dual_mov_b32 v18, s1 :: v_dual_mov_b32 v19, s9
	global_store_b64 v[8:9], v[18:19], off
.LBB86_523:
	s_mov_b32 s39, 0
.LBB86_524:
	s_delay_alu instid0(SALU_CYCLE_1)
	s_and_not1_b32 vcc_lo, exec_lo, s39
	s_cbranch_vccnz .LBB86_526
; %bb.525:
	global_store_b32 v[8:9], v12, off
.LBB86_526:
	s_mov_b32 s39, 0
.LBB86_527:
	s_delay_alu instid0(SALU_CYCLE_1)
	s_and_not1_b32 vcc_lo, exec_lo, s39
	s_cbranch_vccnz .LBB86_536
; %bb.528:
	v_cmp_gt_i16_e32 vcc_lo, 6, v17
	s_mov_b32 s39, -1
	s_cbranch_vccnz .LBB86_534
; %bb.529:
	v_cmp_lt_i16_e32 vcc_lo, 6, v17
	s_cbranch_vccz .LBB86_531
; %bb.530:
	s_mov_b32 s39, 0
	global_store_b64 v[8:9], v[0:1], off
.LBB86_531:
	s_and_not1_b32 vcc_lo, exec_lo, s39
	s_cbranch_vccnz .LBB86_533
; %bb.532:
	v_mov_b32_e32 v18, s1
	global_store_b32 v[8:9], v18, off
.LBB86_533:
	s_mov_b32 s39, 0
.LBB86_534:
	s_delay_alu instid0(SALU_CYCLE_1)
	s_and_not1_b32 vcc_lo, exec_lo, s39
	s_cbranch_vccnz .LBB86_536
; %bb.535:
	global_store_b16 v[8:9], v11, off
.LBB86_536:
	s_mov_b32 s39, 0
.LBB86_537:
	s_delay_alu instid0(SALU_CYCLE_1)
	s_and_not1_b32 vcc_lo, exec_lo, s39
	s_cbranch_vccnz .LBB86_553
; %bb.538:
	v_cmp_gt_i16_e32 vcc_lo, 2, v17
	s_mov_b32 s39, -1
	s_cbranch_vccnz .LBB86_548
; %bb.539:
	v_cmp_gt_i16_e32 vcc_lo, 3, v17
	s_cbranch_vccnz .LBB86_545
; %bb.540:
	v_cmp_lt_i16_e32 vcc_lo, 3, v17
	s_cbranch_vccz .LBB86_542
; %bb.541:
	s_mov_b32 s39, 0
	global_store_b64 v[8:9], v[4:5], off
.LBB86_542:
	s_and_not1_b32 vcc_lo, exec_lo, s39
	s_cbranch_vccnz .LBB86_544
; %bb.543:
	global_store_b32 v[8:9], v10, off
.LBB86_544:
	s_mov_b32 s39, 0
.LBB86_545:
	s_delay_alu instid0(SALU_CYCLE_1)
	s_and_not1_b32 vcc_lo, exec_lo, s39
	s_cbranch_vccnz .LBB86_547
; %bb.546:
	global_store_b16 v[8:9], v10, off
.LBB86_547:
	s_mov_b32 s39, 0
.LBB86_548:
	s_delay_alu instid0(SALU_CYCLE_1)
	s_and_not1_b32 vcc_lo, exec_lo, s39
	s_cbranch_vccnz .LBB86_553
; %bb.549:
	v_cmp_lt_i16_e32 vcc_lo, 0, v17
	s_mov_b32 s39, -1
	s_cbranch_vccz .LBB86_551
; %bb.550:
	s_mov_b32 s39, 0
	global_store_b8 v[8:9], v10, off
.LBB86_551:
	s_and_not1_b32 vcc_lo, exec_lo, s39
	s_cbranch_vccnz .LBB86_553
; %bb.552:
	global_store_b8 v[8:9], v4, off
.LBB86_553:
	s_mov_b32 s39, -1
.LBB86_554:
	s_delay_alu instid0(SALU_CYCLE_1)
	s_and_not1_b32 vcc_lo, exec_lo, s39
	s_cbranch_vccnz .LBB86_556
; %bb.555:
	v_add_nc_u32_e32 v15, 0x80, v15
	s_mov_b32 s40, -1
	s_branch .LBB86_557
.LBB86_556:
	s_mov_b32 s40, 0
                                        ; implicit-def: $vgpr15
.LBB86_557:
	s_and_not1_b32 s39, s36, exec_lo
	s_and_b32 s0, s0, exec_lo
	s_or_not1_b32 s41, s40, exec_lo
	s_or_b32 s39, s39, s0
.LBB86_558:
	s_or_b32 exec_lo, exec_lo, s38
	s_mov_b32 s0, 0
	s_mov_b32 s40, 0
                                        ; implicit-def: $vgpr17
                                        ; implicit-def: $vgpr8_vgpr9
	s_and_saveexec_b32 s38, s41
	s_cbranch_execz .LBB86_881
; %bb.559:
	v_cmp_gt_i32_e32 vcc_lo, s33, v15
	s_mov_b32 s41, s39
                                        ; implicit-def: $vgpr17
                                        ; implicit-def: $vgpr8_vgpr9
	s_and_saveexec_b32 s33, vcc_lo
	s_cbranch_execz .LBB86_880
; %bb.560:
	v_mul_lo_u32 v8, v15, s6
	v_and_b32_e64 v17, 0xff, s8
	s_delay_alu instid0(VALU_DEP_1) | instskip(NEXT) | instid1(VALU_DEP_3)
	v_cmp_gt_i16_e32 vcc_lo, 11, v17
	v_ashrrev_i32_e32 v9, 31, v8
	v_add_co_u32 v8, s0, s4, v8
	s_delay_alu instid0(VALU_DEP_1)
	v_add_co_ci_u32_e64 v9, s0, s5, v9, s0
	s_cbranch_vccnz .LBB86_567
; %bb.561:
	v_cmp_lt_i16_e32 vcc_lo, 25, v17
	s_mov_b32 s40, -1
	s_mov_b32 s0, s39
	s_cbranch_vccz .LBB86_857
; %bb.562:
	v_cmp_lt_i16_e32 vcc_lo, 28, v17
	s_mov_b32 s0, s39
	s_cbranch_vccz .LBB86_844
; %bb.563:
	v_cmp_lt_i16_e32 vcc_lo, 43, v17
	;; [unrolled: 4-line block ×3, first 2 shown]
	s_mov_b32 s0, s39
	s_cbranch_vccz .LBB86_836
; %bb.565:
	v_cmp_eq_u16_e32 vcc_lo, 46, v17
	s_mov_b32 s0, -1
	s_cbranch_vccz .LBB86_835
; %bb.566:
	v_mov_b32_e32 v15, s7
	s_mov_b32 s0, 0
	s_mov_b32 s40, 0
	global_store_b32 v[8:9], v15, off
	s_branch .LBB86_836
.LBB86_567:
	s_mov_b32 s10, 0
	s_mov_b32 s26, -1
	s_mov_b32 s0, s39
	s_branch .LBB86_879
.LBB86_568:
	s_mov_b32 s10, -1
	s_mov_b32 s9, 0
                                        ; implicit-def: $sgpr11
.LBB86_569:
	v_mov_b32_e32 v4, s11
	s_and_not1_b32 vcc_lo, exec_lo, s10
                                        ; implicit-def: $sgpr10
	s_cbranch_vccnz .LBB86_571
; %bb.570:
	v_add_f32_e64 v4, 0x42800000, |s8|
	s_mov_b32 s10, 0
	s_delay_alu instid0(VALU_DEP_1) | instskip(NEXT) | instid1(VALU_DEP_1)
	v_and_b32_e32 v4, 0xff, v4
	v_cmp_ne_u32_e64 s9, 0, v4
.LBB86_571:
	v_mov_b32_e32 v5, s10
	s_delay_alu instid0(VALU_DEP_2)
	s_and_not1_b32 vcc_lo, exec_lo, s9
	s_cbranch_vccnz .LBB86_573
; %bb.572:
	s_lshr_b32 s8, s8, 24
	s_delay_alu instid0(SALU_CYCLE_1) | instskip(NEXT) | instid1(SALU_CYCLE_1)
	s_and_b32 s8, s8, 0x80
	v_or_b32_e32 v5, s8, v4
.LBB86_573:
	s_mov_b32 s8, 0
	global_store_b8 v[0:1], v5, off
.LBB86_574:
	s_and_b32 vcc_lo, exec_lo, s8
	s_cbranch_vccz .LBB86_586
; %bb.575:
	s_lshl_b32 s8, s7, 16
	s_delay_alu instid0(SALU_CYCLE_1) | instskip(NEXT) | instid1(SALU_CYCLE_1)
	s_and_b32 s9, s8, 0x7fffffff
	s_cmp_lt_u32 s9, 0x43f00000
	s_cbranch_scc0 .LBB86_578
; %bb.576:
	s_cmp_gt_u32 s9, 0x3c7fffff
	s_cbranch_scc0 .LBB86_579
; %bb.577:
	s_bfe_u32 s10, s8, 0x10014
	s_delay_alu instid0(SALU_CYCLE_1) | instskip(NEXT) | instid1(SALU_CYCLE_1)
	s_add_i32 s10, s8, s10
	s_add_i32 s10, s10, 0x407ffff
	s_delay_alu instid0(SALU_CYCLE_1)
	s_and_b32 s11, s10, 0xff00000
	s_lshr_b32 s10, s10, 20
	s_cmp_lg_u32 s11, 0x7f00000
	s_cselect_b32 s11, s10, 0x7e
	s_mov_b32 s10, 0
	s_branch .LBB86_580
.LBB86_578:
	s_mov_b32 s10, -1
                                        ; implicit-def: $vgpr4
	s_branch .LBB86_583
.LBB86_579:
	s_mov_b32 s10, -1
                                        ; implicit-def: $sgpr11
.LBB86_580:
	v_mov_b32_e32 v4, s11
	s_and_not1_b32 vcc_lo, exec_lo, s10
	s_cbranch_vccnz .LBB86_582
; %bb.581:
	v_add_f32_e64 v4, 0x46800000, |s8|
.LBB86_582:
	s_mov_b32 s10, 0
.LBB86_583:
	s_delay_alu instid0(SALU_CYCLE_1)
	s_and_not1_b32 vcc_lo, exec_lo, s10
	s_cbranch_vccnz .LBB86_585
; %bb.584:
	s_cmp_gt_u32 s9, 0x7f800000
	s_movk_i32 s9, 0x7f
	s_delay_alu instid0(SALU_CYCLE_1) | instskip(NEXT) | instid1(SALU_CYCLE_1)
	s_cselect_b32 s9, s9, 0x7e
	v_mov_b32_e32 v4, s9
.LBB86_585:
	s_lshr_b32 s8, s8, 24
	s_delay_alu instid0(SALU_CYCLE_1)
	s_and_b32 s8, s8, 0x80
	s_delay_alu instid0(VALU_DEP_1) | instid1(SALU_CYCLE_1)
	v_or_b32_e32 v4, s8, v4
	global_store_b8 v[0:1], v4, off
.LBB86_586:
	s_mov_b32 s8, 0
.LBB86_587:
	s_delay_alu instid0(SALU_CYCLE_1)
	s_and_not1_b32 vcc_lo, exec_lo, s8
	s_cbranch_vccnz .LBB86_599
; %bb.588:
	s_lshl_b32 s8, s7, 16
	s_delay_alu instid0(SALU_CYCLE_1) | instskip(NEXT) | instid1(SALU_CYCLE_1)
	s_and_b32 s9, s8, 0x7fffffff
	s_cmp_lt_u32 s9, 0x47800000
	s_cbranch_scc0 .LBB86_591
; %bb.589:
	s_cmp_gt_u32 s9, 0x387fffff
	s_cbranch_scc0 .LBB86_592
; %bb.590:
	s_bfe_u32 s10, s8, 0x10015
	s_delay_alu instid0(SALU_CYCLE_1) | instskip(NEXT) | instid1(SALU_CYCLE_1)
	s_add_i32 s10, s8, s10
	s_add_i32 s10, s10, 0x80fffff
	s_delay_alu instid0(SALU_CYCLE_1)
	s_lshr_b32 s11, s10, 21
	s_mov_b32 s10, 0
	s_branch .LBB86_593
.LBB86_591:
	s_mov_b32 s10, -1
                                        ; implicit-def: $vgpr4
	s_branch .LBB86_596
.LBB86_592:
	s_mov_b32 s10, -1
                                        ; implicit-def: $sgpr11
.LBB86_593:
	v_mov_b32_e32 v4, s11
	s_and_not1_b32 vcc_lo, exec_lo, s10
	s_cbranch_vccnz .LBB86_595
; %bb.594:
	v_add_f32_e64 v4, 0x43000000, |s8|
.LBB86_595:
	s_mov_b32 s10, 0
.LBB86_596:
	s_delay_alu instid0(SALU_CYCLE_1)
	s_and_not1_b32 vcc_lo, exec_lo, s10
	s_cbranch_vccnz .LBB86_598
; %bb.597:
	s_cmp_gt_u32 s9, 0x7f800000
	s_movk_i32 s9, 0x7f
	s_delay_alu instid0(SALU_CYCLE_1) | instskip(NEXT) | instid1(SALU_CYCLE_1)
	s_cselect_b32 s9, s9, 0x7c
	v_mov_b32_e32 v4, s9
.LBB86_598:
	s_lshr_b32 s8, s8, 24
	s_delay_alu instid0(SALU_CYCLE_1)
	s_and_b32 s8, s8, 0x80
	s_delay_alu instid0(VALU_DEP_1) | instid1(SALU_CYCLE_1)
	v_or_b32_e32 v4, s8, v4
	global_store_b8 v[0:1], v4, off
.LBB86_599:
	s_mov_b32 s8, 0
	s_mov_b32 s9, -1
.LBB86_600:
	s_and_not1_b32 vcc_lo, exec_lo, s8
	s_mov_b32 s8, 0
	s_cbranch_vccnz .LBB86_607
; %bb.601:
	v_cmp_lt_i16_e32 vcc_lo, 14, v2
	s_mov_b32 s8, -1
	s_cbranch_vccz .LBB86_605
; %bb.602:
	v_cmp_eq_u16_e32 vcc_lo, 15, v2
	s_mov_b32 s0, -1
	s_cbranch_vccz .LBB86_604
; %bb.603:
	v_mov_b32_e32 v4, s7
	s_mov_b32 s0, 0
	s_mov_b32 s9, -1
	global_store_b16 v[0:1], v4, off
.LBB86_604:
	s_mov_b32 s8, 0
.LBB86_605:
	s_delay_alu instid0(SALU_CYCLE_1)
	s_and_b32 vcc_lo, exec_lo, s8
	s_mov_b32 s8, 0
	s_cbranch_vccz .LBB86_607
; %bb.606:
	v_cmp_ne_u16_e64 s0, 11, v2
	s_mov_b32 s8, -1
.LBB86_607:
	s_delay_alu instid0(VALU_DEP_1)
	s_and_b32 vcc_lo, exec_lo, s0
	s_cbranch_vccnz .LBB86_724
; %bb.608:
	s_and_not1_b32 vcc_lo, exec_lo, s8
	s_cbranch_vccnz .LBB86_610
.LBB86_609:
	s_and_b32 s0, s7, 0x7fff7fff
	s_mov_b32 s9, -1
	s_cmp_lg_u32 s0, 0
	s_cselect_b32 s0, -1, 0
	s_delay_alu instid0(SALU_CYCLE_1)
	v_cndmask_b32_e64 v4, 0, 1, s0
	global_store_b8 v[0:1], v4, off
.LBB86_610:
.LBB86_611:
	s_and_not1_b32 vcc_lo, exec_lo, s9
	s_cbranch_vccnz .LBB86_679
.LBB86_612:
	v_add_nc_u32_e32 v3, s6, v3
	v_cmp_gt_i16_e32 vcc_lo, 11, v2
	s_delay_alu instid0(VALU_DEP_2) | instskip(SKIP_1) | instid1(VALU_DEP_1)
	v_ashrrev_i32_e32 v1, 31, v3
	v_add_co_u32 v0, s0, s4, v3
	v_add_co_ci_u32_e64 v1, s0, s5, v1, s0
	s_cbranch_vccnz .LBB86_640
; %bb.613:
	v_cmp_lt_i16_e32 vcc_lo, 25, v2
	s_mov_b32 s10, -1
	s_mov_b32 s8, 0
	s_mov_b32 s9, 0
	;; [unrolled: 1-line block ×3, first 2 shown]
	s_cbranch_vccz .LBB86_736
; %bb.614:
	v_cmp_lt_i16_e32 vcc_lo, 28, v2
	s_cbranch_vccz .LBB86_629
; %bb.615:
	v_cmp_lt_i16_e32 vcc_lo, 43, v2
	;; [unrolled: 3-line block ×3, first 2 shown]
	s_cbranch_vccz .LBB86_619
; %bb.617:
	v_cmp_eq_u16_e32 vcc_lo, 46, v2
	s_mov_b32 s0, -1
	s_mov_b32 s10, 0
	s_cbranch_vccz .LBB86_619
; %bb.618:
	v_mov_b32_e32 v4, s7
	s_mov_b32 s0, 0
	s_mov_b32 s9, -1
	global_store_b32 v[0:1], v4, off
.LBB86_619:
	s_and_b32 vcc_lo, exec_lo, s10
	s_cbranch_vccz .LBB86_624
; %bb.620:
	v_cmp_eq_u16_e32 vcc_lo, 44, v2
	s_mov_b32 s0, -1
	s_cbranch_vccz .LBB86_624
; %bb.621:
	s_lshl_b32 s0, s7, 16
	v_mov_b32_e32 v4, 0xff
	s_bfe_u32 s9, s0, 0x80017
	s_delay_alu instid0(SALU_CYCLE_1)
	s_cmpk_eq_i32 s9, 0xff
	s_cbranch_scc1 .LBB86_623
; %bb.622:
	s_bfe_u32 s10, s7, 0x90007
	s_bitcmp1_b32 s7, 6
	s_cselect_b32 s11, -1, 0
	s_and_b32 s0, s0, 0x3f0000
	s_delay_alu instid0(SALU_CYCLE_1) | instskip(NEXT) | instid1(SALU_CYCLE_1)
	s_or_b32 s0, s9, s0
	s_cmp_lg_u32 s0, 0
	s_cselect_b32 s0, -1, 0
	s_delay_alu instid0(SALU_CYCLE_1) | instskip(NEXT) | instid1(SALU_CYCLE_1)
	s_and_b32 s0, s11, s0
	v_cndmask_b32_e64 v4, 0, 1, s0
	s_delay_alu instid0(VALU_DEP_1)
	v_add_nc_u32_e32 v4, s10, v4
.LBB86_623:
	s_mov_b32 s0, 0
	s_mov_b32 s9, -1
	global_store_b8 v[0:1], v4, off
.LBB86_624:
	s_mov_b32 s10, 0
.LBB86_625:
	s_delay_alu instid0(SALU_CYCLE_1)
	s_and_b32 vcc_lo, exec_lo, s10
	s_cbranch_vccz .LBB86_628
; %bb.626:
	v_cmp_eq_u16_e32 vcc_lo, 29, v2
	s_mov_b32 s0, -1
	s_cbranch_vccz .LBB86_628
; %bb.627:
	s_lshl_b32 s0, s7, 16
	s_mov_b32 s9, -1
	v_trunc_f32_e32 v4, s0
	s_mov_b32 s0, 0
	s_delay_alu instid0(VALU_DEP_1) | instskip(NEXT) | instid1(VALU_DEP_1)
	v_mul_f32_e32 v5, 0x2f800000, v4
	v_floor_f32_e32 v5, v5
	s_delay_alu instid0(VALU_DEP_1) | instskip(SKIP_1) | instid1(VALU_DEP_2)
	v_fmamk_f32 v4, v5, 0xcf800000, v4
	v_cvt_u32_f32_e32 v5, v5
	v_cvt_u32_f32_e32 v4, v4
	global_store_b64 v[0:1], v[4:5], off
.LBB86_628:
	s_mov_b32 s10, 0
.LBB86_629:
	s_delay_alu instid0(SALU_CYCLE_1)
	s_and_b32 vcc_lo, exec_lo, s10
	s_cbranch_vccz .LBB86_735
; %bb.630:
	v_cmp_gt_i16_e32 vcc_lo, 27, v2
	s_mov_b32 s9, -1
	s_cbranch_vccnz .LBB86_636
; %bb.631:
	v_cmp_lt_i16_e32 vcc_lo, 27, v2
	s_cbranch_vccz .LBB86_633
; %bb.632:
	s_lshl_b32 s9, s7, 16
	s_delay_alu instid0(SALU_CYCLE_1)
	v_cvt_u32_f32_e32 v4, s9
	s_mov_b32 s9, 0
	global_store_b32 v[0:1], v4, off
.LBB86_633:
	s_and_not1_b32 vcc_lo, exec_lo, s9
	s_cbranch_vccnz .LBB86_635
; %bb.634:
	s_lshl_b32 s9, s7, 16
	s_delay_alu instid0(SALU_CYCLE_1)
	v_cvt_u32_f32_e32 v4, s9
	global_store_b16 v[0:1], v4, off
.LBB86_635:
	s_mov_b32 s9, 0
.LBB86_636:
	s_delay_alu instid0(SALU_CYCLE_1)
	s_and_not1_b32 vcc_lo, exec_lo, s9
	s_cbranch_vccnz .LBB86_734
; %bb.637:
	s_lshl_b32 s9, s7, 16
	v_mov_b32_e32 v5, 0x80
	s_and_b32 s10, s9, 0x7fffffff
	s_delay_alu instid0(SALU_CYCLE_1)
	s_cmp_gt_u32 s10, 0x437fffff
	s_cbranch_scc1 .LBB86_733
; %bb.638:
	s_cmp_gt_u32 s10, 0x3bffffff
	s_cbranch_scc0 .LBB86_728
; %bb.639:
	s_bfe_u32 s10, s9, 0x10014
	s_mov_b32 s11, 0
	s_add_i32 s10, s9, s10
	s_delay_alu instid0(SALU_CYCLE_1) | instskip(NEXT) | instid1(SALU_CYCLE_1)
	s_add_i32 s10, s10, 0x487ffff
	s_lshr_b32 s12, s10, 20
	s_mov_b32 s10, -1
	s_branch .LBB86_729
.LBB86_640:
	s_mov_b32 s9, 0
	s_cbranch_execz .LBB86_786
; %bb.641:
	v_cmp_gt_i16_e32 vcc_lo, 5, v2
	s_mov_b32 s0, -1
	s_cbranch_vccnz .LBB86_662
; %bb.642:
	v_cmp_gt_i16_e32 vcc_lo, 8, v2
	s_cbranch_vccnz .LBB86_652
; %bb.643:
	v_cmp_gt_i16_e32 vcc_lo, 9, v2
	s_cbranch_vccnz .LBB86_649
; %bb.644:
	v_cmp_lt_i16_e32 vcc_lo, 9, v2
	s_cbranch_vccz .LBB86_646
; %bb.645:
	s_lshl_b32 s0, s7, 16
	s_and_b32 s8, s7, 0xffff0000
	v_cvt_f64_f32_e32 v[4:5], s0
	v_cvt_f64_f32_e32 v[6:7], s8
	s_mov_b32 s0, 0
	global_store_b128 v[0:1], v[4:7], off
.LBB86_646:
	s_and_not1_b32 vcc_lo, exec_lo, s0
	s_cbranch_vccnz .LBB86_648
; %bb.647:
	s_lshl_b32 s0, s7, 16
	s_and_b32 s8, s7, 0xffff0000
	s_delay_alu instid0(SALU_CYCLE_1)
	v_dual_mov_b32 v4, s0 :: v_dual_mov_b32 v5, s8
	global_store_b64 v[0:1], v[4:5], off
.LBB86_648:
	s_mov_b32 s0, 0
.LBB86_649:
	s_delay_alu instid0(SALU_CYCLE_1)
	s_and_not1_b32 vcc_lo, exec_lo, s0
	s_cbranch_vccnz .LBB86_651
; %bb.650:
	s_and_b32 s0, s7, 0xffff0000
	s_lshl_b32 s8, s7, 16
	v_cvt_f16_f32_e32 v4, s0
	v_cvt_f16_f32_e32 v5, s8
	s_delay_alu instid0(VALU_DEP_2) | instskip(NEXT) | instid1(VALU_DEP_2)
	v_lshlrev_b32_e32 v4, 16, v4
	v_and_b32_e32 v5, 0xffff, v5
	s_delay_alu instid0(VALU_DEP_1)
	v_or_b32_e32 v4, v4, v5
	global_store_b32 v[0:1], v4, off
.LBB86_651:
	s_mov_b32 s0, 0
.LBB86_652:
	s_delay_alu instid0(SALU_CYCLE_1)
	s_and_not1_b32 vcc_lo, exec_lo, s0
	s_cbranch_vccnz .LBB86_661
; %bb.653:
	v_cmp_gt_i16_e32 vcc_lo, 6, v2
	s_mov_b32 s0, -1
	s_cbranch_vccnz .LBB86_659
; %bb.654:
	v_cmp_lt_i16_e32 vcc_lo, 6, v2
	s_cbranch_vccz .LBB86_656
; %bb.655:
	s_lshl_b32 s0, s7, 16
	s_delay_alu instid0(SALU_CYCLE_1)
	v_cvt_f64_f32_e32 v[4:5], s0
	s_mov_b32 s0, 0
	global_store_b64 v[0:1], v[4:5], off
.LBB86_656:
	s_and_not1_b32 vcc_lo, exec_lo, s0
	s_cbranch_vccnz .LBB86_658
; %bb.657:
	s_lshl_b32 s0, s7, 16
	s_delay_alu instid0(SALU_CYCLE_1)
	v_mov_b32_e32 v4, s0
	global_store_b32 v[0:1], v4, off
.LBB86_658:
	s_mov_b32 s0, 0
.LBB86_659:
	s_delay_alu instid0(SALU_CYCLE_1)
	s_and_not1_b32 vcc_lo, exec_lo, s0
	s_cbranch_vccnz .LBB86_661
; %bb.660:
	s_lshl_b32 s0, s7, 16
	s_delay_alu instid0(SALU_CYCLE_1)
	v_cvt_f16_f32_e32 v4, s0
	global_store_b16 v[0:1], v4, off
.LBB86_661:
	s_mov_b32 s0, 0
.LBB86_662:
	s_delay_alu instid0(SALU_CYCLE_1)
	s_and_not1_b32 vcc_lo, exec_lo, s0
	s_cbranch_vccnz .LBB86_678
; %bb.663:
	v_cmp_gt_i16_e32 vcc_lo, 2, v2
	s_mov_b32 s0, -1
	s_cbranch_vccnz .LBB86_673
; %bb.664:
	v_cmp_gt_i16_e32 vcc_lo, 3, v2
	s_cbranch_vccnz .LBB86_670
; %bb.665:
	v_cmp_lt_i16_e32 vcc_lo, 3, v2
	s_cbranch_vccz .LBB86_667
; %bb.666:
	s_lshl_b32 s0, s7, 16
	s_delay_alu instid0(SALU_CYCLE_1) | instskip(SKIP_1) | instid1(VALU_DEP_1)
	v_trunc_f32_e32 v4, s0
	s_mov_b32 s0, 0
	v_mul_f32_e64 v5, 0x2f800000, |v4|
	v_ashrrev_i32_e32 v7, 31, v4
	s_delay_alu instid0(VALU_DEP_2) | instskip(NEXT) | instid1(VALU_DEP_1)
	v_floor_f32_e32 v5, v5
	v_fma_f32 v6, 0xcf800000, v5, |v4|
	v_cvt_u32_f32_e32 v5, v5
	s_delay_alu instid0(VALU_DEP_2) | instskip(NEXT) | instid1(VALU_DEP_2)
	v_cvt_u32_f32_e32 v4, v6
	v_xor_b32_e32 v5, v5, v7
	s_delay_alu instid0(VALU_DEP_2) | instskip(NEXT) | instid1(VALU_DEP_1)
	v_xor_b32_e32 v4, v4, v7
	v_sub_co_u32 v4, vcc_lo, v4, v7
	s_delay_alu instid0(VALU_DEP_3)
	v_sub_co_ci_u32_e32 v5, vcc_lo, v5, v7, vcc_lo
	global_store_b64 v[0:1], v[4:5], off
.LBB86_667:
	s_and_not1_b32 vcc_lo, exec_lo, s0
	s_cbranch_vccnz .LBB86_669
; %bb.668:
	s_lshl_b32 s0, s7, 16
	s_delay_alu instid0(SALU_CYCLE_1)
	v_cvt_i32_f32_e32 v4, s0
	global_store_b32 v[0:1], v4, off
.LBB86_669:
	s_mov_b32 s0, 0
.LBB86_670:
	s_delay_alu instid0(SALU_CYCLE_1)
	s_and_not1_b32 vcc_lo, exec_lo, s0
	s_cbranch_vccnz .LBB86_672
; %bb.671:
	s_lshl_b32 s0, s7, 16
	s_delay_alu instid0(SALU_CYCLE_1)
	v_cvt_i32_f32_e32 v4, s0
	global_store_b16 v[0:1], v4, off
.LBB86_672:
	s_mov_b32 s0, 0
.LBB86_673:
	s_delay_alu instid0(SALU_CYCLE_1)
	s_and_not1_b32 vcc_lo, exec_lo, s0
	s_cbranch_vccnz .LBB86_678
; %bb.674:
	v_cmp_lt_i16_e32 vcc_lo, 0, v2
	s_mov_b32 s0, -1
	s_cbranch_vccz .LBB86_676
; %bb.675:
	s_lshl_b32 s0, s7, 16
	s_delay_alu instid0(SALU_CYCLE_1)
	v_cvt_i32_f32_e32 v4, s0
	s_mov_b32 s0, 0
	global_store_b8 v[0:1], v4, off
.LBB86_676:
	s_and_not1_b32 vcc_lo, exec_lo, s0
	s_cbranch_vccnz .LBB86_678
; %bb.677:
	s_lshl_b32 s0, s7, 16
	s_delay_alu instid0(SALU_CYCLE_1) | instskip(NEXT) | instid1(VALU_DEP_1)
	v_trunc_f32_e32 v4, s0
	v_mul_f32_e64 v5, 0x2f800000, |v4|
	s_delay_alu instid0(VALU_DEP_1) | instskip(NEXT) | instid1(VALU_DEP_1)
	v_floor_f32_e32 v5, v5
	v_fma_f32 v5, 0xcf800000, v5, |v4|
	v_ashrrev_i32_e32 v4, 31, v4
	s_delay_alu instid0(VALU_DEP_2) | instskip(NEXT) | instid1(VALU_DEP_1)
	v_cvt_u32_f32_e32 v5, v5
	v_xor_b32_e32 v5, v5, v4
	s_delay_alu instid0(VALU_DEP_1)
	v_sub_nc_u32_e32 v4, v5, v4
	global_store_b8 v[0:1], v4, off
.LBB86_678:
	s_branch .LBB86_787
.LBB86_679:
	s_mov_b32 s0, 0
	s_mov_b32 s4, 0
                                        ; implicit-def: $vgpr2
                                        ; implicit-def: $vgpr0_vgpr1
.LBB86_680:
	s_and_not1_b32 s1, s1, exec_lo
	s_and_b32 s5, s3, exec_lo
	s_and_b32 s0, s0, exec_lo
	;; [unrolled: 1-line block ×3, first 2 shown]
	s_or_b32 s1, s1, s5
.LBB86_681:
	s_or_b32 exec_lo, exec_lo, s2
	s_and_saveexec_b32 s2, s1
	s_cbranch_execz .LBB86_684
; %bb.682:
	; divergent unreachable
	s_or_b32 exec_lo, exec_lo, s2
	s_and_saveexec_b32 s1, s3
	s_delay_alu instid0(SALU_CYCLE_1)
	s_xor_b32 s1, exec_lo, s1
	s_cbranch_execnz .LBB86_685
.LBB86_683:
	s_or_b32 exec_lo, exec_lo, s1
	s_and_saveexec_b32 s1, s0
	s_cbranch_execnz .LBB86_686
	s_branch .LBB86_723
.LBB86_684:
	s_or_b32 exec_lo, exec_lo, s2
	s_and_saveexec_b32 s1, s3
	s_delay_alu instid0(SALU_CYCLE_1)
	s_xor_b32 s1, exec_lo, s1
	s_cbranch_execz .LBB86_683
.LBB86_685:
	s_and_b32 s2, s7, 0x7fff7fff
	s_delay_alu instid0(SALU_CYCLE_1) | instskip(SKIP_1) | instid1(SALU_CYCLE_1)
	s_cmp_lg_u32 s2, 0
	s_cselect_b32 s2, -1, 0
	v_cndmask_b32_e64 v3, 0, 1, s2
	global_store_b8 v[0:1], v3, off
	s_or_b32 exec_lo, exec_lo, s1
	s_and_saveexec_b32 s1, s0
	s_cbranch_execz .LBB86_723
.LBB86_686:
	v_cmp_gt_i16_e32 vcc_lo, 5, v2
	s_mov_b32 s0, -1
	s_cbranch_vccnz .LBB86_707
; %bb.687:
	v_cmp_gt_i16_e32 vcc_lo, 8, v2
	s_cbranch_vccnz .LBB86_697
; %bb.688:
	v_cmp_gt_i16_e32 vcc_lo, 9, v2
	s_cbranch_vccnz .LBB86_694
; %bb.689:
	v_cmp_lt_i16_e32 vcc_lo, 9, v2
	s_cbranch_vccz .LBB86_691
; %bb.690:
	s_lshl_b32 s0, s7, 16
	s_and_b32 s1, s7, 0xffff0000
	v_cvt_f64_f32_e32 v[3:4], s0
	v_cvt_f64_f32_e32 v[5:6], s1
	s_mov_b32 s0, 0
	global_store_b128 v[0:1], v[3:6], off
.LBB86_691:
	s_and_not1_b32 vcc_lo, exec_lo, s0
	s_cbranch_vccnz .LBB86_693
; %bb.692:
	s_lshl_b32 s0, s7, 16
	s_and_b32 s1, s7, 0xffff0000
	s_delay_alu instid0(SALU_CYCLE_1)
	v_dual_mov_b32 v3, s0 :: v_dual_mov_b32 v4, s1
	global_store_b64 v[0:1], v[3:4], off
.LBB86_693:
	s_mov_b32 s0, 0
.LBB86_694:
	s_delay_alu instid0(SALU_CYCLE_1)
	s_and_not1_b32 vcc_lo, exec_lo, s0
	s_cbranch_vccnz .LBB86_696
; %bb.695:
	s_and_b32 s0, s7, 0xffff0000
	s_lshl_b32 s1, s7, 16
	v_cvt_f16_f32_e32 v3, s0
	v_cvt_f16_f32_e32 v4, s1
	s_delay_alu instid0(VALU_DEP_2) | instskip(NEXT) | instid1(VALU_DEP_2)
	v_lshlrev_b32_e32 v3, 16, v3
	v_and_b32_e32 v4, 0xffff, v4
	s_delay_alu instid0(VALU_DEP_1)
	v_or_b32_e32 v3, v3, v4
	global_store_b32 v[0:1], v3, off
.LBB86_696:
	s_mov_b32 s0, 0
.LBB86_697:
	s_delay_alu instid0(SALU_CYCLE_1)
	s_and_not1_b32 vcc_lo, exec_lo, s0
	s_cbranch_vccnz .LBB86_706
; %bb.698:
	v_cmp_gt_i16_e32 vcc_lo, 6, v2
	s_mov_b32 s0, -1
	s_cbranch_vccnz .LBB86_704
; %bb.699:
	v_cmp_lt_i16_e32 vcc_lo, 6, v2
	s_cbranch_vccz .LBB86_701
; %bb.700:
	s_lshl_b32 s0, s7, 16
	s_delay_alu instid0(SALU_CYCLE_1)
	v_cvt_f64_f32_e32 v[3:4], s0
	s_mov_b32 s0, 0
	global_store_b64 v[0:1], v[3:4], off
.LBB86_701:
	s_and_not1_b32 vcc_lo, exec_lo, s0
	s_cbranch_vccnz .LBB86_703
; %bb.702:
	s_lshl_b32 s0, s7, 16
	s_delay_alu instid0(SALU_CYCLE_1)
	v_mov_b32_e32 v3, s0
	global_store_b32 v[0:1], v3, off
.LBB86_703:
	s_mov_b32 s0, 0
.LBB86_704:
	s_delay_alu instid0(SALU_CYCLE_1)
	s_and_not1_b32 vcc_lo, exec_lo, s0
	s_cbranch_vccnz .LBB86_706
; %bb.705:
	s_lshl_b32 s0, s7, 16
	s_delay_alu instid0(SALU_CYCLE_1)
	v_cvt_f16_f32_e32 v3, s0
	global_store_b16 v[0:1], v3, off
.LBB86_706:
	s_mov_b32 s0, 0
.LBB86_707:
	s_delay_alu instid0(SALU_CYCLE_1)
	s_and_not1_b32 vcc_lo, exec_lo, s0
	s_cbranch_vccnz .LBB86_723
; %bb.708:
	v_cmp_gt_i16_e32 vcc_lo, 2, v2
	s_mov_b32 s0, -1
	s_cbranch_vccnz .LBB86_718
; %bb.709:
	v_cmp_gt_i16_e32 vcc_lo, 3, v2
	s_cbranch_vccnz .LBB86_715
; %bb.710:
	v_cmp_lt_i16_e32 vcc_lo, 3, v2
	s_cbranch_vccz .LBB86_712
; %bb.711:
	s_lshl_b32 s0, s7, 16
	s_delay_alu instid0(SALU_CYCLE_1) | instskip(SKIP_1) | instid1(VALU_DEP_1)
	v_trunc_f32_e32 v3, s0
	s_mov_b32 s0, 0
	v_mul_f32_e64 v4, 0x2f800000, |v3|
	v_ashrrev_i32_e32 v6, 31, v3
	s_delay_alu instid0(VALU_DEP_2) | instskip(NEXT) | instid1(VALU_DEP_1)
	v_floor_f32_e32 v4, v4
	v_fma_f32 v5, 0xcf800000, v4, |v3|
	v_cvt_u32_f32_e32 v4, v4
	s_delay_alu instid0(VALU_DEP_2) | instskip(NEXT) | instid1(VALU_DEP_2)
	v_cvt_u32_f32_e32 v3, v5
	v_xor_b32_e32 v4, v4, v6
	s_delay_alu instid0(VALU_DEP_2) | instskip(NEXT) | instid1(VALU_DEP_1)
	v_xor_b32_e32 v3, v3, v6
	v_sub_co_u32 v3, vcc_lo, v3, v6
	s_delay_alu instid0(VALU_DEP_3)
	v_sub_co_ci_u32_e32 v4, vcc_lo, v4, v6, vcc_lo
	global_store_b64 v[0:1], v[3:4], off
.LBB86_712:
	s_and_not1_b32 vcc_lo, exec_lo, s0
	s_cbranch_vccnz .LBB86_714
; %bb.713:
	s_lshl_b32 s0, s7, 16
	s_delay_alu instid0(SALU_CYCLE_1)
	v_cvt_i32_f32_e32 v3, s0
	global_store_b32 v[0:1], v3, off
.LBB86_714:
	s_mov_b32 s0, 0
.LBB86_715:
	s_delay_alu instid0(SALU_CYCLE_1)
	s_and_not1_b32 vcc_lo, exec_lo, s0
	s_cbranch_vccnz .LBB86_717
; %bb.716:
	s_lshl_b32 s0, s7, 16
	s_delay_alu instid0(SALU_CYCLE_1)
	v_cvt_i32_f32_e32 v3, s0
	global_store_b16 v[0:1], v3, off
.LBB86_717:
	s_mov_b32 s0, 0
.LBB86_718:
	s_delay_alu instid0(SALU_CYCLE_1)
	s_and_not1_b32 vcc_lo, exec_lo, s0
	s_cbranch_vccnz .LBB86_723
; %bb.719:
	v_cmp_lt_i16_e32 vcc_lo, 0, v2
	s_mov_b32 s0, -1
	s_cbranch_vccz .LBB86_721
; %bb.720:
	s_lshl_b32 s0, s7, 16
	s_delay_alu instid0(SALU_CYCLE_1)
	v_cvt_i32_f32_e32 v2, s0
	s_mov_b32 s0, 0
	global_store_b8 v[0:1], v2, off
.LBB86_721:
	s_and_not1_b32 vcc_lo, exec_lo, s0
	s_cbranch_vccnz .LBB86_723
; %bb.722:
	s_lshl_b32 s0, s7, 16
	s_delay_alu instid0(SALU_CYCLE_1) | instskip(NEXT) | instid1(VALU_DEP_1)
	v_trunc_f32_e32 v2, s0
	v_mul_f32_e64 v3, 0x2f800000, |v2|
	s_delay_alu instid0(VALU_DEP_1) | instskip(NEXT) | instid1(VALU_DEP_1)
	v_floor_f32_e32 v3, v3
	v_fma_f32 v3, 0xcf800000, v3, |v2|
	v_ashrrev_i32_e32 v2, 31, v2
	s_delay_alu instid0(VALU_DEP_2) | instskip(NEXT) | instid1(VALU_DEP_1)
	v_cvt_u32_f32_e32 v3, v3
	v_xor_b32_e32 v3, v3, v2
	s_delay_alu instid0(VALU_DEP_1)
	v_sub_nc_u32_e32 v2, v3, v2
	global_store_b8 v[0:1], v2, off
	s_nop 0
	s_sendmsg sendmsg(MSG_DEALLOC_VGPRS)
	s_endpgm
.LBB86_723:
	s_nop 0
	s_sendmsg sendmsg(MSG_DEALLOC_VGPRS)
	s_endpgm
.LBB86_724:
	s_cbranch_execnz .LBB86_726
; %bb.725:
	s_or_b32 s3, s3, exec_lo
	s_cbranch_execz .LBB86_609
	s_branch .LBB86_610
.LBB86_726:
	s_trap 2
	s_sendmsg_rtn_b32 s0, sendmsg(MSG_RTN_GET_DOORBELL)
	s_mov_b32 ttmp2, m0
	s_waitcnt lgkmcnt(0)
	s_and_b32 s0, s0, 0x3ff
	s_delay_alu instid0(SALU_CYCLE_1) | instskip(NEXT) | instid1(SALU_CYCLE_1)
	s_bitset1_b32 s0, 10
	s_mov_b32 m0, s0
	s_sendmsg sendmsg(MSG_INTERRUPT)
	s_mov_b32 m0, ttmp2
.LBB86_727:                             ; =>This Inner Loop Header: Depth=1
	s_sethalt 5
	s_branch .LBB86_727
.LBB86_728:
	s_mov_b32 s11, -1
	s_mov_b32 s10, 0
                                        ; implicit-def: $sgpr12
.LBB86_729:
	v_mov_b32_e32 v4, s12
	s_and_not1_b32 vcc_lo, exec_lo, s11
                                        ; implicit-def: $sgpr11
	s_cbranch_vccnz .LBB86_731
; %bb.730:
	v_add_f32_e64 v4, 0x46000000, |s9|
	s_mov_b32 s11, 0
	s_delay_alu instid0(VALU_DEP_1) | instskip(NEXT) | instid1(VALU_DEP_1)
	v_and_b32_e32 v4, 0xff, v4
	v_cmp_ne_u32_e64 s10, 0, v4
.LBB86_731:
	v_mov_b32_e32 v5, s11
	s_delay_alu instid0(VALU_DEP_2)
	s_and_not1_b32 vcc_lo, exec_lo, s10
	s_cbranch_vccnz .LBB86_733
; %bb.732:
	s_lshr_b32 s9, s9, 24
	s_delay_alu instid0(SALU_CYCLE_1) | instskip(NEXT) | instid1(SALU_CYCLE_1)
	s_and_b32 s9, s9, 0x80
	v_or_b32_e32 v5, s9, v4
.LBB86_733:
	global_store_b8 v[0:1], v5, off
.LBB86_734:
	s_mov_b32 s9, -1
.LBB86_735:
	s_mov_b32 s10, 0
.LBB86_736:
	s_delay_alu instid0(SALU_CYCLE_1)
	s_and_b32 vcc_lo, exec_lo, s10
	s_cbranch_vccz .LBB86_782
; %bb.737:
	v_cmp_lt_i16_e32 vcc_lo, 22, v2
	s_mov_b32 s8, -1
	s_cbranch_vccz .LBB86_775
; %bb.738:
	v_cmp_gt_i16_e32 vcc_lo, 24, v2
	s_cbranch_vccnz .LBB86_762
; %bb.739:
	v_cmp_lt_i16_e32 vcc_lo, 24, v2
	s_cbranch_vccz .LBB86_749
; %bb.740:
	s_lshl_b32 s8, s7, 16
	v_mov_b32_e32 v5, 0x80
	s_and_b32 s9, s8, 0x7fffffff
	s_delay_alu instid0(SALU_CYCLE_1)
	s_cmp_gt_u32 s9, 0x477fffff
	s_cbranch_scc1 .LBB86_748
; %bb.741:
	s_cmp_gt_u32 s9, 0x37ffffff
	s_cbranch_scc0 .LBB86_743
; %bb.742:
	s_bfe_u32 s9, s8, 0x10015
	s_mov_b32 s10, 0
	s_add_i32 s9, s8, s9
	s_delay_alu instid0(SALU_CYCLE_1) | instskip(NEXT) | instid1(SALU_CYCLE_1)
	s_add_i32 s9, s9, 0x88fffff
	s_lshr_b32 s11, s9, 21
	s_mov_b32 s9, -1
	s_branch .LBB86_744
.LBB86_743:
	s_mov_b32 s10, -1
	s_mov_b32 s9, 0
                                        ; implicit-def: $sgpr11
.LBB86_744:
	v_mov_b32_e32 v4, s11
	s_and_not1_b32 vcc_lo, exec_lo, s10
                                        ; implicit-def: $sgpr10
	s_cbranch_vccnz .LBB86_746
; %bb.745:
	v_add_f32_e64 v4, 0x42800000, |s8|
	s_mov_b32 s10, 0
	s_delay_alu instid0(VALU_DEP_1) | instskip(NEXT) | instid1(VALU_DEP_1)
	v_and_b32_e32 v4, 0xff, v4
	v_cmp_ne_u32_e64 s9, 0, v4
.LBB86_746:
	v_mov_b32_e32 v5, s10
	s_delay_alu instid0(VALU_DEP_2)
	s_and_not1_b32 vcc_lo, exec_lo, s9
	s_cbranch_vccnz .LBB86_748
; %bb.747:
	s_lshr_b32 s8, s8, 24
	s_delay_alu instid0(SALU_CYCLE_1) | instskip(NEXT) | instid1(SALU_CYCLE_1)
	s_and_b32 s8, s8, 0x80
	v_or_b32_e32 v5, s8, v4
.LBB86_748:
	s_mov_b32 s8, 0
	global_store_b8 v[0:1], v5, off
.LBB86_749:
	s_and_b32 vcc_lo, exec_lo, s8
	s_cbranch_vccz .LBB86_761
; %bb.750:
	s_lshl_b32 s8, s7, 16
	s_delay_alu instid0(SALU_CYCLE_1) | instskip(NEXT) | instid1(SALU_CYCLE_1)
	s_and_b32 s9, s8, 0x7fffffff
	s_cmp_lt_u32 s9, 0x43f00000
	s_cbranch_scc0 .LBB86_753
; %bb.751:
	s_cmp_gt_u32 s9, 0x3c7fffff
	s_cbranch_scc0 .LBB86_754
; %bb.752:
	s_bfe_u32 s10, s8, 0x10014
	s_delay_alu instid0(SALU_CYCLE_1) | instskip(NEXT) | instid1(SALU_CYCLE_1)
	s_add_i32 s10, s8, s10
	s_add_i32 s10, s10, 0x407ffff
	s_delay_alu instid0(SALU_CYCLE_1)
	s_and_b32 s11, s10, 0xff00000
	s_lshr_b32 s10, s10, 20
	s_cmp_lg_u32 s11, 0x7f00000
	s_cselect_b32 s11, s10, 0x7e
	s_mov_b32 s10, 0
	s_branch .LBB86_755
.LBB86_753:
	s_mov_b32 s10, -1
                                        ; implicit-def: $vgpr4
	s_branch .LBB86_758
.LBB86_754:
	s_mov_b32 s10, -1
                                        ; implicit-def: $sgpr11
.LBB86_755:
	v_mov_b32_e32 v4, s11
	s_and_not1_b32 vcc_lo, exec_lo, s10
	s_cbranch_vccnz .LBB86_757
; %bb.756:
	v_add_f32_e64 v4, 0x46800000, |s8|
.LBB86_757:
	s_mov_b32 s10, 0
.LBB86_758:
	s_delay_alu instid0(SALU_CYCLE_1)
	s_and_not1_b32 vcc_lo, exec_lo, s10
	s_cbranch_vccnz .LBB86_760
; %bb.759:
	s_cmp_gt_u32 s9, 0x7f800000
	s_movk_i32 s9, 0x7f
	s_delay_alu instid0(SALU_CYCLE_1) | instskip(NEXT) | instid1(SALU_CYCLE_1)
	s_cselect_b32 s9, s9, 0x7e
	v_mov_b32_e32 v4, s9
.LBB86_760:
	s_lshr_b32 s8, s8, 24
	s_delay_alu instid0(SALU_CYCLE_1)
	s_and_b32 s8, s8, 0x80
	s_delay_alu instid0(VALU_DEP_1) | instid1(SALU_CYCLE_1)
	v_or_b32_e32 v4, s8, v4
	global_store_b8 v[0:1], v4, off
.LBB86_761:
	s_mov_b32 s8, 0
.LBB86_762:
	s_delay_alu instid0(SALU_CYCLE_1)
	s_and_not1_b32 vcc_lo, exec_lo, s8
	s_cbranch_vccnz .LBB86_774
; %bb.763:
	s_lshl_b32 s8, s7, 16
	s_delay_alu instid0(SALU_CYCLE_1) | instskip(NEXT) | instid1(SALU_CYCLE_1)
	s_and_b32 s9, s8, 0x7fffffff
	s_cmp_lt_u32 s9, 0x47800000
	s_cbranch_scc0 .LBB86_766
; %bb.764:
	s_cmp_gt_u32 s9, 0x387fffff
	s_cbranch_scc0 .LBB86_767
; %bb.765:
	s_bfe_u32 s10, s8, 0x10015
	s_delay_alu instid0(SALU_CYCLE_1) | instskip(NEXT) | instid1(SALU_CYCLE_1)
	s_add_i32 s10, s8, s10
	s_add_i32 s10, s10, 0x80fffff
	s_delay_alu instid0(SALU_CYCLE_1)
	s_lshr_b32 s11, s10, 21
	s_mov_b32 s10, 0
	s_branch .LBB86_768
.LBB86_766:
	s_mov_b32 s10, -1
                                        ; implicit-def: $vgpr4
	s_branch .LBB86_771
.LBB86_767:
	s_mov_b32 s10, -1
                                        ; implicit-def: $sgpr11
.LBB86_768:
	v_mov_b32_e32 v4, s11
	s_and_not1_b32 vcc_lo, exec_lo, s10
	s_cbranch_vccnz .LBB86_770
; %bb.769:
	v_add_f32_e64 v4, 0x43000000, |s8|
.LBB86_770:
	s_mov_b32 s10, 0
.LBB86_771:
	s_delay_alu instid0(SALU_CYCLE_1)
	s_and_not1_b32 vcc_lo, exec_lo, s10
	s_cbranch_vccnz .LBB86_773
; %bb.772:
	s_cmp_gt_u32 s9, 0x7f800000
	s_movk_i32 s9, 0x7f
	s_delay_alu instid0(SALU_CYCLE_1) | instskip(NEXT) | instid1(SALU_CYCLE_1)
	s_cselect_b32 s9, s9, 0x7c
	v_mov_b32_e32 v4, s9
.LBB86_773:
	s_lshr_b32 s8, s8, 24
	s_delay_alu instid0(SALU_CYCLE_1)
	s_and_b32 s8, s8, 0x80
	s_delay_alu instid0(VALU_DEP_1) | instid1(SALU_CYCLE_1)
	v_or_b32_e32 v4, s8, v4
	global_store_b8 v[0:1], v4, off
.LBB86_774:
	s_mov_b32 s8, 0
	s_mov_b32 s9, -1
.LBB86_775:
	s_and_not1_b32 vcc_lo, exec_lo, s8
	s_mov_b32 s8, 0
	s_cbranch_vccnz .LBB86_782
; %bb.776:
	v_cmp_lt_i16_e32 vcc_lo, 14, v2
	s_mov_b32 s8, -1
	s_cbranch_vccz .LBB86_780
; %bb.777:
	v_cmp_eq_u16_e32 vcc_lo, 15, v2
	s_mov_b32 s0, -1
	s_cbranch_vccz .LBB86_779
; %bb.778:
	v_mov_b32_e32 v4, s7
	s_mov_b32 s0, 0
	s_mov_b32 s9, -1
	global_store_b16 v[0:1], v4, off
.LBB86_779:
	s_mov_b32 s8, 0
.LBB86_780:
	s_delay_alu instid0(SALU_CYCLE_1)
	s_and_b32 vcc_lo, exec_lo, s8
	s_mov_b32 s8, 0
	s_cbranch_vccz .LBB86_782
; %bb.781:
	v_cmp_ne_u16_e64 s0, 11, v2
	s_mov_b32 s8, -1
.LBB86_782:
	s_delay_alu instid0(VALU_DEP_1)
	s_and_b32 vcc_lo, exec_lo, s0
	s_cbranch_vccnz .LBB86_817
; %bb.783:
	s_and_not1_b32 vcc_lo, exec_lo, s8
	s_cbranch_vccnz .LBB86_785
.LBB86_784:
	s_and_b32 s0, s7, 0x7fff7fff
	s_mov_b32 s9, -1
	s_cmp_lg_u32 s0, 0
	s_cselect_b32 s0, -1, 0
	s_delay_alu instid0(SALU_CYCLE_1)
	v_cndmask_b32_e64 v4, 0, 1, s0
	global_store_b8 v[0:1], v4, off
.LBB86_785:
.LBB86_786:
	s_and_not1_b32 vcc_lo, exec_lo, s9
	s_cbranch_vccnz .LBB86_679
.LBB86_787:
	v_add_nc_u32_e32 v0, s6, v3
	v_cmp_gt_i16_e32 vcc_lo, 11, v2
	s_delay_alu instid0(VALU_DEP_2) | instskip(SKIP_1) | instid1(VALU_DEP_1)
	v_ashrrev_i32_e32 v1, 31, v0
	v_add_co_u32 v0, s0, s4, v0
	v_add_co_ci_u32_e64 v1, s0, s5, v1, s0
	s_cbranch_vccnz .LBB86_816
; %bb.788:
	v_cmp_lt_i16_e32 vcc_lo, 25, v2
	s_mov_b32 s5, -1
	s_mov_b32 s4, 0
	s_mov_b32 s0, 0
	s_cbranch_vccz .LBB86_828
; %bb.789:
	v_cmp_lt_i16_e32 vcc_lo, 28, v2
	s_cbranch_vccz .LBB86_805
; %bb.790:
	v_cmp_lt_i16_e32 vcc_lo, 43, v2
	;; [unrolled: 3-line block ×3, first 2 shown]
	s_cbranch_vccz .LBB86_795
; %bb.792:
	v_cmp_eq_u16_e32 vcc_lo, 46, v2
	s_mov_b32 s0, -1
	s_cbranch_vccz .LBB86_794
; %bb.793:
	v_mov_b32_e32 v3, s7
	s_mov_b32 s0, 0
	global_store_b32 v[0:1], v3, off
.LBB86_794:
	s_mov_b32 s5, 0
.LBB86_795:
	s_delay_alu instid0(SALU_CYCLE_1)
	s_and_b32 vcc_lo, exec_lo, s5
	s_cbranch_vccz .LBB86_800
; %bb.796:
	v_cmp_eq_u16_e32 vcc_lo, 44, v2
	s_mov_b32 s0, -1
	s_cbranch_vccz .LBB86_800
; %bb.797:
	s_lshl_b32 s0, s7, 16
	v_mov_b32_e32 v3, 0xff
	s_bfe_u32 s5, s0, 0x80017
	s_delay_alu instid0(SALU_CYCLE_1)
	s_cmpk_eq_i32 s5, 0xff
	s_cbranch_scc1 .LBB86_799
; %bb.798:
	s_bfe_u32 s6, s7, 0x90007
	s_bitcmp1_b32 s7, 6
	s_cselect_b32 s8, -1, 0
	s_and_b32 s0, s0, 0x3f0000
	s_delay_alu instid0(SALU_CYCLE_1) | instskip(NEXT) | instid1(SALU_CYCLE_1)
	s_or_b32 s0, s5, s0
	s_cmp_lg_u32 s0, 0
	s_cselect_b32 s0, -1, 0
	s_delay_alu instid0(SALU_CYCLE_1) | instskip(NEXT) | instid1(SALU_CYCLE_1)
	s_and_b32 s0, s8, s0
	v_cndmask_b32_e64 v3, 0, 1, s0
	s_delay_alu instid0(VALU_DEP_1)
	v_add_nc_u32_e32 v3, s6, v3
.LBB86_799:
	s_mov_b32 s0, 0
	global_store_b8 v[0:1], v3, off
.LBB86_800:
	s_mov_b32 s5, 0
.LBB86_801:
	s_delay_alu instid0(SALU_CYCLE_1)
	s_and_b32 vcc_lo, exec_lo, s5
	s_cbranch_vccz .LBB86_804
; %bb.802:
	v_cmp_eq_u16_e32 vcc_lo, 29, v2
	s_mov_b32 s0, -1
	s_cbranch_vccz .LBB86_804
; %bb.803:
	s_lshl_b32 s0, s7, 16
	s_delay_alu instid0(SALU_CYCLE_1) | instskip(SKIP_1) | instid1(VALU_DEP_1)
	v_trunc_f32_e32 v3, s0
	s_mov_b32 s0, 0
	v_mul_f32_e32 v4, 0x2f800000, v3
	s_delay_alu instid0(VALU_DEP_1) | instskip(NEXT) | instid1(VALU_DEP_1)
	v_floor_f32_e32 v4, v4
	v_fmamk_f32 v3, v4, 0xcf800000, v3
	v_cvt_u32_f32_e32 v4, v4
	s_delay_alu instid0(VALU_DEP_2)
	v_cvt_u32_f32_e32 v3, v3
	global_store_b64 v[0:1], v[3:4], off
.LBB86_804:
	s_mov_b32 s5, 0
.LBB86_805:
	s_delay_alu instid0(SALU_CYCLE_1)
	s_and_b32 vcc_lo, exec_lo, s5
	s_cbranch_vccz .LBB86_827
; %bb.806:
	v_cmp_gt_i16_e32 vcc_lo, 27, v2
	s_mov_b32 s5, -1
	s_cbranch_vccnz .LBB86_812
; %bb.807:
	v_cmp_lt_i16_e32 vcc_lo, 27, v2
	s_cbranch_vccz .LBB86_809
; %bb.808:
	s_lshl_b32 s5, s7, 16
	s_delay_alu instid0(SALU_CYCLE_1)
	v_cvt_u32_f32_e32 v3, s5
	s_mov_b32 s5, 0
	global_store_b32 v[0:1], v3, off
.LBB86_809:
	s_and_not1_b32 vcc_lo, exec_lo, s5
	s_cbranch_vccnz .LBB86_811
; %bb.810:
	s_lshl_b32 s5, s7, 16
	s_delay_alu instid0(SALU_CYCLE_1)
	v_cvt_u32_f32_e32 v3, s5
	global_store_b16 v[0:1], v3, off
.LBB86_811:
	s_mov_b32 s5, 0
.LBB86_812:
	s_delay_alu instid0(SALU_CYCLE_1)
	s_and_not1_b32 vcc_lo, exec_lo, s5
	s_cbranch_vccnz .LBB86_827
; %bb.813:
	s_lshl_b32 s5, s7, 16
	v_mov_b32_e32 v4, 0x80
	s_and_b32 s6, s5, 0x7fffffff
	s_delay_alu instid0(SALU_CYCLE_1)
	s_cmp_gt_u32 s6, 0x437fffff
	s_cbranch_scc1 .LBB86_826
; %bb.814:
	s_cmp_gt_u32 s6, 0x3bffffff
	s_cbranch_scc0 .LBB86_821
; %bb.815:
	s_bfe_u32 s6, s5, 0x10014
	s_mov_b32 s8, 0
	s_add_i32 s6, s5, s6
	s_delay_alu instid0(SALU_CYCLE_1) | instskip(NEXT) | instid1(SALU_CYCLE_1)
	s_add_i32 s6, s6, 0x487ffff
	s_lshr_b32 s9, s6, 20
	s_mov_b32 s6, -1
	s_branch .LBB86_822
.LBB86_816:
	s_mov_b32 s4, 0
	s_mov_b32 s0, -1
	s_branch .LBB86_680
.LBB86_817:
	s_cbranch_execnz .LBB86_819
; %bb.818:
	s_or_b32 s3, s3, exec_lo
	s_cbranch_execz .LBB86_784
	s_branch .LBB86_785
.LBB86_819:
	s_trap 2
	s_sendmsg_rtn_b32 s0, sendmsg(MSG_RTN_GET_DOORBELL)
	s_mov_b32 ttmp2, m0
	s_waitcnt lgkmcnt(0)
	s_and_b32 s0, s0, 0x3ff
	s_delay_alu instid0(SALU_CYCLE_1) | instskip(NEXT) | instid1(SALU_CYCLE_1)
	s_bitset1_b32 s0, 10
	s_mov_b32 m0, s0
	s_sendmsg sendmsg(MSG_INTERRUPT)
	s_mov_b32 m0, ttmp2
.LBB86_820:                             ; =>This Inner Loop Header: Depth=1
	s_sethalt 5
	s_branch .LBB86_820
.LBB86_821:
	s_mov_b32 s8, -1
	s_mov_b32 s6, 0
                                        ; implicit-def: $sgpr9
.LBB86_822:
	v_mov_b32_e32 v3, s9
	s_and_not1_b32 vcc_lo, exec_lo, s8
                                        ; implicit-def: $sgpr8
	s_cbranch_vccnz .LBB86_824
; %bb.823:
	v_add_f32_e64 v3, 0x46000000, |s5|
	s_mov_b32 s8, 0
	s_delay_alu instid0(VALU_DEP_1) | instskip(NEXT) | instid1(VALU_DEP_1)
	v_and_b32_e32 v3, 0xff, v3
	v_cmp_ne_u32_e64 s6, 0, v3
.LBB86_824:
	v_mov_b32_e32 v4, s8
	s_delay_alu instid0(VALU_DEP_2)
	s_and_not1_b32 vcc_lo, exec_lo, s6
	s_cbranch_vccnz .LBB86_826
; %bb.825:
	s_lshr_b32 s5, s5, 24
	s_delay_alu instid0(SALU_CYCLE_1) | instskip(NEXT) | instid1(SALU_CYCLE_1)
	s_and_b32 s5, s5, 0x80
	v_or_b32_e32 v4, s5, v3
.LBB86_826:
	global_store_b8 v[0:1], v4, off
.LBB86_827:
	s_mov_b32 s5, 0
.LBB86_828:
	s_delay_alu instid0(SALU_CYCLE_1)
	s_and_b32 vcc_lo, exec_lo, s5
	s_cbranch_vccz .LBB86_926
; %bb.829:
	v_cmp_lt_i16_e32 vcc_lo, 22, v2
	s_mov_b32 s4, -1
	s_cbranch_vccz .LBB86_919
; %bb.830:
	v_cmp_gt_i16_e32 vcc_lo, 24, v2
	s_cbranch_vccnz .LBB86_906
; %bb.831:
	v_cmp_lt_i16_e32 vcc_lo, 24, v2
	s_cbranch_vccz .LBB86_893
; %bb.832:
	s_lshl_b32 s4, s7, 16
	v_mov_b32_e32 v4, 0x80
	s_and_b32 s5, s4, 0x7fffffff
	s_delay_alu instid0(SALU_CYCLE_1)
	s_cmp_gt_u32 s5, 0x477fffff
	s_cbranch_scc1 .LBB86_892
; %bb.833:
	s_cmp_gt_u32 s5, 0x37ffffff
	s_cbranch_scc0 .LBB86_887
; %bb.834:
	s_bfe_u32 s5, s4, 0x10015
	s_mov_b32 s6, 0
	s_add_i32 s5, s4, s5
	s_delay_alu instid0(SALU_CYCLE_1) | instskip(NEXT) | instid1(SALU_CYCLE_1)
	s_add_i32 s5, s5, 0x88fffff
	s_lshr_b32 s8, s5, 21
	s_mov_b32 s5, -1
	s_branch .LBB86_888
.LBB86_835:
	s_mov_b32 s40, 0
.LBB86_836:
	s_delay_alu instid0(SALU_CYCLE_1)
	s_and_b32 vcc_lo, exec_lo, s40
	s_cbranch_vccz .LBB86_839
; %bb.837:
	v_cmp_eq_u16_e32 vcc_lo, 44, v17
	s_mov_b32 s0, -1
	s_cbranch_vccz .LBB86_839
; %bb.838:
	v_cndmask_b32_e64 v15, v16, 0xff, s31
	s_mov_b32 s0, 0
	s_mov_b32 s40, 0
	global_store_b8 v[8:9], v15, off
	s_branch .LBB86_840
.LBB86_839:
	s_mov_b32 s40, 0
.LBB86_840:
	s_delay_alu instid0(SALU_CYCLE_1)
	s_and_b32 vcc_lo, exec_lo, s40
	s_cbranch_vccz .LBB86_843
; %bb.841:
	v_cmp_eq_u16_e32 vcc_lo, 29, v17
	s_mov_b32 s0, -1
	s_cbranch_vccz .LBB86_843
; %bb.842:
	s_mov_b32 s0, 0
	global_store_b64 v[8:9], v[6:7], off
.LBB86_843:
	s_mov_b32 s40, 0
.LBB86_844:
	s_delay_alu instid0(SALU_CYCLE_1)
	s_and_b32 vcc_lo, exec_lo, s40
	s_cbranch_vccz .LBB86_856
; %bb.845:
	v_cmp_gt_i16_e32 vcc_lo, 27, v17
	s_mov_b32 s31, -1
	s_cbranch_vccnz .LBB86_851
; %bb.846:
	v_cmp_lt_i16_e32 vcc_lo, 27, v17
	s_cbranch_vccz .LBB86_848
; %bb.847:
	s_mov_b32 s31, 0
	global_store_b32 v[8:9], v14, off
.LBB86_848:
	s_and_not1_b32 vcc_lo, exec_lo, s31
	s_cbranch_vccnz .LBB86_850
; %bb.849:
	global_store_b16 v[8:9], v14, off
.LBB86_850:
	s_mov_b32 s31, 0
.LBB86_851:
	s_delay_alu instid0(SALU_CYCLE_1)
	s_and_not1_b32 vcc_lo, exec_lo, s31
	s_cbranch_vccnz .LBB86_856
; %bb.852:
	s_and_not1_b32 vcc_lo, exec_lo, s29
	s_movk_i32 s29, 0x80
	s_cbranch_vccnz .LBB86_855
; %bb.853:
	s_or_b32 s29, s27, s30
	s_delay_alu instid0(SALU_CYCLE_1)
	s_and_not1_b32 vcc_lo, exec_lo, s29
	s_mov_b32 s29, 0
	s_cbranch_vccnz .LBB86_855
; %bb.854:
	s_and_b32 s27, s27, exec_lo
	s_cselect_b32 s26, s28, s26
	s_delay_alu instid0(SALU_CYCLE_1)
	s_or_b32 s29, s26, s10
.LBB86_855:
	s_delay_alu instid0(SALU_CYCLE_1)
	v_mov_b32_e32 v6, s29
	global_store_b8 v[8:9], v6, off
.LBB86_856:
	s_mov_b32 s40, 0
.LBB86_857:
	s_delay_alu instid0(SALU_CYCLE_1)
	s_and_b32 vcc_lo, exec_lo, s40
	s_mov_b32 s26, 0
	s_cbranch_vccz .LBB86_878
; %bb.858:
	v_cmp_lt_i16_e32 vcc_lo, 22, v17
	s_mov_b32 s27, -1
	s_cbranch_vccz .LBB86_871
; %bb.859:
	v_cmp_gt_i16_e32 vcc_lo, 24, v17
	s_cbranch_vccnz .LBB86_868
; %bb.860:
	v_cmp_lt_i16_e32 vcc_lo, 24, v17
	s_cbranch_vccz .LBB86_865
; %bb.861:
	s_and_not1_b32 vcc_lo, exec_lo, s22
	s_movk_i32 s22, 0x80
	s_cbranch_vccnz .LBB86_864
; %bb.862:
	s_or_b32 s22, s18, s23
	s_delay_alu instid0(SALU_CYCLE_1)
	s_and_not1_b32 vcc_lo, exec_lo, s22
	s_mov_b32 s22, 0
	s_cbranch_vccnz .LBB86_864
; %bb.863:
	s_and_b32 s18, s18, exec_lo
	s_cselect_b32 s17, s20, s17
	s_delay_alu instid0(SALU_CYCLE_1)
	s_or_b32 s22, s17, s10
.LBB86_864:
	s_delay_alu instid0(SALU_CYCLE_1)
	v_mov_b32_e32 v6, s22
	s_mov_b32 s27, 0
	global_store_b8 v[8:9], v6, off
.LBB86_865:
	s_and_b32 vcc_lo, exec_lo, s27
	s_cbranch_vccz .LBB86_867
; %bb.866:
	s_and_b32 s14, s14, exec_lo
	s_cselect_b32 s14, s25, s19
	s_and_b32 s12, s12, exec_lo
	s_cselect_b32 s12, s21, s14
	s_delay_alu instid0(SALU_CYCLE_1) | instskip(NEXT) | instid1(SALU_CYCLE_1)
	s_or_b32 s12, s12, s10
	v_mov_b32_e32 v6, s12
	global_store_b8 v[8:9], v6, off
.LBB86_867:
	s_mov_b32 s27, 0
.LBB86_868:
	s_delay_alu instid0(SALU_CYCLE_1)
	s_and_not1_b32 vcc_lo, exec_lo, s27
	s_cbranch_vccnz .LBB86_870
; %bb.869:
	s_and_b32 s12, s13, exec_lo
	s_cselect_b32 s12, s24, s15
	s_and_b32 s11, s11, exec_lo
	s_cselect_b32 s11, s16, s12
	s_delay_alu instid0(SALU_CYCLE_1) | instskip(NEXT) | instid1(SALU_CYCLE_1)
	s_or_b32 s10, s11, s10
	v_mov_b32_e32 v6, s10
	global_store_b8 v[8:9], v6, off
.LBB86_870:
	s_mov_b32 s27, 0
.LBB86_871:
	s_delay_alu instid0(SALU_CYCLE_1)
	s_and_not1_b32 vcc_lo, exec_lo, s27
	s_mov_b32 s10, 0
	s_cbranch_vccnz .LBB86_879
; %bb.872:
	v_cmp_lt_i16_e32 vcc_lo, 14, v17
	s_mov_b32 s10, -1
	s_cbranch_vccz .LBB86_876
; %bb.873:
	v_cmp_eq_u16_e32 vcc_lo, 15, v17
	s_mov_b32 s0, -1
	s_cbranch_vccz .LBB86_875
; %bb.874:
	v_mov_b32_e32 v6, s7
	s_mov_b32 s0, 0
	global_store_b16 v[8:9], v6, off
.LBB86_875:
	s_mov_b32 s10, 0
.LBB86_876:
	s_delay_alu instid0(SALU_CYCLE_1)
	s_and_b32 vcc_lo, exec_lo, s10
	s_mov_b32 s10, 0
	s_cbranch_vccz .LBB86_879
; %bb.877:
	v_cmp_ne_u16_e32 vcc_lo, 11, v17
	s_and_not1_b32 s0, s0, exec_lo
	s_mov_b32 s10, -1
	s_and_b32 s11, vcc_lo, exec_lo
	s_delay_alu instid0(SALU_CYCLE_1)
	s_or_b32 s0, s0, s11
	s_branch .LBB86_879
.LBB86_878:
	s_mov_b32 s10, 0
.LBB86_879:
	s_and_not1_b32 s11, s39, exec_lo
	s_and_b32 s12, s0, exec_lo
	s_and_b32 s40, s26, exec_lo
	;; [unrolled: 1-line block ×3, first 2 shown]
	s_or_b32 s41, s11, s12
.LBB86_880:
	s_or_b32 exec_lo, exec_lo, s33
	s_delay_alu instid0(SALU_CYCLE_1)
	s_and_not1_b32 s10, s39, exec_lo
	s_and_b32 s11, s41, exec_lo
	s_and_b32 s40, s40, exec_lo
	;; [unrolled: 1-line block ×3, first 2 shown]
	s_or_b32 s39, s10, s11
.LBB86_881:
	s_or_b32 exec_lo, exec_lo, s38
	s_delay_alu instid0(SALU_CYCLE_1)
	s_and_not1_b32 s10, s36, exec_lo
	s_and_b32 s11, s39, exec_lo
	s_and_b32 s38, s40, exec_lo
	;; [unrolled: 1-line block ×3, first 2 shown]
	s_or_b32 s36, s10, s11
.LBB86_882:
	s_or_b32 exec_lo, exec_lo, s37
	s_delay_alu instid0(SALU_CYCLE_1)
	s_and_not1_b32 s10, s34, exec_lo
	s_and_b32 s11, s36, exec_lo
	s_and_b32 s37, s38, exec_lo
	;; [unrolled: 1-line block ×3, first 2 shown]
	s_or_b32 s34, s10, s11
	s_or_b32 exec_lo, exec_lo, s35
	s_mov_b32 s0, 0
	s_and_saveexec_b32 s10, s34
	s_cbranch_execz .LBB86_110
.LBB86_883:
	s_cbranch_execnz .LBB86_885
; %bb.884:
	s_mov_b32 s0, exec_lo
	s_and_not1_b32 s36, s36, exec_lo
	s_or_b32 exec_lo, exec_lo, s10
	s_and_saveexec_b32 s10, s36
	s_delay_alu instid0(SALU_CYCLE_1)
	s_xor_b32 s10, exec_lo, s10
	s_cbranch_execnz .LBB86_111
	s_branch .LBB86_112
.LBB86_885:
	s_trap 2
	s_sendmsg_rtn_b32 s0, sendmsg(MSG_RTN_GET_DOORBELL)
	s_mov_b32 ttmp2, m0
	s_waitcnt lgkmcnt(0)
	s_and_b32 s0, s0, 0x3ff
	s_delay_alu instid0(SALU_CYCLE_1) | instskip(NEXT) | instid1(SALU_CYCLE_1)
	s_bitset1_b32 s0, 10
	s_mov_b32 m0, s0
	s_sendmsg sendmsg(MSG_INTERRUPT)
	s_mov_b32 m0, ttmp2
.LBB86_886:                             ; =>This Inner Loop Header: Depth=1
	s_sethalt 5
	s_branch .LBB86_886
.LBB86_887:
	s_mov_b32 s6, -1
	s_mov_b32 s5, 0
                                        ; implicit-def: $sgpr8
.LBB86_888:
	v_mov_b32_e32 v3, s8
	s_and_not1_b32 vcc_lo, exec_lo, s6
                                        ; implicit-def: $sgpr6
	s_cbranch_vccnz .LBB86_890
; %bb.889:
	v_add_f32_e64 v3, 0x42800000, |s4|
	s_mov_b32 s6, 0
	s_delay_alu instid0(VALU_DEP_1) | instskip(NEXT) | instid1(VALU_DEP_1)
	v_and_b32_e32 v3, 0xff, v3
	v_cmp_ne_u32_e64 s5, 0, v3
.LBB86_890:
	v_mov_b32_e32 v4, s6
	s_delay_alu instid0(VALU_DEP_2)
	s_and_not1_b32 vcc_lo, exec_lo, s5
	s_cbranch_vccnz .LBB86_892
; %bb.891:
	s_lshr_b32 s4, s4, 24
	s_delay_alu instid0(SALU_CYCLE_1) | instskip(NEXT) | instid1(SALU_CYCLE_1)
	s_and_b32 s4, s4, 0x80
	v_or_b32_e32 v4, s4, v3
.LBB86_892:
	s_mov_b32 s4, 0
	global_store_b8 v[0:1], v4, off
.LBB86_893:
	s_and_b32 vcc_lo, exec_lo, s4
	s_cbranch_vccz .LBB86_905
; %bb.894:
	s_lshl_b32 s4, s7, 16
	s_delay_alu instid0(SALU_CYCLE_1) | instskip(NEXT) | instid1(SALU_CYCLE_1)
	s_and_b32 s5, s4, 0x7fffffff
	s_cmp_lt_u32 s5, 0x43f00000
	s_cbranch_scc0 .LBB86_897
; %bb.895:
	s_cmp_gt_u32 s5, 0x3c7fffff
	s_cbranch_scc0 .LBB86_898
; %bb.896:
	s_bfe_u32 s6, s4, 0x10014
	s_delay_alu instid0(SALU_CYCLE_1) | instskip(NEXT) | instid1(SALU_CYCLE_1)
	s_add_i32 s6, s4, s6
	s_add_i32 s6, s6, 0x407ffff
	s_delay_alu instid0(SALU_CYCLE_1)
	s_and_b32 s8, s6, 0xff00000
	s_lshr_b32 s6, s6, 20
	s_cmp_lg_u32 s8, 0x7f00000
	s_cselect_b32 s8, s6, 0x7e
	s_mov_b32 s6, 0
	s_branch .LBB86_899
.LBB86_897:
	s_mov_b32 s6, -1
                                        ; implicit-def: $vgpr3
	s_branch .LBB86_902
.LBB86_898:
	s_mov_b32 s6, -1
                                        ; implicit-def: $sgpr8
.LBB86_899:
	v_mov_b32_e32 v3, s8
	s_and_not1_b32 vcc_lo, exec_lo, s6
	s_cbranch_vccnz .LBB86_901
; %bb.900:
	v_add_f32_e64 v3, 0x46800000, |s4|
.LBB86_901:
	s_mov_b32 s6, 0
.LBB86_902:
	s_delay_alu instid0(SALU_CYCLE_1)
	s_and_not1_b32 vcc_lo, exec_lo, s6
	s_cbranch_vccnz .LBB86_904
; %bb.903:
	s_cmp_gt_u32 s5, 0x7f800000
	s_movk_i32 s5, 0x7f
	s_delay_alu instid0(SALU_CYCLE_1) | instskip(NEXT) | instid1(SALU_CYCLE_1)
	s_cselect_b32 s5, s5, 0x7e
	v_mov_b32_e32 v3, s5
.LBB86_904:
	s_lshr_b32 s4, s4, 24
	s_delay_alu instid0(SALU_CYCLE_1)
	s_and_b32 s4, s4, 0x80
	s_delay_alu instid0(VALU_DEP_1) | instid1(SALU_CYCLE_1)
	v_or_b32_e32 v3, s4, v3
	global_store_b8 v[0:1], v3, off
.LBB86_905:
	s_mov_b32 s4, 0
.LBB86_906:
	s_delay_alu instid0(SALU_CYCLE_1)
	s_and_not1_b32 vcc_lo, exec_lo, s4
	s_cbranch_vccnz .LBB86_918
; %bb.907:
	s_lshl_b32 s4, s7, 16
	s_delay_alu instid0(SALU_CYCLE_1) | instskip(NEXT) | instid1(SALU_CYCLE_1)
	s_and_b32 s5, s4, 0x7fffffff
	s_cmp_lt_u32 s5, 0x47800000
	s_cbranch_scc0 .LBB86_910
; %bb.908:
	s_cmp_gt_u32 s5, 0x387fffff
	s_cbranch_scc0 .LBB86_911
; %bb.909:
	s_bfe_u32 s6, s4, 0x10015
	s_delay_alu instid0(SALU_CYCLE_1) | instskip(NEXT) | instid1(SALU_CYCLE_1)
	s_add_i32 s6, s4, s6
	s_add_i32 s6, s6, 0x80fffff
	s_delay_alu instid0(SALU_CYCLE_1)
	s_lshr_b32 s8, s6, 21
	s_mov_b32 s6, 0
	s_branch .LBB86_912
.LBB86_910:
	s_mov_b32 s6, -1
                                        ; implicit-def: $vgpr3
	s_branch .LBB86_915
.LBB86_911:
	s_mov_b32 s6, -1
                                        ; implicit-def: $sgpr8
.LBB86_912:
	v_mov_b32_e32 v3, s8
	s_and_not1_b32 vcc_lo, exec_lo, s6
	s_cbranch_vccnz .LBB86_914
; %bb.913:
	v_add_f32_e64 v3, 0x43000000, |s4|
.LBB86_914:
	s_mov_b32 s6, 0
.LBB86_915:
	s_delay_alu instid0(SALU_CYCLE_1)
	s_and_not1_b32 vcc_lo, exec_lo, s6
	s_cbranch_vccnz .LBB86_917
; %bb.916:
	s_cmp_gt_u32 s5, 0x7f800000
	s_movk_i32 s5, 0x7f
	s_delay_alu instid0(SALU_CYCLE_1) | instskip(NEXT) | instid1(SALU_CYCLE_1)
	s_cselect_b32 s5, s5, 0x7c
	v_mov_b32_e32 v3, s5
.LBB86_917:
	s_lshr_b32 s4, s4, 24
	s_delay_alu instid0(SALU_CYCLE_1)
	s_and_b32 s4, s4, 0x80
	s_delay_alu instid0(VALU_DEP_1) | instid1(SALU_CYCLE_1)
	v_or_b32_e32 v3, s4, v3
	global_store_b8 v[0:1], v3, off
.LBB86_918:
	s_mov_b32 s4, 0
.LBB86_919:
	s_delay_alu instid0(SALU_CYCLE_1)
	s_and_not1_b32 vcc_lo, exec_lo, s4
	s_mov_b32 s4, 0
	s_cbranch_vccnz .LBB86_926
; %bb.920:
	v_cmp_lt_i16_e32 vcc_lo, 14, v2
	s_mov_b32 s4, -1
	s_cbranch_vccz .LBB86_924
; %bb.921:
	v_cmp_eq_u16_e32 vcc_lo, 15, v2
	s_mov_b32 s0, -1
	s_cbranch_vccz .LBB86_923
; %bb.922:
	v_mov_b32_e32 v3, s7
	s_mov_b32 s0, 0
	global_store_b16 v[0:1], v3, off
.LBB86_923:
	s_mov_b32 s4, 0
.LBB86_924:
	s_delay_alu instid0(SALU_CYCLE_1)
	s_and_b32 vcc_lo, exec_lo, s4
	s_mov_b32 s4, 0
	s_cbranch_vccz .LBB86_926
; %bb.925:
	v_cmp_ne_u16_e64 s0, 11, v2
	s_mov_b32 s4, -1
.LBB86_926:
	s_delay_alu instid0(VALU_DEP_1)
	s_and_b32 vcc_lo, exec_lo, s0
	s_cbranch_vccnz .LBB86_928
.LBB86_927:
	s_mov_b32 s0, 0
	s_branch .LBB86_680
.LBB86_928:
	s_cbranch_execnz .LBB86_930
; %bb.929:
	s_mov_b32 s4, 0
	s_or_b32 s3, s3, exec_lo
	s_branch .LBB86_927
.LBB86_930:
	s_trap 2
	s_sendmsg_rtn_b32 s0, sendmsg(MSG_RTN_GET_DOORBELL)
	s_mov_b32 ttmp2, m0
	s_waitcnt lgkmcnt(0)
	s_and_b32 s0, s0, 0x3ff
	s_delay_alu instid0(SALU_CYCLE_1) | instskip(NEXT) | instid1(SALU_CYCLE_1)
	s_bitset1_b32 s0, 10
	s_mov_b32 m0, s0
	s_sendmsg sendmsg(MSG_INTERRUPT)
	s_mov_b32 m0, ttmp2
.LBB86_931:                             ; =>This Inner Loop Header: Depth=1
	s_sethalt 5
	s_branch .LBB86_931
	.section	.rodata,"a",@progbits
	.p2align	6, 0x0
	.amdhsa_kernel _ZN2at6native32elementwise_kernel_manual_unrollILi128ELi4EZNS0_15gpu_kernel_implINS0_11FillFunctorIN3c107complexINS4_8BFloat16EEEEEEEvRNS_18TensorIteratorBaseERKT_EUlibE_EEviT1_
		.amdhsa_group_segment_fixed_size 0
		.amdhsa_private_segment_fixed_size 0
		.amdhsa_kernarg_size 32
		.amdhsa_user_sgpr_count 15
		.amdhsa_user_sgpr_dispatch_ptr 0
		.amdhsa_user_sgpr_queue_ptr 0
		.amdhsa_user_sgpr_kernarg_segment_ptr 1
		.amdhsa_user_sgpr_dispatch_id 0
		.amdhsa_user_sgpr_private_segment_size 0
		.amdhsa_wavefront_size32 1
		.amdhsa_uses_dynamic_stack 0
		.amdhsa_enable_private_segment 0
		.amdhsa_system_sgpr_workgroup_id_x 1
		.amdhsa_system_sgpr_workgroup_id_y 0
		.amdhsa_system_sgpr_workgroup_id_z 0
		.amdhsa_system_sgpr_workgroup_info 0
		.amdhsa_system_vgpr_workitem_id 0
		.amdhsa_next_free_vgpr 20
		.amdhsa_next_free_sgpr 42
		.amdhsa_reserve_vcc 1
		.amdhsa_float_round_mode_32 0
		.amdhsa_float_round_mode_16_64 0
		.amdhsa_float_denorm_mode_32 3
		.amdhsa_float_denorm_mode_16_64 3
		.amdhsa_dx10_clamp 1
		.amdhsa_ieee_mode 1
		.amdhsa_fp16_overflow 0
		.amdhsa_workgroup_processor_mode 1
		.amdhsa_memory_ordered 1
		.amdhsa_forward_progress 0
		.amdhsa_shared_vgpr_count 0
		.amdhsa_exception_fp_ieee_invalid_op 0
		.amdhsa_exception_fp_denorm_src 0
		.amdhsa_exception_fp_ieee_div_zero 0
		.amdhsa_exception_fp_ieee_overflow 0
		.amdhsa_exception_fp_ieee_underflow 0
		.amdhsa_exception_fp_ieee_inexact 0
		.amdhsa_exception_int_div_zero 0
	.end_amdhsa_kernel
	.section	.text._ZN2at6native32elementwise_kernel_manual_unrollILi128ELi4EZNS0_15gpu_kernel_implINS0_11FillFunctorIN3c107complexINS4_8BFloat16EEEEEEEvRNS_18TensorIteratorBaseERKT_EUlibE_EEviT1_,"axG",@progbits,_ZN2at6native32elementwise_kernel_manual_unrollILi128ELi4EZNS0_15gpu_kernel_implINS0_11FillFunctorIN3c107complexINS4_8BFloat16EEEEEEEvRNS_18TensorIteratorBaseERKT_EUlibE_EEviT1_,comdat
.Lfunc_end86:
	.size	_ZN2at6native32elementwise_kernel_manual_unrollILi128ELi4EZNS0_15gpu_kernel_implINS0_11FillFunctorIN3c107complexINS4_8BFloat16EEEEEEEvRNS_18TensorIteratorBaseERKT_EUlibE_EEviT1_, .Lfunc_end86-_ZN2at6native32elementwise_kernel_manual_unrollILi128ELi4EZNS0_15gpu_kernel_implINS0_11FillFunctorIN3c107complexINS4_8BFloat16EEEEEEEvRNS_18TensorIteratorBaseERKT_EUlibE_EEviT1_
                                        ; -- End function
	.section	.AMDGPU.csdata,"",@progbits
; Kernel info:
; codeLenInByte = 14516
; NumSgprs: 44
; NumVgprs: 20
; ScratchSize: 0
; MemoryBound: 0
; FloatMode: 240
; IeeeMode: 1
; LDSByteSize: 0 bytes/workgroup (compile time only)
; SGPRBlocks: 5
; VGPRBlocks: 2
; NumSGPRsForWavesPerEU: 44
; NumVGPRsForWavesPerEU: 20
; Occupancy: 16
; WaveLimiterHint : 0
; COMPUTE_PGM_RSRC2:SCRATCH_EN: 0
; COMPUTE_PGM_RSRC2:USER_SGPR: 15
; COMPUTE_PGM_RSRC2:TRAP_HANDLER: 0
; COMPUTE_PGM_RSRC2:TGID_X_EN: 1
; COMPUTE_PGM_RSRC2:TGID_Y_EN: 0
; COMPUTE_PGM_RSRC2:TGID_Z_EN: 0
; COMPUTE_PGM_RSRC2:TIDIG_COMP_CNT: 0
	.section	.text._ZN2at6native32elementwise_kernel_manual_unrollILi128ELi4EZNS0_15gpu_kernel_implINS0_11FillFunctorIN3c107complexINS4_8BFloat16EEEEEEEvRNS_18TensorIteratorBaseERKT_EUlibE0_EEviT1_,"axG",@progbits,_ZN2at6native32elementwise_kernel_manual_unrollILi128ELi4EZNS0_15gpu_kernel_implINS0_11FillFunctorIN3c107complexINS4_8BFloat16EEEEEEEvRNS_18TensorIteratorBaseERKT_EUlibE0_EEviT1_,comdat
	.protected	_ZN2at6native32elementwise_kernel_manual_unrollILi128ELi4EZNS0_15gpu_kernel_implINS0_11FillFunctorIN3c107complexINS4_8BFloat16EEEEEEEvRNS_18TensorIteratorBaseERKT_EUlibE0_EEviT1_ ; -- Begin function _ZN2at6native32elementwise_kernel_manual_unrollILi128ELi4EZNS0_15gpu_kernel_implINS0_11FillFunctorIN3c107complexINS4_8BFloat16EEEEEEEvRNS_18TensorIteratorBaseERKT_EUlibE0_EEviT1_
	.globl	_ZN2at6native32elementwise_kernel_manual_unrollILi128ELi4EZNS0_15gpu_kernel_implINS0_11FillFunctorIN3c107complexINS4_8BFloat16EEEEEEEvRNS_18TensorIteratorBaseERKT_EUlibE0_EEviT1_
	.p2align	8
	.type	_ZN2at6native32elementwise_kernel_manual_unrollILi128ELi4EZNS0_15gpu_kernel_implINS0_11FillFunctorIN3c107complexINS4_8BFloat16EEEEEEEvRNS_18TensorIteratorBaseERKT_EUlibE0_EEviT1_,@function
_ZN2at6native32elementwise_kernel_manual_unrollILi128ELi4EZNS0_15gpu_kernel_implINS0_11FillFunctorIN3c107complexINS4_8BFloat16EEEEEEEvRNS_18TensorIteratorBaseERKT_EUlibE0_EEviT1_: ; @_ZN2at6native32elementwise_kernel_manual_unrollILi128ELi4EZNS0_15gpu_kernel_implINS0_11FillFunctorIN3c107complexINS4_8BFloat16EEEEEEEvRNS_18TensorIteratorBaseERKT_EUlibE0_EEviT1_
; %bb.0:
	s_clause 0x1
	s_load_b32 s20, s[0:1], 0x8
	s_load_b32 s51, s[0:1], 0x0
	v_lshl_or_b32 v12, s15, 9, v0
	s_or_b32 s0, s0, 8
	s_mov_b32 s16, -1
	s_mov_b32 s22, 0
	s_mov_b32 s6, 0
	v_or_b32_e32 v4, 0x180, v12
	s_mov_b32 s2, exec_lo
	s_waitcnt lgkmcnt(0)
	s_add_i32 s21, s20, -1
	s_delay_alu instid0(SALU_CYCLE_1)
	s_cmp_gt_u32 s21, 1
	s_cselect_b32 s23, -1, 0
	v_cmpx_le_i32_e64 s51, v4
	s_xor_b32 s24, exec_lo, s2
	s_cbranch_execz .LBB87_159
; %bb.1:
	s_load_b128 s[4:7], s[0:1], 0x108
	s_cmp_lg_u32 s20, 0
	s_mov_b32 s56, 0
	s_cselect_b32 s53, -1, 0
	s_add_u32 s14, s0, 0xc4
	s_addc_u32 s15, s1, 0
	s_min_u32 s52, s21, 15
	s_cmp_gt_u32 s20, 1
	s_mov_b32 s54, 0
	s_cselect_b32 s50, -1, 0
	s_mov_b32 s55, exec_lo
	s_waitcnt lgkmcnt(0)
	s_lshl_b32 s25, s6, 16
	s_bfe_u32 s17, s6, 0x90007
	s_bfe_u32 s2, s25, 0x80017
	s_or_b32 s3, s17, s25
	s_cmpk_eq_i32 s2, 0xff
	v_add_f32_e64 v0, 0x46000000, |s25|
	s_cselect_b32 s49, -1, 0
	s_bitcmp1_b32 s6, 6
	v_trunc_f32_e32 v4, s25
	s_cselect_b32 s2, -1, 0
	s_and_b32 s3, s3, 0x3f00ff
	v_readfirstlane_b32 s44, v0
	s_cmp_lg_u32 s3, 0
	v_add_f32_e64 v0, 0x42800000, |s25|
	s_cselect_b32 s3, -1, 0
	s_and_b32 s8, s25, 0x7fffffff
	s_and_b32 s18, s2, s3
	s_cmp_lt_u32 s8, 0x43800000
	v_readfirstlane_b32 s35, v0
	s_cselect_b32 s47, -1, 0
	s_cmp_gt_u32 s8, 0x3bffffff
	v_mul_f32_e32 v0, 0x2f800000, v4
	s_cselect_b32 s45, -1, 0
	s_bfe_u32 s2, s6, 0x10004
	s_and_b32 s9, s44, 0xff
	s_or_b32 s2, s25, s2
	v_floor_f32_e32 v5, v0
	s_add_i32 s3, s2, 0x487ffff
	v_cvt_f64_f32_e32 v[0:1], s25
	s_lshr_b32 s46, s3, 20
	s_cmp_lg_u32 s9, 0
	v_mul_f32_e64 v7, 0x2f800000, |v4|
	s_cselect_b32 s48, -1, 0
	s_lshr_b32 s3, s6, 8
	v_cndmask_b32_e64 v8, 0, 1, s18
	s_and_b32 s27, s3, 0x80
	s_cmp_gt_u32 s8, 0x477fffff
	v_floor_f32_e32 v9, v7
	s_cselect_b32 s28, -1, 0
	s_cmp_lt_u32 s8, 0x47800000
	v_fmamk_f32 v6, v5, 0xcf800000, v4
	s_cselect_b32 s40, -1, 0
	s_cmp_gt_u32 s8, 0x37ffffff
	v_cvt_u32_f32_e32 v7, v5
	s_cselect_b32 s36, -1, 0
	s_bfe_u32 s3, s6, 0x10005
	s_and_b32 s10, s35, 0xff
	s_or_b32 s3, s25, s3
	v_fma_f32 v5, 0xcf800000, v9, |v4|
	s_add_i32 s9, s3, 0x88fffff
	v_add_nc_u32_e32 v16, s17, v8
	s_lshr_b32 s38, s9, 21
	s_cmp_lg_u32 s10, 0
	v_cvt_f16_f32_e32 v11, s25
	s_cselect_b32 s41, -1, 0
	s_cmp_gt_u32 s8, 0x43efffff
	v_cvt_u32_f32_e32 v5, v5
	s_cselect_b32 s29, -1, 0
	s_cmp_lt_u32 s8, 0x3c800000
	v_ashrrev_i32_e32 v17, 31, v4
	s_cselect_b32 s31, -1, 0
	s_add_i32 s2, s2, 0x407ffff
	v_add_f32_e64 v10, 0x46800000, |s25|
	s_and_b32 s9, s2, 0xff00000
	s_lshr_b32 s2, s2, 20
	s_cmp_lg_u32 s9, 0x7f00000
	s_movk_i32 s9, 0x7f
	s_cselect_b32 s37, s2, 0x7e
	s_cmp_lt_u32 s8, 0x38800000
	s_movk_i32 s2, 0x7c
	s_cselect_b32 s30, -1, 0
	s_add_i32 s3, s3, 0x80fffff
	v_xor_b32_e32 v5, v5, v17
	s_lshr_b32 s33, s3, 21
	s_cmp_gt_u32 s8, 0x7f800000
	v_readfirstlane_b32 s43, v10
	s_cselect_b32 s39, s9, 0x7e
	s_cselect_b32 s34, 0x7f, s2
	s_and_b32 s2, s6, 0x7fff7fff
	s_clause 0x1
	s_load_b128 s[8:11], s[0:1], 0x4
	s_load_b64 s[12:13], s[0:1], 0x14
	s_cmp_lg_u32 s2, 0
	s_load_b64 s[2:3], s[0:1], 0xc4
	s_cselect_b32 s19, -1, 0
	s_and_b32 s26, s6, 0xffff0000
	v_add_f32_e64 v10, 0x43000000, |s25|
	v_cvt_f64_f32_e32 v[2:3], s26
	v_cvt_f16_f32_e32 v8, s26
	v_cvt_u32_f32_e32 v6, v6
	v_cvt_u32_f32_e32 v15, s25
	v_readfirstlane_b32 s42, v10
	v_cndmask_b32_e64 v14, 0, 1, s19
	v_lshlrev_b32_e32 v4, 16, v8
	v_cvt_u32_f32_e32 v8, v9
	v_and_b32_e32 v9, 0xffff, v11
	v_cvt_i32_f32_e32 v10, s25
	s_delay_alu instid0(VALU_DEP_3) | instskip(NEXT) | instid1(VALU_DEP_3)
	v_xor_b32_e32 v8, v8, v17
	v_or_b32_e32 v13, v4, v9
	v_sub_co_u32 v4, vcc_lo, v5, v17
	s_delay_alu instid0(VALU_DEP_3)
	v_sub_co_ci_u32_e32 v5, vcc_lo, v8, v17, vcc_lo
	v_cmpx_gt_i32_e64 s51, v12
	s_cbranch_execz .LBB87_110
; %bb.2:
	s_and_not1_b32 vcc_lo, exec_lo, s23
	s_cbranch_vccnz .LBB87_7
; %bb.3:
	v_mov_b32_e32 v8, 0
	s_and_not1_b32 vcc_lo, exec_lo, s53
	s_cbranch_vccnz .LBB87_12
; %bb.4:
	s_add_i32 s57, s52, 1
	s_cmp_eq_u32 s21, 2
	s_cbranch_scc1 .LBB87_8
; %bb.5:
	v_dual_mov_b32 v8, 0 :: v_dual_mov_b32 v9, v12
	s_and_b32 s54, s57, 28
	s_mov_b32 s58, 0
	s_mov_b64 s[16:17], s[0:1]
	s_mov_b64 s[18:19], s[14:15]
.LBB87_6:                               ; =>This Inner Loop Header: Depth=1
	s_clause 0x1
	s_load_b256 s[60:67], s[16:17], 0x4
	s_load_b128 s[68:71], s[16:17], 0x24
	s_load_b128 s[72:75], s[18:19], 0x0
	s_add_u32 s16, s16, 48
	s_addc_u32 s17, s17, 0
	s_add_i32 s58, s58, 4
	s_add_u32 s18, s18, 16
	s_addc_u32 s19, s19, 0
	s_cmp_lg_u32 s54, s58
	s_waitcnt lgkmcnt(0)
	v_mul_hi_u32 v17, s61, v9
	s_delay_alu instid0(VALU_DEP_1) | instskip(NEXT) | instid1(VALU_DEP_1)
	v_add_nc_u32_e32 v17, v9, v17
	v_lshrrev_b32_e32 v17, s62, v17
	s_delay_alu instid0(VALU_DEP_1) | instskip(SKIP_1) | instid1(VALU_DEP_2)
	v_mul_hi_u32 v18, s64, v17
	v_mul_lo_u32 v21, v17, s60
	v_add_nc_u32_e32 v18, v17, v18
	s_delay_alu instid0(VALU_DEP_2) | instskip(NEXT) | instid1(VALU_DEP_2)
	v_sub_nc_u32_e32 v21, v9, v21
	v_lshrrev_b32_e32 v18, s65, v18
	s_delay_alu instid0(VALU_DEP_2) | instskip(NEXT) | instid1(VALU_DEP_2)
	v_mul_lo_u32 v21, v21, s72
	v_mul_hi_u32 v19, s67, v18
	v_mul_lo_u32 v22, v18, s63
	s_delay_alu instid0(VALU_DEP_2) | instskip(NEXT) | instid1(VALU_DEP_2)
	v_add_nc_u32_e32 v19, v18, v19
	v_sub_nc_u32_e32 v17, v17, v22
	s_delay_alu instid0(VALU_DEP_2) | instskip(NEXT) | instid1(VALU_DEP_2)
	v_lshrrev_b32_e32 v19, s68, v19
	v_mul_lo_u32 v17, v17, s73
	s_delay_alu instid0(VALU_DEP_2) | instskip(NEXT) | instid1(VALU_DEP_2)
	v_mul_hi_u32 v20, s70, v19
	v_add3_u32 v8, v21, v8, v17
	s_delay_alu instid0(VALU_DEP_2) | instskip(NEXT) | instid1(VALU_DEP_1)
	v_add_nc_u32_e32 v20, v19, v20
	v_lshrrev_b32_e32 v9, s71, v20
	v_mul_lo_u32 v20, v19, s66
	s_delay_alu instid0(VALU_DEP_2) | instskip(NEXT) | instid1(VALU_DEP_2)
	v_mul_lo_u32 v23, v9, s69
	v_sub_nc_u32_e32 v18, v18, v20
	s_delay_alu instid0(VALU_DEP_2) | instskip(NEXT) | instid1(VALU_DEP_2)
	v_sub_nc_u32_e32 v19, v19, v23
	v_mul_lo_u32 v18, v18, s74
	s_delay_alu instid0(VALU_DEP_2) | instskip(NEXT) | instid1(VALU_DEP_1)
	v_mul_lo_u32 v19, v19, s75
	v_add3_u32 v8, v18, v8, v19
	s_cbranch_scc1 .LBB87_6
	s_branch .LBB87_9
.LBB87_7:
                                        ; implicit-def: $vgpr8
	s_and_not1_b32 vcc_lo, exec_lo, s16
	s_cbranch_vccz .LBB87_13
	s_branch .LBB87_15
.LBB87_8:
	v_mov_b32_e32 v9, v12
.LBB87_9:
	s_and_b32 s57, s57, 3
	s_delay_alu instid0(SALU_CYCLE_1)
	s_cmp_eq_u32 s57, 0
	s_cbranch_scc1 .LBB87_12
; %bb.10:
	s_lshl_b32 s16, s54, 2
	s_mul_i32 s18, s54, 12
	s_add_u32 s16, s16, s0
	s_addc_u32 s17, s1, 0
	s_add_u32 s16, s16, 0xc4
	s_addc_u32 s17, s17, 0
	;; [unrolled: 2-line block ×3, first 2 shown]
	.p2align	6
.LBB87_11:                              ; =>This Inner Loop Header: Depth=1
	s_clause 0x1
	s_load_b64 s[58:59], s[18:19], 0x4
	s_load_b32 s54, s[18:19], 0xc
	s_add_u32 s18, s18, 12
	s_addc_u32 s19, s19, 0
	s_waitcnt lgkmcnt(0)
	v_mul_hi_u32 v17, s59, v9
	s_load_b32 s59, s[16:17], 0x0
	s_add_u32 s16, s16, 4
	s_addc_u32 s17, s17, 0
	s_add_i32 s57, s57, -1
	s_delay_alu instid0(SALU_CYCLE_1) | instskip(NEXT) | instid1(VALU_DEP_1)
	s_cmp_lg_u32 s57, 0
	v_add_nc_u32_e32 v17, v9, v17
	s_delay_alu instid0(VALU_DEP_1) | instskip(NEXT) | instid1(VALU_DEP_1)
	v_lshrrev_b32_e32 v19, s54, v17
	v_mul_lo_u32 v17, v19, s58
	s_delay_alu instid0(VALU_DEP_1) | instskip(SKIP_1) | instid1(VALU_DEP_1)
	v_sub_nc_u32_e32 v9, v9, v17
	s_waitcnt lgkmcnt(0)
	v_mad_u64_u32 v[17:18], null, v9, s59, v[8:9]
	s_delay_alu instid0(VALU_DEP_1)
	v_dual_mov_b32 v9, v19 :: v_dual_mov_b32 v8, v17
	s_cbranch_scc1 .LBB87_11
.LBB87_12:
	s_cbranch_execnz .LBB87_15
.LBB87_13:
	s_waitcnt lgkmcnt(0)
	v_mul_hi_u32 v8, s9, v12
	s_and_not1_b32 vcc_lo, exec_lo, s50
	s_delay_alu instid0(VALU_DEP_1) | instskip(NEXT) | instid1(VALU_DEP_1)
	v_add_nc_u32_e32 v8, v12, v8
	v_lshrrev_b32_e32 v9, s10, v8
	s_delay_alu instid0(VALU_DEP_1) | instskip(NEXT) | instid1(VALU_DEP_1)
	v_mul_lo_u32 v8, v9, s8
	v_sub_nc_u32_e32 v8, v12, v8
	s_delay_alu instid0(VALU_DEP_1)
	v_mul_lo_u32 v8, v8, s2
	s_cbranch_vccnz .LBB87_15
; %bb.14:
	v_mul_hi_u32 v17, s12, v9
	s_delay_alu instid0(VALU_DEP_1) | instskip(NEXT) | instid1(VALU_DEP_1)
	v_add_nc_u32_e32 v17, v9, v17
	v_lshrrev_b32_e32 v17, s13, v17
	s_delay_alu instid0(VALU_DEP_1) | instskip(NEXT) | instid1(VALU_DEP_1)
	v_mul_lo_u32 v17, v17, s11
	v_sub_nc_u32_e32 v9, v9, v17
	s_delay_alu instid0(VALU_DEP_1) | instskip(NEXT) | instid1(VALU_DEP_1)
	v_mad_u64_u32 v[17:18], null, v9, s3, v[8:9]
	v_mov_b32_e32 v8, v17
.LBB87_15:
	v_and_b32_e64 v17, 0xff, s7
	s_delay_alu instid0(VALU_DEP_2) | instskip(NEXT) | instid1(VALU_DEP_1)
	v_add_co_u32 v8, s17, s4, v8
	v_add_co_ci_u32_e64 v9, null, s5, 0, s17
	s_delay_alu instid0(VALU_DEP_3)
	v_cmp_gt_i16_e32 vcc_lo, 11, v17
	s_mov_b32 s16, 0
	s_mov_b32 s18, -1
	s_mov_b32 s17, 0
	s_cbranch_vccnz .LBB87_69
; %bb.16:
	v_cmp_lt_i16_e32 vcc_lo, 25, v17
	s_cbranch_vccz .LBB87_44
; %bb.17:
	v_cmp_lt_i16_e32 vcc_lo, 28, v17
	s_cbranch_vccz .LBB87_30
	;; [unrolled: 3-line block ×4, first 2 shown]
; %bb.20:
	v_cmp_eq_u16_e32 vcc_lo, 46, v17
	s_mov_b32 s18, 0
	s_mov_b32 s16, -1
	s_cbranch_vccz .LBB87_22
; %bb.21:
	v_mov_b32_e32 v18, s6
	s_mov_b32 s17, -1
	s_mov_b32 s16, 0
	global_store_b32 v[8:9], v18, off
.LBB87_22:
	s_and_b32 vcc_lo, exec_lo, s18
	s_cbranch_vccz .LBB87_25
; %bb.23:
	v_cmp_eq_u16_e32 vcc_lo, 44, v17
	s_mov_b32 s16, -1
	s_cbranch_vccz .LBB87_25
; %bb.24:
	v_cndmask_b32_e64 v18, v16, 0xff, s49
	s_mov_b32 s17, -1
	s_mov_b32 s16, 0
	global_store_b8 v[8:9], v18, off
.LBB87_25:
	s_mov_b32 s18, 0
.LBB87_26:
	s_delay_alu instid0(SALU_CYCLE_1)
	s_and_b32 vcc_lo, exec_lo, s18
	s_cbranch_vccz .LBB87_29
; %bb.27:
	v_cmp_eq_u16_e32 vcc_lo, 29, v17
	s_mov_b32 s16, -1
	s_cbranch_vccz .LBB87_29
; %bb.28:
	s_mov_b32 s17, -1
	s_mov_b32 s16, 0
	global_store_b64 v[8:9], v[6:7], off
.LBB87_29:
	s_mov_b32 s18, 0
.LBB87_30:
	s_delay_alu instid0(SALU_CYCLE_1)
	s_and_b32 vcc_lo, exec_lo, s18
	s_cbranch_vccz .LBB87_43
; %bb.31:
	v_cmp_gt_i16_e32 vcc_lo, 27, v17
	s_mov_b32 s17, -1
	s_cbranch_vccnz .LBB87_37
; %bb.32:
	v_cmp_lt_i16_e32 vcc_lo, 27, v17
	s_cbranch_vccz .LBB87_34
; %bb.33:
	s_mov_b32 s17, 0
	global_store_b32 v[8:9], v15, off
.LBB87_34:
	s_and_not1_b32 vcc_lo, exec_lo, s17
	s_cbranch_vccnz .LBB87_36
; %bb.35:
	global_store_b16 v[8:9], v15, off
.LBB87_36:
	s_mov_b32 s17, 0
.LBB87_37:
	s_delay_alu instid0(SALU_CYCLE_1)
	s_and_not1_b32 vcc_lo, exec_lo, s17
	s_cbranch_vccnz .LBB87_42
; %bb.38:
	s_and_not1_b32 vcc_lo, exec_lo, s47
	s_movk_i32 s17, 0x80
	s_cbranch_vccnz .LBB87_41
; %bb.39:
	s_or_b32 s17, s45, s48
	s_delay_alu instid0(SALU_CYCLE_1)
	s_and_not1_b32 vcc_lo, exec_lo, s17
	s_mov_b32 s17, 0
	s_cbranch_vccnz .LBB87_41
; %bb.40:
	s_and_b32 s17, s45, exec_lo
	s_cselect_b32 s17, s46, s44
	s_delay_alu instid0(SALU_CYCLE_1)
	s_or_b32 s17, s17, s27
.LBB87_41:
	s_delay_alu instid0(SALU_CYCLE_1)
	v_mov_b32_e32 v18, s17
	global_store_b8 v[8:9], v18, off
.LBB87_42:
	s_mov_b32 s17, -1
.LBB87_43:
	s_mov_b32 s18, 0
.LBB87_44:
	s_delay_alu instid0(SALU_CYCLE_1)
	s_and_b32 vcc_lo, exec_lo, s18
	s_cbranch_vccz .LBB87_66
; %bb.45:
	v_cmp_lt_i16_e32 vcc_lo, 22, v17
	s_mov_b32 s18, -1
	s_cbranch_vccz .LBB87_58
; %bb.46:
	v_cmp_gt_i16_e32 vcc_lo, 24, v17
	s_mov_b32 s17, -1
	s_cbranch_vccnz .LBB87_55
; %bb.47:
	v_cmp_lt_i16_e32 vcc_lo, 24, v17
	s_cbranch_vccz .LBB87_52
; %bb.48:
	s_and_not1_b32 vcc_lo, exec_lo, s40
	s_movk_i32 s17, 0x80
	s_cbranch_vccnz .LBB87_51
; %bb.49:
	s_or_b32 s17, s36, s41
	s_delay_alu instid0(SALU_CYCLE_1)
	s_and_not1_b32 vcc_lo, exec_lo, s17
	s_mov_b32 s17, 0
	s_cbranch_vccnz .LBB87_51
; %bb.50:
	s_and_b32 s17, s36, exec_lo
	s_cselect_b32 s17, s38, s35
	s_delay_alu instid0(SALU_CYCLE_1)
	s_or_b32 s17, s17, s27
.LBB87_51:
	s_delay_alu instid0(SALU_CYCLE_1)
	v_mov_b32_e32 v18, s17
	s_mov_b32 s17, 0
	global_store_b8 v[8:9], v18, off
.LBB87_52:
	s_and_b32 vcc_lo, exec_lo, s17
	s_cbranch_vccz .LBB87_54
; %bb.53:
	s_and_b32 s17, s31, exec_lo
	s_cselect_b32 s17, s43, s37
	s_and_b32 s18, s29, exec_lo
	s_cselect_b32 s17, s39, s17
	s_delay_alu instid0(SALU_CYCLE_1) | instskip(NEXT) | instid1(SALU_CYCLE_1)
	s_or_b32 s17, s17, s27
	v_mov_b32_e32 v18, s17
	global_store_b8 v[8:9], v18, off
.LBB87_54:
	s_mov_b32 s17, 0
.LBB87_55:
	s_delay_alu instid0(SALU_CYCLE_1)
	s_and_not1_b32 vcc_lo, exec_lo, s17
	s_cbranch_vccnz .LBB87_57
; %bb.56:
	s_and_b32 s17, s30, exec_lo
	s_cselect_b32 s17, s42, s33
	s_and_b32 s18, s28, exec_lo
	s_cselect_b32 s17, s34, s17
	s_delay_alu instid0(SALU_CYCLE_1) | instskip(NEXT) | instid1(SALU_CYCLE_1)
	s_or_b32 s17, s17, s27
	v_mov_b32_e32 v18, s17
	global_store_b8 v[8:9], v18, off
.LBB87_57:
	s_mov_b32 s18, 0
	s_mov_b32 s17, -1
.LBB87_58:
	s_and_not1_b32 vcc_lo, exec_lo, s18
	s_cbranch_vccnz .LBB87_66
; %bb.59:
	v_cmp_lt_i16_e32 vcc_lo, 14, v17
	s_mov_b32 s18, -1
	s_cbranch_vccz .LBB87_63
; %bb.60:
	v_cmp_eq_u16_e32 vcc_lo, 15, v17
	s_mov_b32 s16, -1
	s_cbranch_vccz .LBB87_62
; %bb.61:
	v_mov_b32_e32 v18, s6
	s_mov_b32 s17, -1
	s_mov_b32 s16, 0
	global_store_b16 v[8:9], v18, off
.LBB87_62:
	s_mov_b32 s18, 0
.LBB87_63:
	s_delay_alu instid0(SALU_CYCLE_1)
	s_and_b32 vcc_lo, exec_lo, s18
	s_cbranch_vccz .LBB87_66
; %bb.64:
	v_cmp_eq_u16_e32 vcc_lo, 11, v17
	s_mov_b32 s16, -1
	s_cbranch_vccz .LBB87_66
; %bb.65:
	s_mov_b32 s17, -1
	s_mov_b32 s16, 0
	global_store_b8 v[8:9], v14, off
.LBB87_66:
.LBB87_67:
	s_and_not1_b32 vcc_lo, exec_lo, s17
	s_cbranch_vccnz .LBB87_108
.LBB87_68:
	v_add_nc_u32_e32 v12, 0x80, v12
	s_mov_b32 s17, -1
	s_branch .LBB87_109
.LBB87_69:
	s_and_b32 vcc_lo, exec_lo, s18
	s_cbranch_vccz .LBB87_67
; %bb.70:
	v_cmp_gt_i16_e32 vcc_lo, 5, v17
	s_mov_b32 s17, -1
	s_cbranch_vccnz .LBB87_91
; %bb.71:
	v_cmp_gt_i16_e32 vcc_lo, 8, v17
	s_cbranch_vccnz .LBB87_81
; %bb.72:
	v_cmp_gt_i16_e32 vcc_lo, 9, v17
	s_cbranch_vccnz .LBB87_78
; %bb.73:
	v_cmp_lt_i16_e32 vcc_lo, 9, v17
	s_cbranch_vccz .LBB87_75
; %bb.74:
	s_mov_b32 s17, 0
	global_store_b128 v[8:9], v[0:3], off
.LBB87_75:
	s_and_not1_b32 vcc_lo, exec_lo, s17
	s_cbranch_vccnz .LBB87_77
; %bb.76:
	v_dual_mov_b32 v18, s25 :: v_dual_mov_b32 v19, s26
	global_store_b64 v[8:9], v[18:19], off
.LBB87_77:
	s_mov_b32 s17, 0
.LBB87_78:
	s_delay_alu instid0(SALU_CYCLE_1)
	s_and_not1_b32 vcc_lo, exec_lo, s17
	s_cbranch_vccnz .LBB87_80
; %bb.79:
	global_store_b32 v[8:9], v13, off
.LBB87_80:
	s_mov_b32 s17, 0
.LBB87_81:
	s_delay_alu instid0(SALU_CYCLE_1)
	s_and_not1_b32 vcc_lo, exec_lo, s17
	s_cbranch_vccnz .LBB87_90
; %bb.82:
	v_cmp_gt_i16_e32 vcc_lo, 6, v17
	s_mov_b32 s17, -1
	s_cbranch_vccnz .LBB87_88
; %bb.83:
	v_cmp_lt_i16_e32 vcc_lo, 6, v17
	s_cbranch_vccz .LBB87_85
; %bb.84:
	s_mov_b32 s17, 0
	global_store_b64 v[8:9], v[0:1], off
.LBB87_85:
	s_and_not1_b32 vcc_lo, exec_lo, s17
	s_cbranch_vccnz .LBB87_87
; %bb.86:
	v_mov_b32_e32 v18, s25
	global_store_b32 v[8:9], v18, off
.LBB87_87:
	s_mov_b32 s17, 0
.LBB87_88:
	s_delay_alu instid0(SALU_CYCLE_1)
	s_and_not1_b32 vcc_lo, exec_lo, s17
	s_cbranch_vccnz .LBB87_90
; %bb.89:
	global_store_b16 v[8:9], v11, off
.LBB87_90:
	s_mov_b32 s17, 0
.LBB87_91:
	s_delay_alu instid0(SALU_CYCLE_1)
	s_and_not1_b32 vcc_lo, exec_lo, s17
	s_cbranch_vccnz .LBB87_107
; %bb.92:
	v_cmp_gt_i16_e32 vcc_lo, 2, v17
	s_mov_b32 s17, -1
	s_cbranch_vccnz .LBB87_102
; %bb.93:
	v_cmp_gt_i16_e32 vcc_lo, 3, v17
	s_cbranch_vccnz .LBB87_99
; %bb.94:
	v_cmp_lt_i16_e32 vcc_lo, 3, v17
	s_cbranch_vccz .LBB87_96
; %bb.95:
	s_mov_b32 s17, 0
	global_store_b64 v[8:9], v[4:5], off
.LBB87_96:
	s_and_not1_b32 vcc_lo, exec_lo, s17
	s_cbranch_vccnz .LBB87_98
; %bb.97:
	global_store_b32 v[8:9], v10, off
.LBB87_98:
	s_mov_b32 s17, 0
.LBB87_99:
	s_delay_alu instid0(SALU_CYCLE_1)
	s_and_not1_b32 vcc_lo, exec_lo, s17
	s_cbranch_vccnz .LBB87_101
; %bb.100:
	global_store_b16 v[8:9], v10, off
.LBB87_101:
	s_mov_b32 s17, 0
.LBB87_102:
	s_delay_alu instid0(SALU_CYCLE_1)
	s_and_not1_b32 vcc_lo, exec_lo, s17
	s_cbranch_vccnz .LBB87_107
; %bb.103:
	v_cmp_lt_i16_e32 vcc_lo, 0, v17
	s_mov_b32 s17, -1
	s_cbranch_vccz .LBB87_105
; %bb.104:
	s_mov_b32 s17, 0
	global_store_b8 v[8:9], v10, off
.LBB87_105:
	s_and_not1_b32 vcc_lo, exec_lo, s17
	s_cbranch_vccnz .LBB87_107
; %bb.106:
	global_store_b8 v[8:9], v4, off
.LBB87_107:
	s_branch .LBB87_68
.LBB87_108:
	s_mov_b32 s17, 0
                                        ; implicit-def: $vgpr12
.LBB87_109:
	s_and_b32 s54, s16, exec_lo
	s_or_not1_b32 s16, s17, exec_lo
.LBB87_110:
	s_or_b32 exec_lo, exec_lo, s55
	s_mov_b32 s17, 0
                                        ; implicit-def: $vgpr17
                                        ; implicit-def: $vgpr8_vgpr9
	s_and_saveexec_b32 s55, s16
	s_cbranch_execz .LBB87_117
; %bb.111:
	s_mov_b32 s18, -1
	s_mov_b32 s56, s54
	s_mov_b32 s57, exec_lo
	v_cmpx_gt_i32_e64 s51, v12
	s_cbranch_execz .LBB87_364
; %bb.112:
	s_and_not1_b32 vcc_lo, exec_lo, s23
	s_cbranch_vccnz .LBB87_219
; %bb.113:
	v_mov_b32_e32 v8, 0
	s_and_not1_b32 vcc_lo, exec_lo, s53
	s_cbranch_vccnz .LBB87_226
; %bb.114:
	s_add_i32 s58, s52, 1
	s_cmp_eq_u32 s21, 2
	s_mov_b32 s56, 0
	s_cbranch_scc1 .LBB87_222
; %bb.115:
	v_dual_mov_b32 v8, 0 :: v_dual_mov_b32 v9, v12
	s_and_b32 s56, s58, 28
	s_mov_b32 s59, 0
	s_mov_b64 s[16:17], s[0:1]
	s_mov_b64 s[18:19], s[14:15]
.LBB87_116:                             ; =>This Inner Loop Header: Depth=1
	s_clause 0x1
	s_load_b256 s[60:67], s[16:17], 0x4
	s_load_b128 s[68:71], s[16:17], 0x24
	s_load_b128 s[72:75], s[18:19], 0x0
	s_add_u32 s16, s16, 48
	s_addc_u32 s17, s17, 0
	s_add_i32 s59, s59, 4
	s_add_u32 s18, s18, 16
	s_addc_u32 s19, s19, 0
	s_cmp_eq_u32 s56, s59
	s_waitcnt lgkmcnt(0)
	v_mul_hi_u32 v17, s61, v9
	s_delay_alu instid0(VALU_DEP_1) | instskip(NEXT) | instid1(VALU_DEP_1)
	v_add_nc_u32_e32 v17, v9, v17
	v_lshrrev_b32_e32 v17, s62, v17
	s_delay_alu instid0(VALU_DEP_1) | instskip(SKIP_1) | instid1(VALU_DEP_2)
	v_mul_hi_u32 v18, s64, v17
	v_mul_lo_u32 v21, v17, s60
	v_add_nc_u32_e32 v18, v17, v18
	s_delay_alu instid0(VALU_DEP_2) | instskip(NEXT) | instid1(VALU_DEP_2)
	v_sub_nc_u32_e32 v21, v9, v21
	v_lshrrev_b32_e32 v18, s65, v18
	s_delay_alu instid0(VALU_DEP_2) | instskip(NEXT) | instid1(VALU_DEP_2)
	v_mul_lo_u32 v21, v21, s72
	v_mul_hi_u32 v19, s67, v18
	v_mul_lo_u32 v22, v18, s63
	s_delay_alu instid0(VALU_DEP_2) | instskip(NEXT) | instid1(VALU_DEP_2)
	v_add_nc_u32_e32 v19, v18, v19
	v_sub_nc_u32_e32 v17, v17, v22
	s_delay_alu instid0(VALU_DEP_2) | instskip(NEXT) | instid1(VALU_DEP_2)
	v_lshrrev_b32_e32 v19, s68, v19
	v_mul_lo_u32 v17, v17, s73
	s_delay_alu instid0(VALU_DEP_2) | instskip(NEXT) | instid1(VALU_DEP_2)
	v_mul_hi_u32 v20, s70, v19
	v_add3_u32 v8, v21, v8, v17
	s_delay_alu instid0(VALU_DEP_2) | instskip(NEXT) | instid1(VALU_DEP_1)
	v_add_nc_u32_e32 v20, v19, v20
	v_lshrrev_b32_e32 v9, s71, v20
	v_mul_lo_u32 v20, v19, s66
	s_delay_alu instid0(VALU_DEP_2) | instskip(NEXT) | instid1(VALU_DEP_2)
	v_mul_lo_u32 v23, v9, s69
	v_sub_nc_u32_e32 v18, v18, v20
	s_delay_alu instid0(VALU_DEP_2) | instskip(NEXT) | instid1(VALU_DEP_2)
	v_sub_nc_u32_e32 v19, v19, v23
	v_mul_lo_u32 v18, v18, s74
	s_delay_alu instid0(VALU_DEP_2) | instskip(NEXT) | instid1(VALU_DEP_1)
	v_mul_lo_u32 v19, v19, s75
	v_add3_u32 v8, v18, v8, v19
	s_cbranch_scc0 .LBB87_116
	s_branch .LBB87_223
.LBB87_117:
	s_or_b32 exec_lo, exec_lo, s55
	s_waitcnt lgkmcnt(0)
	s_mov_b32 s2, 0
	s_and_saveexec_b32 s3, s54
	s_cbranch_execnz .LBB87_682
.LBB87_118:
	s_or_b32 exec_lo, exec_lo, s3
	s_and_saveexec_b32 s3, s56
	s_delay_alu instid0(SALU_CYCLE_1)
	s_xor_b32 s3, exec_lo, s3
	s_cbranch_execz .LBB87_120
.LBB87_119:
	global_store_b8 v[8:9], v14, off
.LBB87_120:
	s_or_b32 exec_lo, exec_lo, s3
	s_and_saveexec_b32 s3, s17
	s_delay_alu instid0(SALU_CYCLE_1)
	s_xor_b32 s3, exec_lo, s3
	s_cbranch_execz .LBB87_158
; %bb.121:
	v_cmp_gt_i16_e32 vcc_lo, 5, v17
	s_mov_b32 s4, -1
	s_cbranch_vccnz .LBB87_142
; %bb.122:
	v_cmp_gt_i16_e32 vcc_lo, 8, v17
	s_cbranch_vccnz .LBB87_132
; %bb.123:
	v_cmp_gt_i16_e32 vcc_lo, 9, v17
	s_cbranch_vccnz .LBB87_129
; %bb.124:
	v_cmp_lt_i16_e32 vcc_lo, 9, v17
	s_cbranch_vccz .LBB87_126
; %bb.125:
	s_mov_b32 s4, 0
	global_store_b128 v[8:9], v[0:3], off
.LBB87_126:
	s_and_not1_b32 vcc_lo, exec_lo, s4
	s_cbranch_vccnz .LBB87_128
; %bb.127:
	v_dual_mov_b32 v2, s25 :: v_dual_mov_b32 v3, s26
	global_store_b64 v[8:9], v[2:3], off
.LBB87_128:
	s_mov_b32 s4, 0
.LBB87_129:
	s_delay_alu instid0(SALU_CYCLE_1)
	s_and_not1_b32 vcc_lo, exec_lo, s4
	s_cbranch_vccnz .LBB87_131
; %bb.130:
	global_store_b32 v[8:9], v13, off
.LBB87_131:
	s_mov_b32 s4, 0
.LBB87_132:
	s_delay_alu instid0(SALU_CYCLE_1)
	s_and_not1_b32 vcc_lo, exec_lo, s4
	s_cbranch_vccnz .LBB87_141
; %bb.133:
	v_cmp_gt_i16_e32 vcc_lo, 6, v17
	s_mov_b32 s4, -1
	s_cbranch_vccnz .LBB87_139
; %bb.134:
	v_cmp_lt_i16_e32 vcc_lo, 6, v17
	s_cbranch_vccz .LBB87_136
; %bb.135:
	s_mov_b32 s4, 0
	global_store_b64 v[8:9], v[0:1], off
.LBB87_136:
	s_and_not1_b32 vcc_lo, exec_lo, s4
	s_cbranch_vccnz .LBB87_138
; %bb.137:
	v_mov_b32_e32 v0, s25
	global_store_b32 v[8:9], v0, off
.LBB87_138:
	s_mov_b32 s4, 0
.LBB87_139:
	s_delay_alu instid0(SALU_CYCLE_1)
	s_and_not1_b32 vcc_lo, exec_lo, s4
	s_cbranch_vccnz .LBB87_141
; %bb.140:
	global_store_b16 v[8:9], v11, off
.LBB87_141:
	s_mov_b32 s4, 0
.LBB87_142:
	s_delay_alu instid0(SALU_CYCLE_1)
	s_and_not1_b32 vcc_lo, exec_lo, s4
	s_cbranch_vccnz .LBB87_158
; %bb.143:
	v_cmp_gt_i16_e32 vcc_lo, 2, v17
	s_mov_b32 s4, -1
	s_cbranch_vccnz .LBB87_153
; %bb.144:
	v_cmp_gt_i16_e32 vcc_lo, 3, v17
	s_cbranch_vccnz .LBB87_150
; %bb.145:
	v_cmp_lt_i16_e32 vcc_lo, 3, v17
	s_cbranch_vccz .LBB87_147
; %bb.146:
	s_mov_b32 s4, 0
	global_store_b64 v[8:9], v[4:5], off
.LBB87_147:
	s_and_not1_b32 vcc_lo, exec_lo, s4
	s_cbranch_vccnz .LBB87_149
; %bb.148:
	global_store_b32 v[8:9], v10, off
.LBB87_149:
	s_mov_b32 s4, 0
.LBB87_150:
	s_delay_alu instid0(SALU_CYCLE_1)
	s_and_not1_b32 vcc_lo, exec_lo, s4
	s_cbranch_vccnz .LBB87_152
; %bb.151:
	global_store_b16 v[8:9], v10, off
.LBB87_152:
	s_mov_b32 s4, 0
.LBB87_153:
	s_delay_alu instid0(SALU_CYCLE_1)
	s_and_not1_b32 vcc_lo, exec_lo, s4
	s_cbranch_vccnz .LBB87_158
; %bb.154:
	v_cmp_lt_i16_e32 vcc_lo, 0, v17
	s_mov_b32 s4, -1
	s_cbranch_vccz .LBB87_156
; %bb.155:
	s_mov_b32 s4, 0
	global_store_b8 v[8:9], v10, off
.LBB87_156:
	s_and_not1_b32 vcc_lo, exec_lo, s4
	s_cbranch_vccnz .LBB87_158
; %bb.157:
	global_store_b8 v[8:9], v4, off
.LBB87_158:
	s_or_b32 exec_lo, exec_lo, s3
	s_delay_alu instid0(SALU_CYCLE_1)
	s_and_b32 s6, s2, exec_lo
                                        ; implicit-def: $vgpr4
                                        ; implicit-def: $vgpr12
.LBB87_159:
	s_or_saveexec_b32 s7, s24
	s_mov_b32 s8, 0
                                        ; implicit-def: $sgpr3
                                        ; implicit-def: $vgpr0_vgpr1
                                        ; implicit-def: $sgpr2
	s_xor_b32 exec_lo, exec_lo, s7
	s_cbranch_execz .LBB87_912
; %bb.160:
	v_cndmask_b32_e64 v0, 0, 1, s23
	s_and_not1_b32 vcc_lo, exec_lo, s23
	s_cbranch_vccnz .LBB87_166
; %bb.161:
	v_mov_b32_e32 v3, 0
	s_cmp_eq_u32 s20, 0
	s_cbranch_scc1 .LBB87_170
; %bb.162:
	s_min_u32 s9, s21, 15
	v_mov_b32_e32 v3, 0
	s_add_i32 s9, s9, 1
	s_cmp_eq_u32 s21, 2
	s_mov_b32 s10, 0
	s_cbranch_scc1 .LBB87_167
; %bb.163:
	v_mov_b32_e32 v3, 0
	v_mov_b32_e32 v1, v12
	s_add_u32 s2, s0, 0xc4
	s_addc_u32 s3, s1, 0
	s_and_b32 s10, s9, 28
	s_mov_b32 s11, 0
	s_mov_b64 s[4:5], s[0:1]
.LBB87_164:                             ; =>This Inner Loop Header: Depth=1
	s_clause 0x1
	s_load_b256 s[12:19], s[4:5], 0x4
	s_load_b128 s[24:27], s[4:5], 0x24
	s_load_b128 s[28:31], s[2:3], 0x0
	s_add_u32 s4, s4, 48
	s_addc_u32 s5, s5, 0
	s_add_i32 s11, s11, 4
	s_add_u32 s2, s2, 16
	s_addc_u32 s3, s3, 0
	s_cmp_lg_u32 s10, s11
	s_waitcnt lgkmcnt(0)
	v_mul_hi_u32 v2, s13, v1
	s_delay_alu instid0(VALU_DEP_1) | instskip(NEXT) | instid1(VALU_DEP_1)
	v_add_nc_u32_e32 v2, v1, v2
	v_lshrrev_b32_e32 v2, s14, v2
	s_delay_alu instid0(VALU_DEP_1) | instskip(SKIP_1) | instid1(VALU_DEP_2)
	v_mul_hi_u32 v5, s16, v2
	v_mul_lo_u32 v8, v2, s12
	v_add_nc_u32_e32 v5, v2, v5
	s_delay_alu instid0(VALU_DEP_2) | instskip(NEXT) | instid1(VALU_DEP_2)
	v_sub_nc_u32_e32 v8, v1, v8
	v_lshrrev_b32_e32 v5, s17, v5
	s_delay_alu instid0(VALU_DEP_2) | instskip(NEXT) | instid1(VALU_DEP_2)
	v_mul_lo_u32 v8, v8, s28
	v_mul_hi_u32 v6, s19, v5
	v_mul_lo_u32 v9, v5, s15
	s_delay_alu instid0(VALU_DEP_2) | instskip(NEXT) | instid1(VALU_DEP_2)
	v_add_nc_u32_e32 v6, v5, v6
	v_sub_nc_u32_e32 v2, v2, v9
	s_delay_alu instid0(VALU_DEP_2) | instskip(NEXT) | instid1(VALU_DEP_2)
	v_lshrrev_b32_e32 v6, s24, v6
	v_mul_lo_u32 v2, v2, s29
	s_delay_alu instid0(VALU_DEP_2) | instskip(NEXT) | instid1(VALU_DEP_2)
	v_mul_hi_u32 v7, s26, v6
	v_add3_u32 v2, v8, v3, v2
	s_delay_alu instid0(VALU_DEP_2) | instskip(NEXT) | instid1(VALU_DEP_1)
	v_add_nc_u32_e32 v7, v6, v7
	v_lshrrev_b32_e32 v1, s27, v7
	v_mul_lo_u32 v7, v6, s18
	s_delay_alu instid0(VALU_DEP_2) | instskip(NEXT) | instid1(VALU_DEP_2)
	v_mul_lo_u32 v10, v1, s25
	v_sub_nc_u32_e32 v5, v5, v7
	s_delay_alu instid0(VALU_DEP_2) | instskip(NEXT) | instid1(VALU_DEP_2)
	v_sub_nc_u32_e32 v6, v6, v10
	v_mul_lo_u32 v5, v5, s30
	s_delay_alu instid0(VALU_DEP_2) | instskip(NEXT) | instid1(VALU_DEP_1)
	v_mul_lo_u32 v6, v6, s31
	v_add3_u32 v3, v5, v2, v6
	s_cbranch_scc1 .LBB87_164
; %bb.165:
	s_and_b32 s9, s9, 3
	s_delay_alu instid0(SALU_CYCLE_1)
	s_cmp_eq_u32 s9, 0
	s_cbranch_scc0 .LBB87_168
	s_branch .LBB87_170
.LBB87_166:
	s_mov_b32 s8, -1
                                        ; implicit-def: $vgpr3
	s_branch .LBB87_170
.LBB87_167:
	v_mov_b32_e32 v1, v12
	s_and_b32 s9, s9, 3
	s_delay_alu instid0(SALU_CYCLE_1)
	s_cmp_eq_u32 s9, 0
	s_cbranch_scc1 .LBB87_170
.LBB87_168:
	s_lshl_b32 s2, s10, 2
	s_mul_i32 s4, s10, 12
	s_add_u32 s2, s2, s0
	s_addc_u32 s3, 0, s1
	s_add_u32 s2, s2, 0xc4
	s_addc_u32 s3, s3, 0
	;; [unrolled: 2-line block ×3, first 2 shown]
	.p2align	6
.LBB87_169:                             ; =>This Inner Loop Header: Depth=1
	s_clause 0x1
	s_load_b64 s[10:11], s[4:5], 0x4
	s_load_b32 s12, s[4:5], 0xc
	s_add_u32 s4, s4, 12
	s_addc_u32 s5, s5, 0
	s_waitcnt lgkmcnt(0)
	v_mul_hi_u32 v2, s11, v1
	s_load_b32 s11, s[2:3], 0x0
	s_add_u32 s2, s2, 4
	s_addc_u32 s3, s3, 0
	s_add_i32 s9, s9, -1
	s_delay_alu instid0(SALU_CYCLE_1) | instskip(NEXT) | instid1(VALU_DEP_1)
	s_cmp_lg_u32 s9, 0
	v_add_nc_u32_e32 v2, v1, v2
	s_delay_alu instid0(VALU_DEP_1) | instskip(NEXT) | instid1(VALU_DEP_1)
	v_lshrrev_b32_e32 v2, s12, v2
	v_mul_lo_u32 v5, v2, s10
	s_delay_alu instid0(VALU_DEP_1) | instskip(SKIP_1) | instid1(VALU_DEP_1)
	v_sub_nc_u32_e32 v1, v1, v5
	s_waitcnt lgkmcnt(0)
	v_mad_u64_u32 v[5:6], null, v1, s11, v[3:4]
	v_mov_b32_e32 v1, v2
	s_delay_alu instid0(VALU_DEP_2)
	v_mov_b32_e32 v3, v5
	s_cbranch_scc1 .LBB87_169
.LBB87_170:
	s_and_not1_b32 vcc_lo, exec_lo, s8
	s_cbranch_vccnz .LBB87_173
; %bb.171:
	s_clause 0x1
	s_load_b128 s[8:11], s[0:1], 0x4
	s_load_b32 s2, s[0:1], 0xc4
	s_cmp_lt_u32 s20, 2
	s_waitcnt lgkmcnt(0)
	v_mul_hi_u32 v1, s9, v12
	s_delay_alu instid0(VALU_DEP_1) | instskip(NEXT) | instid1(VALU_DEP_1)
	v_add_nc_u32_e32 v1, v12, v1
	v_lshrrev_b32_e32 v1, s10, v1
	s_delay_alu instid0(VALU_DEP_1) | instskip(NEXT) | instid1(VALU_DEP_1)
	v_mul_lo_u32 v2, v1, s8
	v_sub_nc_u32_e32 v2, v12, v2
	s_delay_alu instid0(VALU_DEP_1)
	v_mul_lo_u32 v3, v2, s2
	s_cbranch_scc1 .LBB87_173
; %bb.172:
	s_clause 0x1
	s_load_b128 s[8:11], s[0:1], 0x10
	s_load_b32 s2, s[0:1], 0xc8
	s_waitcnt lgkmcnt(0)
	v_mul_hi_u32 v2, s9, v1
	s_delay_alu instid0(VALU_DEP_1) | instskip(NEXT) | instid1(VALU_DEP_1)
	v_add_nc_u32_e32 v2, v1, v2
	v_lshrrev_b32_e32 v2, s10, v2
	s_delay_alu instid0(VALU_DEP_1) | instskip(NEXT) | instid1(VALU_DEP_1)
	v_mul_lo_u32 v2, v2, s8
	v_sub_nc_u32_e32 v5, v1, v2
	s_delay_alu instid0(VALU_DEP_1) | instskip(NEXT) | instid1(VALU_DEP_1)
	v_mad_u64_u32 v[1:2], null, v5, s2, v[3:4]
	v_mov_b32_e32 v3, v1
.LBB87_173:
	v_cmp_ne_u32_e32 vcc_lo, 1, v0
	v_add_nc_u32_e32 v1, 0x80, v12
	s_cbranch_vccnz .LBB87_179
; %bb.174:
	v_mov_b32_e32 v2, 0
	s_cmp_eq_u32 s20, 0
	s_mov_b32 s8, 0
	s_cbranch_scc1 .LBB87_183
; %bb.175:
	s_min_u32 s9, s21, 15
	v_mov_b32_e32 v2, 0
	s_add_i32 s9, s9, 1
	s_cmp_eq_u32 s21, 2
	s_mov_b32 s10, 0
	s_cbranch_scc1 .LBB87_180
; %bb.176:
	v_dual_mov_b32 v2, 0 :: v_dual_mov_b32 v5, v1
	s_add_u32 s2, s0, 0xc4
	s_addc_u32 s3, s1, 0
	s_and_b32 s10, s9, 28
	s_mov_b32 s11, 0
	s_mov_b64 s[4:5], s[0:1]
.LBB87_177:                             ; =>This Inner Loop Header: Depth=1
	s_clause 0x1
	s_load_b256 s[12:19], s[4:5], 0x4
	s_load_b128 s[24:27], s[4:5], 0x24
	s_load_b128 s[28:31], s[2:3], 0x0
	s_add_u32 s4, s4, 48
	s_addc_u32 s5, s5, 0
	s_add_i32 s11, s11, 4
	s_add_u32 s2, s2, 16
	s_addc_u32 s3, s3, 0
	s_cmp_lg_u32 s10, s11
	s_waitcnt lgkmcnt(0)
	v_mul_hi_u32 v6, s13, v5
	s_delay_alu instid0(VALU_DEP_1) | instskip(NEXT) | instid1(VALU_DEP_1)
	v_add_nc_u32_e32 v6, v5, v6
	v_lshrrev_b32_e32 v6, s14, v6
	s_delay_alu instid0(VALU_DEP_1) | instskip(SKIP_1) | instid1(VALU_DEP_2)
	v_mul_hi_u32 v7, s16, v6
	v_mul_lo_u32 v10, v6, s12
	v_add_nc_u32_e32 v7, v6, v7
	s_delay_alu instid0(VALU_DEP_2) | instskip(NEXT) | instid1(VALU_DEP_2)
	v_sub_nc_u32_e32 v10, v5, v10
	v_lshrrev_b32_e32 v7, s17, v7
	s_delay_alu instid0(VALU_DEP_2) | instskip(NEXT) | instid1(VALU_DEP_2)
	v_mul_lo_u32 v10, v10, s28
	v_mul_hi_u32 v8, s19, v7
	v_mul_lo_u32 v11, v7, s15
	s_delay_alu instid0(VALU_DEP_2) | instskip(NEXT) | instid1(VALU_DEP_2)
	v_add_nc_u32_e32 v8, v7, v8
	v_sub_nc_u32_e32 v6, v6, v11
	s_delay_alu instid0(VALU_DEP_2) | instskip(NEXT) | instid1(VALU_DEP_2)
	v_lshrrev_b32_e32 v8, s24, v8
	v_mul_lo_u32 v6, v6, s29
	s_delay_alu instid0(VALU_DEP_2) | instskip(NEXT) | instid1(VALU_DEP_2)
	v_mul_hi_u32 v9, s26, v8
	v_add3_u32 v2, v10, v2, v6
	s_delay_alu instid0(VALU_DEP_2) | instskip(NEXT) | instid1(VALU_DEP_1)
	v_add_nc_u32_e32 v9, v8, v9
	v_lshrrev_b32_e32 v5, s27, v9
	v_mul_lo_u32 v9, v8, s18
	s_delay_alu instid0(VALU_DEP_2) | instskip(NEXT) | instid1(VALU_DEP_2)
	v_mul_lo_u32 v13, v5, s25
	v_sub_nc_u32_e32 v7, v7, v9
	s_delay_alu instid0(VALU_DEP_2) | instskip(NEXT) | instid1(VALU_DEP_2)
	v_sub_nc_u32_e32 v8, v8, v13
	v_mul_lo_u32 v7, v7, s30
	s_delay_alu instid0(VALU_DEP_2) | instskip(NEXT) | instid1(VALU_DEP_1)
	v_mul_lo_u32 v8, v8, s31
	v_add3_u32 v2, v7, v2, v8
	s_cbranch_scc1 .LBB87_177
; %bb.178:
	s_and_b32 s9, s9, 3
	s_delay_alu instid0(SALU_CYCLE_1)
	s_cmp_eq_u32 s9, 0
	s_cbranch_scc0 .LBB87_181
	s_branch .LBB87_183
.LBB87_179:
	s_mov_b32 s8, -1
                                        ; implicit-def: $vgpr2
	s_branch .LBB87_183
.LBB87_180:
	v_mov_b32_e32 v5, v1
	s_and_b32 s9, s9, 3
	s_delay_alu instid0(SALU_CYCLE_1)
	s_cmp_eq_u32 s9, 0
	s_cbranch_scc1 .LBB87_183
.LBB87_181:
	s_lshl_b32 s2, s10, 2
	s_mul_i32 s4, s10, 12
	s_add_u32 s2, s2, s0
	s_addc_u32 s3, 0, s1
	s_add_u32 s2, s2, 0xc4
	s_addc_u32 s3, s3, 0
	;; [unrolled: 2-line block ×3, first 2 shown]
	.p2align	6
.LBB87_182:                             ; =>This Inner Loop Header: Depth=1
	s_clause 0x1
	s_load_b64 s[10:11], s[4:5], 0x4
	s_load_b32 s12, s[4:5], 0xc
	s_add_u32 s4, s4, 12
	s_addc_u32 s5, s5, 0
	s_waitcnt lgkmcnt(0)
	v_mul_hi_u32 v6, s11, v5
	s_load_b32 s11, s[2:3], 0x0
	s_add_u32 s2, s2, 4
	s_addc_u32 s3, s3, 0
	s_add_i32 s9, s9, -1
	s_delay_alu instid0(SALU_CYCLE_1) | instskip(NEXT) | instid1(VALU_DEP_1)
	s_cmp_lg_u32 s9, 0
	v_add_nc_u32_e32 v6, v5, v6
	s_delay_alu instid0(VALU_DEP_1) | instskip(NEXT) | instid1(VALU_DEP_1)
	v_lshrrev_b32_e32 v8, s12, v6
	v_mul_lo_u32 v6, v8, s10
	s_delay_alu instid0(VALU_DEP_1) | instskip(SKIP_1) | instid1(VALU_DEP_1)
	v_sub_nc_u32_e32 v5, v5, v6
	s_waitcnt lgkmcnt(0)
	v_mad_u64_u32 v[6:7], null, v5, s11, v[2:3]
	s_delay_alu instid0(VALU_DEP_1)
	v_dual_mov_b32 v5, v8 :: v_dual_mov_b32 v2, v6
	s_cbranch_scc1 .LBB87_182
.LBB87_183:
	s_and_not1_b32 vcc_lo, exec_lo, s8
	s_cbranch_vccnz .LBB87_186
; %bb.184:
	s_clause 0x1
	s_load_b128 s[8:11], s[0:1], 0x4
	s_load_b32 s2, s[0:1], 0xc4
	s_cmp_lt_u32 s20, 2
	s_waitcnt lgkmcnt(0)
	v_mul_hi_u32 v2, s9, v1
	s_delay_alu instid0(VALU_DEP_1) | instskip(NEXT) | instid1(VALU_DEP_1)
	v_add_nc_u32_e32 v2, v1, v2
	v_lshrrev_b32_e32 v5, s10, v2
	s_delay_alu instid0(VALU_DEP_1) | instskip(NEXT) | instid1(VALU_DEP_1)
	v_mul_lo_u32 v2, v5, s8
	v_sub_nc_u32_e32 v1, v1, v2
	s_delay_alu instid0(VALU_DEP_1)
	v_mul_lo_u32 v2, v1, s2
	s_cbranch_scc1 .LBB87_186
; %bb.185:
	s_clause 0x1
	s_load_b128 s[8:11], s[0:1], 0x10
	s_load_b32 s2, s[0:1], 0xc8
	s_waitcnt lgkmcnt(0)
	v_mul_hi_u32 v1, s9, v5
	s_delay_alu instid0(VALU_DEP_1) | instskip(NEXT) | instid1(VALU_DEP_1)
	v_add_nc_u32_e32 v1, v5, v1
	v_lshrrev_b32_e32 v1, s10, v1
	s_delay_alu instid0(VALU_DEP_1) | instskip(NEXT) | instid1(VALU_DEP_1)
	v_mul_lo_u32 v1, v1, s8
	v_sub_nc_u32_e32 v1, v5, v1
	s_delay_alu instid0(VALU_DEP_1) | instskip(NEXT) | instid1(VALU_DEP_1)
	v_mad_u64_u32 v[5:6], null, v1, s2, v[2:3]
	v_mov_b32_e32 v2, v5
.LBB87_186:
	v_cmp_ne_u32_e32 vcc_lo, 1, v0
	v_add_nc_u32_e32 v5, 0x100, v12
	s_cbranch_vccnz .LBB87_192
; %bb.187:
	v_mov_b32_e32 v1, 0
	s_cmp_eq_u32 s20, 0
	s_mov_b32 s8, 0
	s_cbranch_scc1 .LBB87_196
; %bb.188:
	s_min_u32 s9, s21, 15
	v_mov_b32_e32 v1, 0
	s_add_i32 s9, s9, 1
	s_cmp_eq_u32 s21, 2
	s_mov_b32 s10, 0
	s_cbranch_scc1 .LBB87_193
; %bb.189:
	v_dual_mov_b32 v1, 0 :: v_dual_mov_b32 v6, v5
	s_add_u32 s2, s0, 0xc4
	s_addc_u32 s3, s1, 0
	s_and_b32 s10, s9, 28
	s_mov_b32 s11, 0
	s_mov_b64 s[4:5], s[0:1]
.LBB87_190:                             ; =>This Inner Loop Header: Depth=1
	s_clause 0x1
	s_load_b256 s[12:19], s[4:5], 0x4
	s_load_b128 s[24:27], s[4:5], 0x24
	s_load_b128 s[28:31], s[2:3], 0x0
	s_add_u32 s4, s4, 48
	s_addc_u32 s5, s5, 0
	s_add_i32 s11, s11, 4
	s_add_u32 s2, s2, 16
	s_addc_u32 s3, s3, 0
	s_cmp_lg_u32 s10, s11
	s_waitcnt lgkmcnt(0)
	v_mul_hi_u32 v7, s13, v6
	s_delay_alu instid0(VALU_DEP_1) | instskip(NEXT) | instid1(VALU_DEP_1)
	v_add_nc_u32_e32 v7, v6, v7
	v_lshrrev_b32_e32 v7, s14, v7
	s_delay_alu instid0(VALU_DEP_1) | instskip(SKIP_1) | instid1(VALU_DEP_2)
	v_mul_hi_u32 v8, s16, v7
	v_mul_lo_u32 v11, v7, s12
	v_add_nc_u32_e32 v8, v7, v8
	s_delay_alu instid0(VALU_DEP_2) | instskip(NEXT) | instid1(VALU_DEP_2)
	v_sub_nc_u32_e32 v11, v6, v11
	v_lshrrev_b32_e32 v8, s17, v8
	s_delay_alu instid0(VALU_DEP_2) | instskip(NEXT) | instid1(VALU_DEP_2)
	v_mul_lo_u32 v11, v11, s28
	v_mul_hi_u32 v9, s19, v8
	v_mul_lo_u32 v12, v8, s15
	s_delay_alu instid0(VALU_DEP_2) | instskip(NEXT) | instid1(VALU_DEP_2)
	v_add_nc_u32_e32 v9, v8, v9
	v_sub_nc_u32_e32 v7, v7, v12
	s_delay_alu instid0(VALU_DEP_2) | instskip(NEXT) | instid1(VALU_DEP_2)
	v_lshrrev_b32_e32 v9, s24, v9
	v_mul_lo_u32 v7, v7, s29
	s_delay_alu instid0(VALU_DEP_2) | instskip(NEXT) | instid1(VALU_DEP_2)
	v_mul_hi_u32 v10, s26, v9
	v_add3_u32 v1, v11, v1, v7
	s_delay_alu instid0(VALU_DEP_2) | instskip(NEXT) | instid1(VALU_DEP_1)
	v_add_nc_u32_e32 v10, v9, v10
	v_lshrrev_b32_e32 v6, s27, v10
	v_mul_lo_u32 v10, v9, s18
	s_delay_alu instid0(VALU_DEP_2) | instskip(NEXT) | instid1(VALU_DEP_2)
	v_mul_lo_u32 v13, v6, s25
	v_sub_nc_u32_e32 v8, v8, v10
	s_delay_alu instid0(VALU_DEP_2) | instskip(NEXT) | instid1(VALU_DEP_2)
	v_sub_nc_u32_e32 v9, v9, v13
	v_mul_lo_u32 v8, v8, s30
	s_delay_alu instid0(VALU_DEP_2) | instskip(NEXT) | instid1(VALU_DEP_1)
	v_mul_lo_u32 v9, v9, s31
	v_add3_u32 v1, v8, v1, v9
	s_cbranch_scc1 .LBB87_190
; %bb.191:
	s_and_b32 s9, s9, 3
	s_delay_alu instid0(SALU_CYCLE_1)
	s_cmp_eq_u32 s9, 0
	s_cbranch_scc0 .LBB87_194
	s_branch .LBB87_196
.LBB87_192:
	s_mov_b32 s8, -1
                                        ; implicit-def: $vgpr1
	s_branch .LBB87_196
.LBB87_193:
	v_mov_b32_e32 v6, v5
	s_and_b32 s9, s9, 3
	s_delay_alu instid0(SALU_CYCLE_1)
	s_cmp_eq_u32 s9, 0
	s_cbranch_scc1 .LBB87_196
.LBB87_194:
	s_lshl_b32 s2, s10, 2
	s_mul_i32 s4, s10, 12
	s_add_u32 s2, s2, s0
	s_addc_u32 s3, 0, s1
	s_add_u32 s2, s2, 0xc4
	s_addc_u32 s3, s3, 0
	;; [unrolled: 2-line block ×3, first 2 shown]
	.p2align	6
.LBB87_195:                             ; =>This Inner Loop Header: Depth=1
	s_clause 0x1
	s_load_b64 s[10:11], s[4:5], 0x4
	s_load_b32 s12, s[4:5], 0xc
	s_add_u32 s4, s4, 12
	s_addc_u32 s5, s5, 0
	s_waitcnt lgkmcnt(0)
	v_mul_hi_u32 v7, s11, v6
	s_load_b32 s11, s[2:3], 0x0
	s_add_u32 s2, s2, 4
	s_addc_u32 s3, s3, 0
	s_add_i32 s9, s9, -1
	s_delay_alu instid0(SALU_CYCLE_1) | instskip(NEXT) | instid1(VALU_DEP_1)
	s_cmp_lg_u32 s9, 0
	v_add_nc_u32_e32 v7, v6, v7
	s_delay_alu instid0(VALU_DEP_1) | instskip(NEXT) | instid1(VALU_DEP_1)
	v_lshrrev_b32_e32 v9, s12, v7
	v_mul_lo_u32 v7, v9, s10
	s_delay_alu instid0(VALU_DEP_1) | instskip(SKIP_1) | instid1(VALU_DEP_1)
	v_sub_nc_u32_e32 v6, v6, v7
	s_waitcnt lgkmcnt(0)
	v_mad_u64_u32 v[7:8], null, v6, s11, v[1:2]
	s_delay_alu instid0(VALU_DEP_1)
	v_dual_mov_b32 v6, v9 :: v_dual_mov_b32 v1, v7
	s_cbranch_scc1 .LBB87_195
.LBB87_196:
	s_and_not1_b32 vcc_lo, exec_lo, s8
	s_cbranch_vccnz .LBB87_199
; %bb.197:
	s_clause 0x1
	s_load_b128 s[8:11], s[0:1], 0x4
	s_load_b32 s2, s[0:1], 0xc4
	s_cmp_lt_u32 s20, 2
	s_waitcnt lgkmcnt(0)
	v_mul_hi_u32 v1, s9, v5
	s_delay_alu instid0(VALU_DEP_1) | instskip(NEXT) | instid1(VALU_DEP_1)
	v_add_nc_u32_e32 v1, v5, v1
	v_lshrrev_b32_e32 v6, s10, v1
	s_delay_alu instid0(VALU_DEP_1) | instskip(NEXT) | instid1(VALU_DEP_1)
	v_mul_lo_u32 v1, v6, s8
	v_sub_nc_u32_e32 v1, v5, v1
	s_delay_alu instid0(VALU_DEP_1)
	v_mul_lo_u32 v1, v1, s2
	s_cbranch_scc1 .LBB87_199
; %bb.198:
	s_clause 0x1
	s_load_b128 s[8:11], s[0:1], 0x10
	s_load_b32 s2, s[0:1], 0xc8
	s_waitcnt lgkmcnt(0)
	v_mul_hi_u32 v5, s9, v6
	s_delay_alu instid0(VALU_DEP_1) | instskip(NEXT) | instid1(VALU_DEP_1)
	v_add_nc_u32_e32 v5, v6, v5
	v_lshrrev_b32_e32 v5, s10, v5
	s_delay_alu instid0(VALU_DEP_1) | instskip(NEXT) | instid1(VALU_DEP_1)
	v_mul_lo_u32 v5, v5, s8
	v_sub_nc_u32_e32 v7, v6, v5
	s_delay_alu instid0(VALU_DEP_1) | instskip(NEXT) | instid1(VALU_DEP_1)
	v_mad_u64_u32 v[5:6], null, v7, s2, v[1:2]
	v_mov_b32_e32 v1, v5
.LBB87_199:
	v_cmp_ne_u32_e32 vcc_lo, 1, v0
	s_cbranch_vccnz .LBB87_205
; %bb.200:
	v_mov_b32_e32 v0, 0
	s_cmp_eq_u32 s20, 0
	s_mov_b32 s8, 0
	s_cbranch_scc1 .LBB87_209
; %bb.201:
	s_min_u32 s9, s21, 15
	v_mov_b32_e32 v0, 0
	s_add_i32 s9, s9, 1
	s_cmp_eq_u32 s21, 2
	s_mov_b32 s10, 0
	s_cbranch_scc1 .LBB87_206
; %bb.202:
	v_dual_mov_b32 v0, 0 :: v_dual_mov_b32 v5, v4
	s_add_u32 s2, s0, 0xc4
	s_addc_u32 s3, s1, 0
	s_and_b32 s10, s9, 28
	s_mov_b32 s11, 0
	s_mov_b64 s[4:5], s[0:1]
.LBB87_203:                             ; =>This Inner Loop Header: Depth=1
	s_clause 0x1
	s_load_b256 s[12:19], s[4:5], 0x4
	s_load_b128 s[24:27], s[4:5], 0x24
	s_load_b128 s[28:31], s[2:3], 0x0
	s_add_u32 s4, s4, 48
	s_addc_u32 s5, s5, 0
	s_add_i32 s11, s11, 4
	s_add_u32 s2, s2, 16
	s_addc_u32 s3, s3, 0
	s_cmp_lg_u32 s10, s11
	s_waitcnt lgkmcnt(0)
	v_mul_hi_u32 v6, s13, v5
	s_delay_alu instid0(VALU_DEP_1) | instskip(NEXT) | instid1(VALU_DEP_1)
	v_add_nc_u32_e32 v6, v5, v6
	v_lshrrev_b32_e32 v6, s14, v6
	s_delay_alu instid0(VALU_DEP_1) | instskip(SKIP_1) | instid1(VALU_DEP_2)
	v_mul_hi_u32 v7, s16, v6
	v_mul_lo_u32 v10, v6, s12
	v_add_nc_u32_e32 v7, v6, v7
	s_delay_alu instid0(VALU_DEP_2) | instskip(NEXT) | instid1(VALU_DEP_2)
	v_sub_nc_u32_e32 v10, v5, v10
	v_lshrrev_b32_e32 v7, s17, v7
	s_delay_alu instid0(VALU_DEP_2) | instskip(NEXT) | instid1(VALU_DEP_2)
	v_mul_lo_u32 v10, v10, s28
	v_mul_hi_u32 v8, s19, v7
	v_mul_lo_u32 v11, v7, s15
	s_delay_alu instid0(VALU_DEP_2) | instskip(NEXT) | instid1(VALU_DEP_2)
	v_add_nc_u32_e32 v8, v7, v8
	v_sub_nc_u32_e32 v6, v6, v11
	s_delay_alu instid0(VALU_DEP_2) | instskip(NEXT) | instid1(VALU_DEP_2)
	v_lshrrev_b32_e32 v8, s24, v8
	v_mul_lo_u32 v6, v6, s29
	s_delay_alu instid0(VALU_DEP_2) | instskip(NEXT) | instid1(VALU_DEP_2)
	v_mul_hi_u32 v9, s26, v8
	v_add3_u32 v0, v10, v0, v6
	s_delay_alu instid0(VALU_DEP_2) | instskip(NEXT) | instid1(VALU_DEP_1)
	v_add_nc_u32_e32 v9, v8, v9
	v_lshrrev_b32_e32 v5, s27, v9
	v_mul_lo_u32 v9, v8, s18
	s_delay_alu instid0(VALU_DEP_2) | instskip(NEXT) | instid1(VALU_DEP_2)
	v_mul_lo_u32 v12, v5, s25
	v_sub_nc_u32_e32 v7, v7, v9
	s_delay_alu instid0(VALU_DEP_2) | instskip(NEXT) | instid1(VALU_DEP_2)
	v_sub_nc_u32_e32 v8, v8, v12
	v_mul_lo_u32 v7, v7, s30
	s_delay_alu instid0(VALU_DEP_2) | instskip(NEXT) | instid1(VALU_DEP_1)
	v_mul_lo_u32 v8, v8, s31
	v_add3_u32 v0, v7, v0, v8
	s_cbranch_scc1 .LBB87_203
; %bb.204:
	s_and_b32 s9, s9, 3
	s_delay_alu instid0(SALU_CYCLE_1)
	s_cmp_eq_u32 s9, 0
	s_cbranch_scc0 .LBB87_207
	s_branch .LBB87_209
.LBB87_205:
	s_mov_b32 s8, -1
                                        ; implicit-def: $vgpr0
	s_branch .LBB87_209
.LBB87_206:
	v_mov_b32_e32 v5, v4
	s_and_b32 s9, s9, 3
	s_delay_alu instid0(SALU_CYCLE_1)
	s_cmp_eq_u32 s9, 0
	s_cbranch_scc1 .LBB87_209
.LBB87_207:
	s_lshl_b32 s2, s10, 2
	s_mul_i32 s4, s10, 12
	s_add_u32 s2, s2, s0
	s_addc_u32 s3, 0, s1
	s_add_u32 s2, s2, 0xc4
	s_addc_u32 s3, s3, 0
	;; [unrolled: 2-line block ×3, first 2 shown]
	.p2align	6
.LBB87_208:                             ; =>This Inner Loop Header: Depth=1
	s_clause 0x1
	s_load_b64 s[10:11], s[4:5], 0x4
	s_load_b32 s12, s[4:5], 0xc
	s_add_u32 s4, s4, 12
	s_addc_u32 s5, s5, 0
	s_waitcnt lgkmcnt(0)
	v_mul_hi_u32 v6, s11, v5
	s_load_b32 s11, s[2:3], 0x0
	s_add_u32 s2, s2, 4
	s_addc_u32 s3, s3, 0
	s_add_i32 s9, s9, -1
	s_delay_alu instid0(SALU_CYCLE_1) | instskip(NEXT) | instid1(VALU_DEP_1)
	s_cmp_lg_u32 s9, 0
	v_add_nc_u32_e32 v6, v5, v6
	s_delay_alu instid0(VALU_DEP_1) | instskip(NEXT) | instid1(VALU_DEP_1)
	v_lshrrev_b32_e32 v8, s12, v6
	v_mul_lo_u32 v6, v8, s10
	s_delay_alu instid0(VALU_DEP_1) | instskip(SKIP_1) | instid1(VALU_DEP_1)
	v_sub_nc_u32_e32 v5, v5, v6
	s_waitcnt lgkmcnt(0)
	v_mad_u64_u32 v[6:7], null, v5, s11, v[0:1]
	s_delay_alu instid0(VALU_DEP_1)
	v_dual_mov_b32 v5, v8 :: v_dual_mov_b32 v0, v6
	s_cbranch_scc1 .LBB87_208
.LBB87_209:
	s_and_not1_b32 vcc_lo, exec_lo, s8
	s_cbranch_vccnz .LBB87_212
; %bb.210:
	s_clause 0x1
	s_load_b128 s[8:11], s[0:1], 0x4
	s_load_b32 s2, s[0:1], 0xc4
	s_cmp_lt_u32 s20, 2
	s_waitcnt lgkmcnt(0)
	v_mul_hi_u32 v0, s9, v4
	s_delay_alu instid0(VALU_DEP_1) | instskip(NEXT) | instid1(VALU_DEP_1)
	v_add_nc_u32_e32 v0, v4, v0
	v_lshrrev_b32_e32 v5, s10, v0
	s_delay_alu instid0(VALU_DEP_1) | instskip(NEXT) | instid1(VALU_DEP_1)
	v_mul_lo_u32 v0, v5, s8
	v_sub_nc_u32_e32 v0, v4, v0
	s_delay_alu instid0(VALU_DEP_1)
	v_mul_lo_u32 v0, v0, s2
	s_cbranch_scc1 .LBB87_212
; %bb.211:
	s_clause 0x1
	s_load_b128 s[8:11], s[0:1], 0x10
	s_load_b32 s2, s[0:1], 0xc8
	s_waitcnt lgkmcnt(0)
	v_mul_hi_u32 v4, s9, v5
	s_delay_alu instid0(VALU_DEP_1) | instskip(NEXT) | instid1(VALU_DEP_1)
	v_add_nc_u32_e32 v4, v5, v4
	v_lshrrev_b32_e32 v4, s10, v4
	s_delay_alu instid0(VALU_DEP_1) | instskip(NEXT) | instid1(VALU_DEP_1)
	v_mul_lo_u32 v4, v4, s8
	v_sub_nc_u32_e32 v6, v5, v4
	s_delay_alu instid0(VALU_DEP_1) | instskip(NEXT) | instid1(VALU_DEP_1)
	v_mad_u64_u32 v[4:5], null, v6, s2, v[0:1]
	v_mov_b32_e32 v0, v4
.LBB87_212:
	s_load_b128 s[0:3], s[0:1], 0x108
	s_mov_b32 s8, 0
	s_waitcnt lgkmcnt(0)
	s_and_b32 s3, s3, 0xff
	v_add_co_u32 v3, s5, s0, v3
	v_cmp_lt_i16_e64 s4, s3, 11
	v_add_co_ci_u32_e64 v4, null, s1, 0, s5
	s_mov_b32 s5, -1
	s_delay_alu instid0(VALU_DEP_2)
	s_and_b32 vcc_lo, exec_lo, s4
	s_mov_b32 s4, s6
	s_cbranch_vccnz .LBB87_473
; %bb.213:
	v_cmp_gt_i16_e64 s4, s3, 25
	s_mov_b32 s9, -1
	s_mov_b32 s5, 0
	s_delay_alu instid0(VALU_DEP_1)
	s_and_b32 vcc_lo, exec_lo, s4
	s_mov_b32 s4, 0
	s_cbranch_vccz .LBB87_308
; %bb.214:
	v_cmp_gt_i16_e64 s4, s3, 28
	s_delay_alu instid0(VALU_DEP_1)
	s_and_b32 vcc_lo, exec_lo, s4
	s_cbranch_vccz .LBB87_220
; %bb.215:
	v_cmp_gt_i16_e64 s4, s3, 43
	s_delay_alu instid0(VALU_DEP_1)
	s_and_b32 vcc_lo, exec_lo, s4
	s_cbranch_vccz .LBB87_221
; %bb.216:
	v_cmp_gt_i16_e64 s4, s3, 45
	s_delay_alu instid0(VALU_DEP_1)
	s_and_b32 vcc_lo, exec_lo, s4
	s_cbranch_vccz .LBB87_278
; %bb.217:
	v_cmp_eq_u16_e64 s8, s3, 46
	s_mov_b32 s4, -1
	s_mov_b32 s9, 0
	s_delay_alu instid0(VALU_DEP_1)
	s_and_b32 vcc_lo, exec_lo, s8
	s_mov_b32 s8, 0
	s_cbranch_vccz .LBB87_279
; %bb.218:
	v_mov_b32_e32 v5, s2
	s_mov_b32 s4, 0
	s_mov_b32 s8, -1
	global_store_b32 v[3:4], v5, off
	s_branch .LBB87_279
.LBB87_219:
                                        ; implicit-def: $vgpr8
	s_branch .LBB87_227
.LBB87_220:
	s_mov_b32 s4, 0
	s_branch .LBB87_288
.LBB87_221:
	s_mov_b32 s4, 0
	s_and_b32 vcc_lo, exec_lo, s9
	s_cbranch_vccnz .LBB87_285
	s_branch .LBB87_287
.LBB87_222:
	v_mov_b32_e32 v9, v12
.LBB87_223:
	s_and_b32 s58, s58, 3
	s_delay_alu instid0(SALU_CYCLE_1)
	s_cmp_eq_u32 s58, 0
	s_cbranch_scc1 .LBB87_226
; %bb.224:
	s_lshl_b32 s16, s56, 2
	s_mul_i32 s18, s56, 12
	s_add_u32 s16, s16, s0
	s_addc_u32 s17, s1, 0
	s_add_u32 s16, s16, 0xc4
	s_addc_u32 s17, s17, 0
	;; [unrolled: 2-line block ×3, first 2 shown]
	.p2align	6
.LBB87_225:                             ; =>This Inner Loop Header: Depth=1
	s_clause 0x1
	s_load_b64 s[60:61], s[18:19], 0x4
	s_load_b32 s56, s[18:19], 0xc
	s_load_b32 s59, s[16:17], 0x0
	s_add_u32 s18, s18, 12
	s_addc_u32 s19, s19, 0
	s_add_u32 s16, s16, 4
	s_addc_u32 s17, s17, 0
	s_add_i32 s58, s58, -1
	s_delay_alu instid0(SALU_CYCLE_1) | instskip(SKIP_2) | instid1(VALU_DEP_1)
	s_cmp_lg_u32 s58, 0
	s_waitcnt lgkmcnt(0)
	v_mul_hi_u32 v17, s61, v9
	v_add_nc_u32_e32 v17, v9, v17
	s_delay_alu instid0(VALU_DEP_1) | instskip(NEXT) | instid1(VALU_DEP_1)
	v_lshrrev_b32_e32 v19, s56, v17
	v_mul_lo_u32 v17, v19, s60
	s_delay_alu instid0(VALU_DEP_1) | instskip(NEXT) | instid1(VALU_DEP_1)
	v_sub_nc_u32_e32 v9, v9, v17
	v_mad_u64_u32 v[17:18], null, v9, s59, v[8:9]
	s_delay_alu instid0(VALU_DEP_1)
	v_dual_mov_b32 v9, v19 :: v_dual_mov_b32 v8, v17
	s_cbranch_scc1 .LBB87_225
.LBB87_226:
	s_cbranch_execnz .LBB87_229
.LBB87_227:
	s_waitcnt lgkmcnt(0)
	v_mul_hi_u32 v8, s9, v12
	s_and_not1_b32 vcc_lo, exec_lo, s50
	s_delay_alu instid0(VALU_DEP_1) | instskip(NEXT) | instid1(VALU_DEP_1)
	v_add_nc_u32_e32 v8, v12, v8
	v_lshrrev_b32_e32 v9, s10, v8
	s_delay_alu instid0(VALU_DEP_1) | instskip(NEXT) | instid1(VALU_DEP_1)
	v_mul_lo_u32 v8, v9, s8
	v_sub_nc_u32_e32 v8, v12, v8
	s_delay_alu instid0(VALU_DEP_1)
	v_mul_lo_u32 v8, v8, s2
	s_cbranch_vccnz .LBB87_229
; %bb.228:
	v_mul_hi_u32 v17, s12, v9
	s_delay_alu instid0(VALU_DEP_1) | instskip(NEXT) | instid1(VALU_DEP_1)
	v_add_nc_u32_e32 v17, v9, v17
	v_lshrrev_b32_e32 v17, s13, v17
	s_delay_alu instid0(VALU_DEP_1) | instskip(NEXT) | instid1(VALU_DEP_1)
	v_mul_lo_u32 v17, v17, s11
	v_sub_nc_u32_e32 v9, v9, v17
	s_delay_alu instid0(VALU_DEP_1) | instskip(NEXT) | instid1(VALU_DEP_1)
	v_mad_u64_u32 v[17:18], null, v9, s3, v[8:9]
	v_mov_b32_e32 v8, v17
.LBB87_229:
	v_and_b32_e64 v17, 0xff, s7
	s_delay_alu instid0(VALU_DEP_2) | instskip(NEXT) | instid1(VALU_DEP_1)
	v_add_co_u32 v8, s16, s4, v8
	v_add_co_ci_u32_e64 v9, null, s5, 0, s16
	s_delay_alu instid0(VALU_DEP_3)
	v_cmp_gt_i16_e32 vcc_lo, 11, v17
	s_mov_b32 s17, 0
	s_mov_b32 s18, -1
	s_mov_b32 s16, s54
	s_cbranch_vccnz .LBB87_236
; %bb.230:
	v_cmp_lt_i16_e32 vcc_lo, 25, v17
	s_cbranch_vccz .LBB87_276
; %bb.231:
	v_cmp_lt_i16_e32 vcc_lo, 28, v17
	s_cbranch_vccz .LBB87_277
	;; [unrolled: 3-line block ×4, first 2 shown]
; %bb.234:
	v_cmp_eq_u16_e32 vcc_lo, 46, v17
	s_mov_b32 s18, 0
	s_mov_b32 s16, -1
	s_cbranch_vccz .LBB87_316
; %bb.235:
	v_mov_b32_e32 v18, s6
	s_mov_b32 s17, -1
	s_mov_b32 s16, 0
	global_store_b32 v[8:9], v18, off
	s_branch .LBB87_316
.LBB87_236:
	s_and_b32 vcc_lo, exec_lo, s18
	s_cbranch_vccz .LBB87_361
; %bb.237:
	v_cmp_gt_i16_e32 vcc_lo, 5, v17
	s_mov_b32 s17, -1
	s_cbranch_vccnz .LBB87_258
; %bb.238:
	v_cmp_gt_i16_e32 vcc_lo, 8, v17
	s_cbranch_vccnz .LBB87_248
; %bb.239:
	v_cmp_gt_i16_e32 vcc_lo, 9, v17
	s_cbranch_vccnz .LBB87_245
; %bb.240:
	v_cmp_lt_i16_e32 vcc_lo, 9, v17
	s_cbranch_vccz .LBB87_242
; %bb.241:
	s_mov_b32 s17, 0
	global_store_b128 v[8:9], v[0:3], off
.LBB87_242:
	s_and_not1_b32 vcc_lo, exec_lo, s17
	s_cbranch_vccnz .LBB87_244
; %bb.243:
	v_dual_mov_b32 v18, s25 :: v_dual_mov_b32 v19, s26
	global_store_b64 v[8:9], v[18:19], off
.LBB87_244:
	s_mov_b32 s17, 0
.LBB87_245:
	s_delay_alu instid0(SALU_CYCLE_1)
	s_and_not1_b32 vcc_lo, exec_lo, s17
	s_cbranch_vccnz .LBB87_247
; %bb.246:
	global_store_b32 v[8:9], v13, off
.LBB87_247:
	s_mov_b32 s17, 0
.LBB87_248:
	s_delay_alu instid0(SALU_CYCLE_1)
	s_and_not1_b32 vcc_lo, exec_lo, s17
	s_cbranch_vccnz .LBB87_257
; %bb.249:
	v_cmp_gt_i16_e32 vcc_lo, 6, v17
	s_mov_b32 s17, -1
	s_cbranch_vccnz .LBB87_255
; %bb.250:
	v_cmp_lt_i16_e32 vcc_lo, 6, v17
	s_cbranch_vccz .LBB87_252
; %bb.251:
	s_mov_b32 s17, 0
	global_store_b64 v[8:9], v[0:1], off
.LBB87_252:
	s_and_not1_b32 vcc_lo, exec_lo, s17
	s_cbranch_vccnz .LBB87_254
; %bb.253:
	v_mov_b32_e32 v18, s25
	global_store_b32 v[8:9], v18, off
.LBB87_254:
	s_mov_b32 s17, 0
.LBB87_255:
	s_delay_alu instid0(SALU_CYCLE_1)
	s_and_not1_b32 vcc_lo, exec_lo, s17
	s_cbranch_vccnz .LBB87_257
; %bb.256:
	global_store_b16 v[8:9], v11, off
.LBB87_257:
	s_mov_b32 s17, 0
.LBB87_258:
	s_delay_alu instid0(SALU_CYCLE_1)
	s_and_not1_b32 vcc_lo, exec_lo, s17
	s_cbranch_vccnz .LBB87_274
; %bb.259:
	v_cmp_gt_i16_e32 vcc_lo, 2, v17
	s_mov_b32 s17, -1
	s_cbranch_vccnz .LBB87_269
; %bb.260:
	v_cmp_gt_i16_e32 vcc_lo, 3, v17
	s_cbranch_vccnz .LBB87_266
; %bb.261:
	v_cmp_lt_i16_e32 vcc_lo, 3, v17
	s_cbranch_vccz .LBB87_263
; %bb.262:
	s_mov_b32 s17, 0
	global_store_b64 v[8:9], v[4:5], off
.LBB87_263:
	s_and_not1_b32 vcc_lo, exec_lo, s17
	s_cbranch_vccnz .LBB87_265
; %bb.264:
	global_store_b32 v[8:9], v10, off
.LBB87_265:
	s_mov_b32 s17, 0
.LBB87_266:
	s_delay_alu instid0(SALU_CYCLE_1)
	s_and_not1_b32 vcc_lo, exec_lo, s17
	s_cbranch_vccnz .LBB87_268
; %bb.267:
	global_store_b16 v[8:9], v10, off
.LBB87_268:
	s_mov_b32 s17, 0
.LBB87_269:
	s_delay_alu instid0(SALU_CYCLE_1)
	s_and_not1_b32 vcc_lo, exec_lo, s17
	s_cbranch_vccnz .LBB87_274
; %bb.270:
	v_cmp_lt_i16_e32 vcc_lo, 0, v17
	s_mov_b32 s17, -1
	s_cbranch_vccz .LBB87_272
; %bb.271:
	s_mov_b32 s17, 0
	global_store_b8 v[8:9], v10, off
.LBB87_272:
	s_and_not1_b32 vcc_lo, exec_lo, s17
	s_cbranch_vccnz .LBB87_274
; %bb.273:
	global_store_b8 v[8:9], v4, off
.LBB87_274:
	s_branch .LBB87_362
.LBB87_275:
	s_mov_b32 s17, 0
                                        ; implicit-def: $vgpr12
	s_branch .LBB87_363
.LBB87_276:
	s_mov_b32 s16, s54
	s_branch .LBB87_338
.LBB87_277:
	s_mov_b32 s16, s54
	s_branch .LBB87_324
.LBB87_278:
	s_mov_b32 s4, 0
.LBB87_279:
	s_and_b32 vcc_lo, exec_lo, s9
	s_cbranch_vccz .LBB87_284
; %bb.280:
	v_cmp_eq_u16_e64 s4, s3, 44
	s_delay_alu instid0(VALU_DEP_1)
	s_and_b32 vcc_lo, exec_lo, s4
	s_mov_b32 s4, -1
	s_cbranch_vccz .LBB87_284
; %bb.281:
	s_lshl_b32 s4, s2, 16
	v_mov_b32_e32 v5, 0xff
	s_bfe_u32 s8, s4, 0x80017
	s_delay_alu instid0(SALU_CYCLE_1)
	s_cmpk_eq_i32 s8, 0xff
	s_cbranch_scc1 .LBB87_283
; %bb.282:
	s_bfe_u32 s9, s2, 0x90007
	s_bitcmp1_b32 s2, 6
	s_cselect_b32 s10, -1, 0
	s_and_b32 s4, s4, 0x3f0000
	s_delay_alu instid0(SALU_CYCLE_1) | instskip(NEXT) | instid1(SALU_CYCLE_1)
	s_or_b32 s4, s8, s4
	s_cmp_lg_u32 s4, 0
	s_cselect_b32 s4, -1, 0
	s_delay_alu instid0(SALU_CYCLE_1) | instskip(NEXT) | instid1(SALU_CYCLE_1)
	s_and_b32 s4, s10, s4
	v_cndmask_b32_e64 v5, 0, 1, s4
	s_delay_alu instid0(VALU_DEP_1)
	v_add_nc_u32_e32 v5, s9, v5
.LBB87_283:
	s_mov_b32 s4, 0
	s_mov_b32 s8, -1
	global_store_b8 v[3:4], v5, off
.LBB87_284:
	s_branch .LBB87_287
.LBB87_285:
	v_cmp_eq_u16_e64 s4, s3, 29
	s_delay_alu instid0(VALU_DEP_1)
	s_and_b32 vcc_lo, exec_lo, s4
	s_mov_b32 s4, -1
	s_cbranch_vccz .LBB87_287
; %bb.286:
	s_lshl_b32 s4, s2, 16
	s_mov_b32 s8, -1
	v_trunc_f32_e32 v5, s4
	s_mov_b32 s4, 0
	s_mov_b32 s9, 0
	s_delay_alu instid0(VALU_DEP_1) | instskip(NEXT) | instid1(VALU_DEP_1)
	v_mul_f32_e32 v6, 0x2f800000, v5
	v_floor_f32_e32 v6, v6
	s_delay_alu instid0(VALU_DEP_1) | instskip(SKIP_1) | instid1(VALU_DEP_2)
	v_fmamk_f32 v5, v6, 0xcf800000, v5
	v_cvt_u32_f32_e32 v6, v6
	v_cvt_u32_f32_e32 v5, v5
	global_store_b64 v[3:4], v[5:6], off
	s_branch .LBB87_288
.LBB87_287:
	s_mov_b32 s9, 0
.LBB87_288:
	s_delay_alu instid0(SALU_CYCLE_1)
	s_and_b32 vcc_lo, exec_lo, s9
	s_cbranch_vccz .LBB87_307
; %bb.289:
	v_cmp_lt_i16_e64 s8, s3, 27
	s_delay_alu instid0(VALU_DEP_1)
	s_and_b32 vcc_lo, exec_lo, s8
	s_mov_b32 s8, -1
	s_cbranch_vccnz .LBB87_295
; %bb.290:
	v_cmp_gt_i16_e64 s8, s3, 27
	s_delay_alu instid0(VALU_DEP_1)
	s_and_b32 vcc_lo, exec_lo, s8
	s_mov_b32 s8, -1
	s_cbranch_vccz .LBB87_292
; %bb.291:
	s_lshl_b32 s8, s2, 16
	s_delay_alu instid0(SALU_CYCLE_1)
	v_cvt_u32_f32_e32 v5, s8
	s_mov_b32 s8, 0
	global_store_b32 v[3:4], v5, off
.LBB87_292:
	s_and_not1_b32 vcc_lo, exec_lo, s8
	s_cbranch_vccnz .LBB87_294
; %bb.293:
	s_lshl_b32 s8, s2, 16
	s_delay_alu instid0(SALU_CYCLE_1)
	v_cvt_u32_f32_e32 v5, s8
	global_store_b16 v[3:4], v5, off
.LBB87_294:
	s_mov_b32 s8, 0
.LBB87_295:
	s_delay_alu instid0(SALU_CYCLE_1)
	s_and_not1_b32 vcc_lo, exec_lo, s8
	s_cbranch_vccnz .LBB87_306
; %bb.296:
	s_lshl_b32 s8, s2, 16
	v_mov_b32_e32 v6, 0x80
	s_and_b32 s9, s8, 0x7fffffff
	s_delay_alu instid0(SALU_CYCLE_1)
	s_cmp_gt_u32 s9, 0x437fffff
	s_cbranch_scc1 .LBB87_305
; %bb.297:
	s_cmp_gt_u32 s9, 0x3bffffff
	s_cbranch_scc0 .LBB87_300
; %bb.298:
	s_bfe_u32 s9, s8, 0x10014
	s_mov_b32 s10, 0
	s_add_i32 s9, s8, s9
	s_delay_alu instid0(SALU_CYCLE_1) | instskip(NEXT) | instid1(SALU_CYCLE_1)
	s_add_i32 s9, s9, 0x487ffff
	s_lshr_b32 s11, s9, 20
	s_mov_b32 s9, -1
	s_branch .LBB87_301
.LBB87_299:
	s_mov_b32 s16, s54
	s_branch .LBB87_320
.LBB87_300:
	s_mov_b32 s10, -1
	s_mov_b32 s9, 0
                                        ; implicit-def: $sgpr11
.LBB87_301:
	v_mov_b32_e32 v5, s11
	s_and_not1_b32 vcc_lo, exec_lo, s10
                                        ; implicit-def: $sgpr10
	s_cbranch_vccnz .LBB87_303
; %bb.302:
	v_add_f32_e64 v5, 0x46000000, |s8|
	s_mov_b32 s10, 0
	s_delay_alu instid0(VALU_DEP_1) | instskip(NEXT) | instid1(VALU_DEP_1)
	v_and_b32_e32 v5, 0xff, v5
	v_cmp_ne_u32_e64 s9, 0, v5
.LBB87_303:
	v_mov_b32_e32 v6, s10
	s_delay_alu instid0(VALU_DEP_2)
	s_and_not1_b32 vcc_lo, exec_lo, s9
	s_cbranch_vccnz .LBB87_305
; %bb.304:
	s_lshr_b32 s8, s8, 24
	s_delay_alu instid0(SALU_CYCLE_1) | instskip(NEXT) | instid1(SALU_CYCLE_1)
	s_and_b32 s8, s8, 0x80
	v_or_b32_e32 v6, s8, v5
.LBB87_305:
	global_store_b8 v[3:4], v6, off
.LBB87_306:
	s_mov_b32 s8, -1
.LBB87_307:
	s_mov_b32 s9, 0
.LBB87_308:
	s_delay_alu instid0(SALU_CYCLE_1)
	s_and_b32 vcc_lo, exec_lo, s9
	s_cbranch_vccz .LBB87_469
; %bb.309:
	v_cmp_gt_i16_e64 s5, s3, 22
	s_delay_alu instid0(VALU_DEP_1)
	s_and_b32 vcc_lo, exec_lo, s5
	s_mov_b32 s5, -1
	s_cbranch_vccz .LBB87_462
; %bb.310:
	v_cmp_lt_i16_e64 s5, s3, 24
	s_delay_alu instid0(VALU_DEP_1)
	s_and_b32 vcc_lo, exec_lo, s5
	s_mov_b32 s5, -1
	s_cbranch_vccnz .LBB87_449
; %bb.311:
	v_cmp_gt_i16_e64 s5, s3, 24
	s_delay_alu instid0(VALU_DEP_1)
	s_and_b32 vcc_lo, exec_lo, s5
	s_mov_b32 s5, -1
	s_cbranch_vccz .LBB87_436
; %bb.312:
	s_lshl_b32 s5, s2, 16
	v_mov_b32_e32 v6, 0x80
	s_and_b32 s8, s5, 0x7fffffff
	s_delay_alu instid0(SALU_CYCLE_1)
	s_cmp_gt_u32 s8, 0x477fffff
	s_cbranch_scc1 .LBB87_435
; %bb.313:
	s_cmp_gt_u32 s8, 0x37ffffff
	s_cbranch_scc0 .LBB87_430
; %bb.314:
	s_bfe_u32 s8, s5, 0x10015
	s_mov_b32 s9, 0
	s_add_i32 s8, s5, s8
	s_delay_alu instid0(SALU_CYCLE_1) | instskip(NEXT) | instid1(SALU_CYCLE_1)
	s_add_i32 s8, s8, 0x88fffff
	s_lshr_b32 s10, s8, 21
	s_mov_b32 s8, -1
	s_branch .LBB87_431
.LBB87_315:
	s_mov_b32 s16, s54
.LBB87_316:
	s_and_b32 vcc_lo, exec_lo, s18
	s_cbranch_vccz .LBB87_319
; %bb.317:
	v_cmp_eq_u16_e32 vcc_lo, 44, v17
	s_mov_b32 s16, -1
	s_cbranch_vccz .LBB87_319
; %bb.318:
	v_cndmask_b32_e64 v18, v16, 0xff, s49
	s_mov_b32 s17, -1
	s_mov_b32 s16, 0
	global_store_b8 v[8:9], v18, off
.LBB87_319:
	s_mov_b32 s18, 0
.LBB87_320:
	s_delay_alu instid0(SALU_CYCLE_1)
	s_and_b32 vcc_lo, exec_lo, s18
	s_cbranch_vccz .LBB87_323
; %bb.321:
	v_cmp_eq_u16_e32 vcc_lo, 29, v17
	s_mov_b32 s16, -1
	s_cbranch_vccz .LBB87_323
; %bb.322:
	s_mov_b32 s17, -1
	s_mov_b32 s16, 0
	global_store_b64 v[8:9], v[6:7], off
.LBB87_323:
	s_mov_b32 s18, 0
.LBB87_324:
	s_delay_alu instid0(SALU_CYCLE_1)
	s_and_b32 vcc_lo, exec_lo, s18
	s_cbranch_vccz .LBB87_337
; %bb.325:
	v_cmp_gt_i16_e32 vcc_lo, 27, v17
	s_mov_b32 s17, -1
	s_cbranch_vccnz .LBB87_331
; %bb.326:
	v_cmp_lt_i16_e32 vcc_lo, 27, v17
	s_cbranch_vccz .LBB87_328
; %bb.327:
	s_mov_b32 s17, 0
	global_store_b32 v[8:9], v15, off
.LBB87_328:
	s_and_not1_b32 vcc_lo, exec_lo, s17
	s_cbranch_vccnz .LBB87_330
; %bb.329:
	global_store_b16 v[8:9], v15, off
.LBB87_330:
	s_mov_b32 s17, 0
.LBB87_331:
	s_delay_alu instid0(SALU_CYCLE_1)
	s_and_not1_b32 vcc_lo, exec_lo, s17
	s_cbranch_vccnz .LBB87_336
; %bb.332:
	s_and_not1_b32 vcc_lo, exec_lo, s47
	s_movk_i32 s17, 0x80
	s_cbranch_vccnz .LBB87_335
; %bb.333:
	s_or_b32 s17, s45, s48
	s_delay_alu instid0(SALU_CYCLE_1)
	s_and_not1_b32 vcc_lo, exec_lo, s17
	s_mov_b32 s17, 0
	s_cbranch_vccnz .LBB87_335
; %bb.334:
	s_and_b32 s17, s45, exec_lo
	s_cselect_b32 s17, s46, s44
	s_delay_alu instid0(SALU_CYCLE_1)
	s_or_b32 s17, s17, s27
.LBB87_335:
	s_delay_alu instid0(SALU_CYCLE_1)
	v_mov_b32_e32 v18, s17
	global_store_b8 v[8:9], v18, off
.LBB87_336:
	s_mov_b32 s17, -1
.LBB87_337:
	s_mov_b32 s18, 0
.LBB87_338:
	s_delay_alu instid0(SALU_CYCLE_1)
	s_and_b32 vcc_lo, exec_lo, s18
	s_cbranch_vccz .LBB87_360
; %bb.339:
	v_cmp_lt_i16_e32 vcc_lo, 22, v17
	s_mov_b32 s18, -1
	s_cbranch_vccz .LBB87_352
; %bb.340:
	v_cmp_gt_i16_e32 vcc_lo, 24, v17
	s_mov_b32 s17, -1
	s_cbranch_vccnz .LBB87_349
; %bb.341:
	v_cmp_lt_i16_e32 vcc_lo, 24, v17
	s_cbranch_vccz .LBB87_346
; %bb.342:
	s_and_not1_b32 vcc_lo, exec_lo, s40
	s_movk_i32 s17, 0x80
	s_cbranch_vccnz .LBB87_345
; %bb.343:
	s_or_b32 s17, s36, s41
	s_delay_alu instid0(SALU_CYCLE_1)
	s_and_not1_b32 vcc_lo, exec_lo, s17
	s_mov_b32 s17, 0
	s_cbranch_vccnz .LBB87_345
; %bb.344:
	s_and_b32 s17, s36, exec_lo
	s_cselect_b32 s17, s38, s35
	s_delay_alu instid0(SALU_CYCLE_1)
	s_or_b32 s17, s17, s27
.LBB87_345:
	s_delay_alu instid0(SALU_CYCLE_1)
	v_mov_b32_e32 v18, s17
	s_mov_b32 s17, 0
	global_store_b8 v[8:9], v18, off
.LBB87_346:
	s_and_b32 vcc_lo, exec_lo, s17
	s_cbranch_vccz .LBB87_348
; %bb.347:
	s_and_b32 s17, s31, exec_lo
	s_cselect_b32 s17, s43, s37
	s_and_b32 s18, s29, exec_lo
	s_cselect_b32 s17, s39, s17
	s_delay_alu instid0(SALU_CYCLE_1) | instskip(NEXT) | instid1(SALU_CYCLE_1)
	s_or_b32 s17, s17, s27
	v_mov_b32_e32 v18, s17
	global_store_b8 v[8:9], v18, off
.LBB87_348:
	s_mov_b32 s17, 0
.LBB87_349:
	s_delay_alu instid0(SALU_CYCLE_1)
	s_and_not1_b32 vcc_lo, exec_lo, s17
	s_cbranch_vccnz .LBB87_351
; %bb.350:
	s_and_b32 s17, s30, exec_lo
	s_cselect_b32 s17, s42, s33
	s_and_b32 s18, s28, exec_lo
	s_cselect_b32 s17, s34, s17
	s_delay_alu instid0(SALU_CYCLE_1) | instskip(NEXT) | instid1(SALU_CYCLE_1)
	s_or_b32 s17, s17, s27
	v_mov_b32_e32 v18, s17
	global_store_b8 v[8:9], v18, off
.LBB87_351:
	s_mov_b32 s18, 0
	s_mov_b32 s17, -1
.LBB87_352:
	s_and_not1_b32 vcc_lo, exec_lo, s18
	s_cbranch_vccnz .LBB87_360
; %bb.353:
	v_cmp_lt_i16_e32 vcc_lo, 14, v17
	s_mov_b32 s18, -1
	s_cbranch_vccz .LBB87_357
; %bb.354:
	v_cmp_eq_u16_e32 vcc_lo, 15, v17
	s_mov_b32 s16, -1
	s_cbranch_vccz .LBB87_356
; %bb.355:
	v_mov_b32_e32 v18, s6
	s_mov_b32 s17, -1
	s_mov_b32 s16, 0
	global_store_b16 v[8:9], v18, off
.LBB87_356:
	s_mov_b32 s18, 0
.LBB87_357:
	s_delay_alu instid0(SALU_CYCLE_1)
	s_and_b32 vcc_lo, exec_lo, s18
	s_cbranch_vccz .LBB87_360
; %bb.358:
	v_cmp_eq_u16_e32 vcc_lo, 11, v17
	s_mov_b32 s16, -1
	s_cbranch_vccz .LBB87_360
; %bb.359:
	s_mov_b32 s17, -1
	s_mov_b32 s16, 0
	global_store_b8 v[8:9], v14, off
.LBB87_360:
.LBB87_361:
	s_and_not1_b32 vcc_lo, exec_lo, s17
	s_cbranch_vccnz .LBB87_275
.LBB87_362:
	v_add_nc_u32_e32 v12, 0x80, v12
	s_mov_b32 s17, -1
.LBB87_363:
	s_and_not1_b32 s18, s54, exec_lo
	s_and_b32 s16, s16, exec_lo
	s_delay_alu instid0(SALU_CYCLE_1)
	s_or_b32 s56, s18, s16
	s_or_not1_b32 s18, s17, exec_lo
.LBB87_364:
	s_or_b32 exec_lo, exec_lo, s57
	s_mov_b32 s16, 0
	s_mov_b32 s17, 0
                                        ; implicit-def: $vgpr17
                                        ; implicit-def: $vgpr8_vgpr9
	s_and_saveexec_b32 s57, s18
	s_cbranch_execz .LBB87_681
; %bb.365:
	s_mov_b32 s59, -1
	s_mov_b32 s18, s56
	s_mov_b32 s58, exec_lo
	v_cmpx_gt_i32_e64 s51, v12
	s_cbranch_execz .LBB87_612
; %bb.366:
	s_and_not1_b32 vcc_lo, exec_lo, s23
	s_cbranch_vccnz .LBB87_371
; %bb.367:
	v_mov_b32_e32 v8, 0
	s_and_not1_b32 vcc_lo, exec_lo, s53
	s_cbranch_vccnz .LBB87_376
; %bb.368:
	s_add_i32 s60, s52, 1
	s_cmp_eq_u32 s21, 2
	s_mov_b32 s59, 0
	s_cbranch_scc1 .LBB87_372
; %bb.369:
	v_dual_mov_b32 v8, 0 :: v_dual_mov_b32 v9, v12
	s_and_b32 s59, s60, 28
	s_mov_b32 s61, 0
	s_mov_b64 s[16:17], s[0:1]
	s_mov_b64 s[18:19], s[14:15]
.LBB87_370:                             ; =>This Inner Loop Header: Depth=1
	s_clause 0x1
	s_load_b256 s[64:71], s[16:17], 0x4
	s_load_b128 s[72:75], s[16:17], 0x24
	s_load_b128 s[76:79], s[18:19], 0x0
	s_add_u32 s16, s16, 48
	s_addc_u32 s17, s17, 0
	s_add_i32 s61, s61, 4
	s_add_u32 s18, s18, 16
	s_addc_u32 s19, s19, 0
	s_cmp_eq_u32 s59, s61
	s_waitcnt lgkmcnt(0)
	v_mul_hi_u32 v17, s65, v9
	s_delay_alu instid0(VALU_DEP_1) | instskip(NEXT) | instid1(VALU_DEP_1)
	v_add_nc_u32_e32 v17, v9, v17
	v_lshrrev_b32_e32 v17, s66, v17
	s_delay_alu instid0(VALU_DEP_1) | instskip(SKIP_1) | instid1(VALU_DEP_2)
	v_mul_hi_u32 v18, s68, v17
	v_mul_lo_u32 v21, v17, s64
	v_add_nc_u32_e32 v18, v17, v18
	s_delay_alu instid0(VALU_DEP_2) | instskip(NEXT) | instid1(VALU_DEP_2)
	v_sub_nc_u32_e32 v21, v9, v21
	v_lshrrev_b32_e32 v18, s69, v18
	s_delay_alu instid0(VALU_DEP_2) | instskip(NEXT) | instid1(VALU_DEP_2)
	v_mul_lo_u32 v21, v21, s76
	v_mul_hi_u32 v19, s71, v18
	v_mul_lo_u32 v22, v18, s67
	s_delay_alu instid0(VALU_DEP_2) | instskip(NEXT) | instid1(VALU_DEP_2)
	v_add_nc_u32_e32 v19, v18, v19
	v_sub_nc_u32_e32 v17, v17, v22
	s_delay_alu instid0(VALU_DEP_2) | instskip(NEXT) | instid1(VALU_DEP_2)
	v_lshrrev_b32_e32 v19, s72, v19
	v_mul_lo_u32 v17, v17, s77
	s_delay_alu instid0(VALU_DEP_2) | instskip(NEXT) | instid1(VALU_DEP_2)
	v_mul_hi_u32 v20, s74, v19
	v_add3_u32 v8, v21, v8, v17
	s_delay_alu instid0(VALU_DEP_2) | instskip(NEXT) | instid1(VALU_DEP_1)
	v_add_nc_u32_e32 v20, v19, v20
	v_lshrrev_b32_e32 v9, s75, v20
	v_mul_lo_u32 v20, v19, s70
	s_delay_alu instid0(VALU_DEP_2) | instskip(NEXT) | instid1(VALU_DEP_2)
	v_mul_lo_u32 v23, v9, s73
	v_sub_nc_u32_e32 v18, v18, v20
	s_delay_alu instid0(VALU_DEP_2) | instskip(NEXT) | instid1(VALU_DEP_2)
	v_sub_nc_u32_e32 v19, v19, v23
	v_mul_lo_u32 v18, v18, s78
	s_delay_alu instid0(VALU_DEP_2) | instskip(NEXT) | instid1(VALU_DEP_1)
	v_mul_lo_u32 v19, v19, s79
	v_add3_u32 v8, v18, v8, v19
	s_cbranch_scc0 .LBB87_370
	s_branch .LBB87_373
.LBB87_371:
	s_mov_b32 s16, -1
                                        ; implicit-def: $vgpr8
	s_branch .LBB87_377
.LBB87_372:
	v_mov_b32_e32 v9, v12
.LBB87_373:
	s_and_b32 s60, s60, 3
	s_delay_alu instid0(SALU_CYCLE_1)
	s_cmp_eq_u32 s60, 0
	s_cbranch_scc1 .LBB87_376
; %bb.374:
	s_lshl_b32 s16, s59, 2
	s_mul_i32 s18, s59, 12
	s_add_u32 s16, s16, s0
	s_addc_u32 s17, s1, 0
	s_add_u32 s16, s16, 0xc4
	s_addc_u32 s17, s17, 0
	;; [unrolled: 2-line block ×3, first 2 shown]
	.p2align	6
.LBB87_375:                             ; =>This Inner Loop Header: Depth=1
	s_clause 0x1
	s_load_b64 s[62:63], s[18:19], 0x4
	s_load_b32 s59, s[18:19], 0xc
	s_load_b32 s61, s[16:17], 0x0
	s_add_u32 s18, s18, 12
	s_addc_u32 s19, s19, 0
	s_add_u32 s16, s16, 4
	s_addc_u32 s17, s17, 0
	s_add_i32 s60, s60, -1
	s_delay_alu instid0(SALU_CYCLE_1) | instskip(SKIP_2) | instid1(VALU_DEP_1)
	s_cmp_lg_u32 s60, 0
	s_waitcnt lgkmcnt(0)
	v_mul_hi_u32 v17, s63, v9
	v_add_nc_u32_e32 v17, v9, v17
	s_delay_alu instid0(VALU_DEP_1) | instskip(NEXT) | instid1(VALU_DEP_1)
	v_lshrrev_b32_e32 v19, s59, v17
	v_mul_lo_u32 v17, v19, s62
	s_delay_alu instid0(VALU_DEP_1) | instskip(NEXT) | instid1(VALU_DEP_1)
	v_sub_nc_u32_e32 v9, v9, v17
	v_mad_u64_u32 v[17:18], null, v9, s61, v[8:9]
	s_delay_alu instid0(VALU_DEP_1)
	v_dual_mov_b32 v9, v19 :: v_dual_mov_b32 v8, v17
	s_cbranch_scc1 .LBB87_375
.LBB87_376:
	s_mov_b32 s16, 0
.LBB87_377:
	s_delay_alu instid0(SALU_CYCLE_1)
	s_and_not1_b32 vcc_lo, exec_lo, s16
	s_cbranch_vccnz .LBB87_380
; %bb.378:
	s_waitcnt lgkmcnt(0)
	v_mul_hi_u32 v8, s9, v12
	s_and_not1_b32 vcc_lo, exec_lo, s50
	s_delay_alu instid0(VALU_DEP_1) | instskip(NEXT) | instid1(VALU_DEP_1)
	v_add_nc_u32_e32 v8, v12, v8
	v_lshrrev_b32_e32 v9, s10, v8
	s_delay_alu instid0(VALU_DEP_1) | instskip(NEXT) | instid1(VALU_DEP_1)
	v_mul_lo_u32 v8, v9, s8
	v_sub_nc_u32_e32 v8, v12, v8
	s_delay_alu instid0(VALU_DEP_1)
	v_mul_lo_u32 v8, v8, s2
	s_cbranch_vccnz .LBB87_380
; %bb.379:
	v_mul_hi_u32 v17, s12, v9
	s_delay_alu instid0(VALU_DEP_1) | instskip(NEXT) | instid1(VALU_DEP_1)
	v_add_nc_u32_e32 v17, v9, v17
	v_lshrrev_b32_e32 v17, s13, v17
	s_delay_alu instid0(VALU_DEP_1) | instskip(NEXT) | instid1(VALU_DEP_1)
	v_mul_lo_u32 v17, v17, s11
	v_sub_nc_u32_e32 v9, v9, v17
	s_delay_alu instid0(VALU_DEP_1) | instskip(NEXT) | instid1(VALU_DEP_1)
	v_mad_u64_u32 v[17:18], null, v9, s3, v[8:9]
	v_mov_b32_e32 v8, v17
.LBB87_380:
	v_and_b32_e64 v17, 0xff, s7
	s_delay_alu instid0(VALU_DEP_2) | instskip(NEXT) | instid1(VALU_DEP_1)
	v_add_co_u32 v8, s16, s4, v8
	v_add_co_ci_u32_e64 v9, null, s5, 0, s16
	s_delay_alu instid0(VALU_DEP_3)
	v_cmp_gt_i16_e32 vcc_lo, 11, v17
	s_mov_b32 s17, 0
	s_mov_b32 s18, -1
	s_mov_b32 s16, s56
	s_cbranch_vccnz .LBB87_387
; %bb.381:
	v_cmp_lt_i16_e32 vcc_lo, 25, v17
	s_cbranch_vccz .LBB87_427
; %bb.382:
	v_cmp_lt_i16_e32 vcc_lo, 28, v17
	s_cbranch_vccz .LBB87_428
	;; [unrolled: 3-line block ×4, first 2 shown]
; %bb.385:
	v_cmp_eq_u16_e32 vcc_lo, 46, v17
	s_mov_b32 s18, 0
	s_mov_b32 s16, -1
	s_cbranch_vccz .LBB87_564
; %bb.386:
	v_mov_b32_e32 v18, s6
	s_mov_b32 s17, -1
	s_mov_b32 s16, 0
	global_store_b32 v[8:9], v18, off
	s_branch .LBB87_564
.LBB87_387:
	s_and_b32 vcc_lo, exec_lo, s18
	s_cbranch_vccz .LBB87_609
; %bb.388:
	v_cmp_gt_i16_e32 vcc_lo, 5, v17
	s_mov_b32 s17, -1
	s_cbranch_vccnz .LBB87_409
; %bb.389:
	v_cmp_gt_i16_e32 vcc_lo, 8, v17
	s_cbranch_vccnz .LBB87_399
; %bb.390:
	v_cmp_gt_i16_e32 vcc_lo, 9, v17
	s_cbranch_vccnz .LBB87_396
; %bb.391:
	v_cmp_lt_i16_e32 vcc_lo, 9, v17
	s_cbranch_vccz .LBB87_393
; %bb.392:
	s_mov_b32 s17, 0
	global_store_b128 v[8:9], v[0:3], off
.LBB87_393:
	s_and_not1_b32 vcc_lo, exec_lo, s17
	s_cbranch_vccnz .LBB87_395
; %bb.394:
	v_dual_mov_b32 v18, s25 :: v_dual_mov_b32 v19, s26
	global_store_b64 v[8:9], v[18:19], off
.LBB87_395:
	s_mov_b32 s17, 0
.LBB87_396:
	s_delay_alu instid0(SALU_CYCLE_1)
	s_and_not1_b32 vcc_lo, exec_lo, s17
	s_cbranch_vccnz .LBB87_398
; %bb.397:
	global_store_b32 v[8:9], v13, off
.LBB87_398:
	s_mov_b32 s17, 0
.LBB87_399:
	s_delay_alu instid0(SALU_CYCLE_1)
	s_and_not1_b32 vcc_lo, exec_lo, s17
	s_cbranch_vccnz .LBB87_408
; %bb.400:
	v_cmp_gt_i16_e32 vcc_lo, 6, v17
	s_mov_b32 s17, -1
	s_cbranch_vccnz .LBB87_406
; %bb.401:
	v_cmp_lt_i16_e32 vcc_lo, 6, v17
	s_cbranch_vccz .LBB87_403
; %bb.402:
	s_mov_b32 s17, 0
	global_store_b64 v[8:9], v[0:1], off
.LBB87_403:
	s_and_not1_b32 vcc_lo, exec_lo, s17
	s_cbranch_vccnz .LBB87_405
; %bb.404:
	v_mov_b32_e32 v18, s25
	global_store_b32 v[8:9], v18, off
.LBB87_405:
	s_mov_b32 s17, 0
.LBB87_406:
	s_delay_alu instid0(SALU_CYCLE_1)
	s_and_not1_b32 vcc_lo, exec_lo, s17
	s_cbranch_vccnz .LBB87_408
; %bb.407:
	global_store_b16 v[8:9], v11, off
.LBB87_408:
	s_mov_b32 s17, 0
.LBB87_409:
	s_delay_alu instid0(SALU_CYCLE_1)
	s_and_not1_b32 vcc_lo, exec_lo, s17
	s_cbranch_vccnz .LBB87_425
; %bb.410:
	v_cmp_gt_i16_e32 vcc_lo, 2, v17
	s_mov_b32 s17, -1
	s_cbranch_vccnz .LBB87_420
; %bb.411:
	v_cmp_gt_i16_e32 vcc_lo, 3, v17
	s_cbranch_vccnz .LBB87_417
; %bb.412:
	v_cmp_lt_i16_e32 vcc_lo, 3, v17
	s_cbranch_vccz .LBB87_414
; %bb.413:
	s_mov_b32 s17, 0
	global_store_b64 v[8:9], v[4:5], off
.LBB87_414:
	s_and_not1_b32 vcc_lo, exec_lo, s17
	s_cbranch_vccnz .LBB87_416
; %bb.415:
	global_store_b32 v[8:9], v10, off
.LBB87_416:
	s_mov_b32 s17, 0
.LBB87_417:
	s_delay_alu instid0(SALU_CYCLE_1)
	s_and_not1_b32 vcc_lo, exec_lo, s17
	s_cbranch_vccnz .LBB87_419
; %bb.418:
	global_store_b16 v[8:9], v10, off
.LBB87_419:
	s_mov_b32 s17, 0
.LBB87_420:
	s_delay_alu instid0(SALU_CYCLE_1)
	s_and_not1_b32 vcc_lo, exec_lo, s17
	s_cbranch_vccnz .LBB87_425
; %bb.421:
	v_cmp_lt_i16_e32 vcc_lo, 0, v17
	s_mov_b32 s17, -1
	s_cbranch_vccz .LBB87_423
; %bb.422:
	s_mov_b32 s17, 0
	global_store_b8 v[8:9], v10, off
.LBB87_423:
	s_and_not1_b32 vcc_lo, exec_lo, s17
	s_cbranch_vccnz .LBB87_425
; %bb.424:
	global_store_b8 v[8:9], v4, off
.LBB87_425:
	s_branch .LBB87_610
.LBB87_426:
	s_mov_b32 s17, 0
                                        ; implicit-def: $vgpr12
	s_branch .LBB87_611
.LBB87_427:
	s_mov_b32 s16, s56
	s_branch .LBB87_586
.LBB87_428:
	s_mov_b32 s16, s56
	s_branch .LBB87_572
.LBB87_429:
	s_mov_b32 s16, s56
	s_branch .LBB87_568
.LBB87_430:
	s_mov_b32 s9, -1
	s_mov_b32 s8, 0
                                        ; implicit-def: $sgpr10
.LBB87_431:
	v_mov_b32_e32 v5, s10
	s_and_not1_b32 vcc_lo, exec_lo, s9
                                        ; implicit-def: $sgpr9
	s_cbranch_vccnz .LBB87_433
; %bb.432:
	v_add_f32_e64 v5, 0x42800000, |s5|
	s_mov_b32 s9, 0
	s_delay_alu instid0(VALU_DEP_1) | instskip(NEXT) | instid1(VALU_DEP_1)
	v_and_b32_e32 v5, 0xff, v5
	v_cmp_ne_u32_e64 s8, 0, v5
.LBB87_433:
	v_mov_b32_e32 v6, s9
	s_delay_alu instid0(VALU_DEP_2)
	s_and_not1_b32 vcc_lo, exec_lo, s8
	s_cbranch_vccnz .LBB87_435
; %bb.434:
	s_lshr_b32 s5, s5, 24
	s_delay_alu instid0(SALU_CYCLE_1) | instskip(NEXT) | instid1(SALU_CYCLE_1)
	s_and_b32 s5, s5, 0x80
	v_or_b32_e32 v6, s5, v5
.LBB87_435:
	s_mov_b32 s5, 0
	global_store_b8 v[3:4], v6, off
.LBB87_436:
	s_and_b32 vcc_lo, exec_lo, s5
	s_cbranch_vccz .LBB87_448
; %bb.437:
	s_lshl_b32 s5, s2, 16
	s_delay_alu instid0(SALU_CYCLE_1) | instskip(NEXT) | instid1(SALU_CYCLE_1)
	s_and_b32 s8, s5, 0x7fffffff
	s_cmp_lt_u32 s8, 0x43f00000
	s_cbranch_scc0 .LBB87_440
; %bb.438:
	s_cmp_gt_u32 s8, 0x3c7fffff
	s_cbranch_scc0 .LBB87_441
; %bb.439:
	s_bfe_u32 s9, s5, 0x10014
	s_delay_alu instid0(SALU_CYCLE_1) | instskip(NEXT) | instid1(SALU_CYCLE_1)
	s_add_i32 s9, s5, s9
	s_add_i32 s9, s9, 0x407ffff
	s_delay_alu instid0(SALU_CYCLE_1)
	s_and_b32 s10, s9, 0xff00000
	s_lshr_b32 s9, s9, 20
	s_cmp_lg_u32 s10, 0x7f00000
	s_cselect_b32 s10, s9, 0x7e
	s_mov_b32 s9, 0
	s_branch .LBB87_442
.LBB87_440:
	s_mov_b32 s9, -1
                                        ; implicit-def: $vgpr5
	s_branch .LBB87_445
.LBB87_441:
	s_mov_b32 s9, -1
                                        ; implicit-def: $sgpr10
.LBB87_442:
	v_mov_b32_e32 v5, s10
	s_and_not1_b32 vcc_lo, exec_lo, s9
	s_cbranch_vccnz .LBB87_444
; %bb.443:
	v_add_f32_e64 v5, 0x46800000, |s5|
.LBB87_444:
	s_mov_b32 s9, 0
.LBB87_445:
	s_delay_alu instid0(SALU_CYCLE_1)
	s_and_not1_b32 vcc_lo, exec_lo, s9
	s_cbranch_vccnz .LBB87_447
; %bb.446:
	s_cmp_gt_u32 s8, 0x7f800000
	s_movk_i32 s8, 0x7f
	s_delay_alu instid0(SALU_CYCLE_1) | instskip(NEXT) | instid1(SALU_CYCLE_1)
	s_cselect_b32 s8, s8, 0x7e
	v_mov_b32_e32 v5, s8
.LBB87_447:
	s_lshr_b32 s5, s5, 24
	s_delay_alu instid0(SALU_CYCLE_1)
	s_and_b32 s5, s5, 0x80
	s_delay_alu instid0(VALU_DEP_1) | instid1(SALU_CYCLE_1)
	v_or_b32_e32 v5, s5, v5
	global_store_b8 v[3:4], v5, off
.LBB87_448:
	s_mov_b32 s5, 0
.LBB87_449:
	s_delay_alu instid0(SALU_CYCLE_1)
	s_and_not1_b32 vcc_lo, exec_lo, s5
	s_cbranch_vccnz .LBB87_461
; %bb.450:
	s_lshl_b32 s5, s2, 16
	s_delay_alu instid0(SALU_CYCLE_1) | instskip(NEXT) | instid1(SALU_CYCLE_1)
	s_and_b32 s8, s5, 0x7fffffff
	s_cmp_lt_u32 s8, 0x47800000
	s_cbranch_scc0 .LBB87_453
; %bb.451:
	s_cmp_gt_u32 s8, 0x387fffff
	s_cbranch_scc0 .LBB87_454
; %bb.452:
	s_bfe_u32 s9, s5, 0x10015
	s_delay_alu instid0(SALU_CYCLE_1) | instskip(NEXT) | instid1(SALU_CYCLE_1)
	s_add_i32 s9, s5, s9
	s_add_i32 s9, s9, 0x80fffff
	s_delay_alu instid0(SALU_CYCLE_1)
	s_lshr_b32 s10, s9, 21
	s_mov_b32 s9, 0
	s_branch .LBB87_455
.LBB87_453:
	s_mov_b32 s9, -1
                                        ; implicit-def: $vgpr5
	s_branch .LBB87_458
.LBB87_454:
	s_mov_b32 s9, -1
                                        ; implicit-def: $sgpr10
.LBB87_455:
	v_mov_b32_e32 v5, s10
	s_and_not1_b32 vcc_lo, exec_lo, s9
	s_cbranch_vccnz .LBB87_457
; %bb.456:
	v_add_f32_e64 v5, 0x43000000, |s5|
.LBB87_457:
	s_mov_b32 s9, 0
.LBB87_458:
	s_delay_alu instid0(SALU_CYCLE_1)
	s_and_not1_b32 vcc_lo, exec_lo, s9
	s_cbranch_vccnz .LBB87_460
; %bb.459:
	s_cmp_gt_u32 s8, 0x7f800000
	s_movk_i32 s8, 0x7f
	s_delay_alu instid0(SALU_CYCLE_1) | instskip(NEXT) | instid1(SALU_CYCLE_1)
	s_cselect_b32 s8, s8, 0x7c
	v_mov_b32_e32 v5, s8
.LBB87_460:
	s_lshr_b32 s5, s5, 24
	s_delay_alu instid0(SALU_CYCLE_1)
	s_and_b32 s5, s5, 0x80
	s_delay_alu instid0(VALU_DEP_1) | instid1(SALU_CYCLE_1)
	v_or_b32_e32 v5, s5, v5
	global_store_b8 v[3:4], v5, off
.LBB87_461:
	s_mov_b32 s5, 0
	s_mov_b32 s8, -1
.LBB87_462:
	s_and_not1_b32 vcc_lo, exec_lo, s5
	s_mov_b32 s5, 0
	s_cbranch_vccnz .LBB87_469
; %bb.463:
	v_cmp_gt_i16_e64 s5, s3, 14
	s_delay_alu instid0(VALU_DEP_1)
	s_and_b32 vcc_lo, exec_lo, s5
	s_mov_b32 s5, -1
	s_cbranch_vccz .LBB87_467
; %bb.464:
	v_cmp_eq_u16_e64 s4, s3, 15
	s_delay_alu instid0(VALU_DEP_1)
	s_and_b32 vcc_lo, exec_lo, s4
	s_mov_b32 s4, -1
	s_cbranch_vccz .LBB87_466
; %bb.465:
	v_mov_b32_e32 v5, s2
	s_mov_b32 s4, 0
	s_mov_b32 s8, -1
	global_store_b16 v[3:4], v5, off
.LBB87_466:
	s_mov_b32 s5, 0
.LBB87_467:
	s_delay_alu instid0(SALU_CYCLE_1)
	s_and_b32 vcc_lo, exec_lo, s5
	s_mov_b32 s5, 0
	s_cbranch_vccz .LBB87_469
; %bb.468:
	v_cmp_ne_u16_e64 s4, s3, 11
	s_mov_b32 s5, -1
.LBB87_469:
	s_delay_alu instid0(VALU_DEP_1)
	s_and_b32 vcc_lo, exec_lo, s4
	s_mov_b32 s4, s6
	s_cbranch_vccnz .LBB87_522
; %bb.470:
	s_and_not1_b32 vcc_lo, exec_lo, s5
	s_cbranch_vccnz .LBB87_472
.LBB87_471:
	s_and_b32 s5, s2, 0x7fff7fff
	s_mov_b32 s8, -1
	s_cmp_lg_u32 s5, 0
	s_cselect_b32 s5, -1, 0
	s_delay_alu instid0(SALU_CYCLE_1)
	v_cndmask_b32_e64 v5, 0, 1, s5
	global_store_b8 v[3:4], v5, off
.LBB87_472:
	s_mov_b32 s5, 0
.LBB87_473:
	s_delay_alu instid0(SALU_CYCLE_1)
	s_and_b32 vcc_lo, exec_lo, s5
	s_cbranch_vccz .LBB87_512
; %bb.474:
	v_cmp_lt_i16_e64 s5, s3, 5
	s_delay_alu instid0(VALU_DEP_1)
	s_and_b32 vcc_lo, exec_lo, s5
	s_mov_b32 s5, -1
	s_cbranch_vccnz .LBB87_495
; %bb.475:
	v_cmp_lt_i16_e64 s5, s3, 8
	s_delay_alu instid0(VALU_DEP_1)
	s_and_b32 vcc_lo, exec_lo, s5
	s_mov_b32 s5, -1
	s_cbranch_vccnz .LBB87_485
; %bb.476:
	v_cmp_lt_i16_e64 s5, s3, 9
	s_delay_alu instid0(VALU_DEP_1)
	s_and_b32 vcc_lo, exec_lo, s5
	s_mov_b32 s5, -1
	s_cbranch_vccnz .LBB87_482
; %bb.477:
	v_cmp_gt_i16_e64 s5, s3, 9
	s_delay_alu instid0(VALU_DEP_1)
	s_and_b32 vcc_lo, exec_lo, s5
	s_mov_b32 s5, -1
	s_cbranch_vccz .LBB87_479
; %bb.478:
	s_lshl_b32 s5, s2, 16
	s_and_b32 s8, s2, 0xffff0000
	v_cvt_f64_f32_e32 v[5:6], s5
	v_cvt_f64_f32_e32 v[7:8], s8
	s_mov_b32 s5, 0
	global_store_b128 v[3:4], v[5:8], off
.LBB87_479:
	s_and_not1_b32 vcc_lo, exec_lo, s5
	s_cbranch_vccnz .LBB87_481
; %bb.480:
	s_lshl_b32 s5, s2, 16
	s_and_b32 s8, s2, 0xffff0000
	s_delay_alu instid0(SALU_CYCLE_1)
	v_dual_mov_b32 v5, s5 :: v_dual_mov_b32 v6, s8
	global_store_b64 v[3:4], v[5:6], off
.LBB87_481:
	s_mov_b32 s5, 0
.LBB87_482:
	s_delay_alu instid0(SALU_CYCLE_1)
	s_and_not1_b32 vcc_lo, exec_lo, s5
	s_cbranch_vccnz .LBB87_484
; %bb.483:
	s_and_b32 s5, s2, 0xffff0000
	s_lshl_b32 s8, s2, 16
	v_cvt_f16_f32_e32 v5, s5
	v_cvt_f16_f32_e32 v6, s8
	s_delay_alu instid0(VALU_DEP_2) | instskip(NEXT) | instid1(VALU_DEP_2)
	v_lshlrev_b32_e32 v5, 16, v5
	v_and_b32_e32 v6, 0xffff, v6
	s_delay_alu instid0(VALU_DEP_1)
	v_or_b32_e32 v5, v5, v6
	global_store_b32 v[3:4], v5, off
.LBB87_484:
	s_mov_b32 s5, 0
.LBB87_485:
	s_delay_alu instid0(SALU_CYCLE_1)
	s_and_not1_b32 vcc_lo, exec_lo, s5
	s_cbranch_vccnz .LBB87_494
; %bb.486:
	v_cmp_lt_i16_e64 s5, s3, 6
	s_delay_alu instid0(VALU_DEP_1)
	s_and_b32 vcc_lo, exec_lo, s5
	s_mov_b32 s5, -1
	s_cbranch_vccnz .LBB87_492
; %bb.487:
	v_cmp_gt_i16_e64 s5, s3, 6
	s_delay_alu instid0(VALU_DEP_1)
	s_and_b32 vcc_lo, exec_lo, s5
	s_mov_b32 s5, -1
	s_cbranch_vccz .LBB87_489
; %bb.488:
	s_lshl_b32 s5, s2, 16
	s_delay_alu instid0(SALU_CYCLE_1)
	v_cvt_f64_f32_e32 v[5:6], s5
	s_mov_b32 s5, 0
	global_store_b64 v[3:4], v[5:6], off
.LBB87_489:
	s_and_not1_b32 vcc_lo, exec_lo, s5
	s_cbranch_vccnz .LBB87_491
; %bb.490:
	s_lshl_b32 s5, s2, 16
	s_delay_alu instid0(SALU_CYCLE_1)
	v_mov_b32_e32 v5, s5
	global_store_b32 v[3:4], v5, off
.LBB87_491:
	s_mov_b32 s5, 0
.LBB87_492:
	s_delay_alu instid0(SALU_CYCLE_1)
	s_and_not1_b32 vcc_lo, exec_lo, s5
	s_cbranch_vccnz .LBB87_494
; %bb.493:
	s_lshl_b32 s5, s2, 16
	s_delay_alu instid0(SALU_CYCLE_1)
	v_cvt_f16_f32_e32 v5, s5
	global_store_b16 v[3:4], v5, off
.LBB87_494:
	s_mov_b32 s5, 0
.LBB87_495:
	s_delay_alu instid0(SALU_CYCLE_1)
	s_and_not1_b32 vcc_lo, exec_lo, s5
	s_cbranch_vccnz .LBB87_511
; %bb.496:
	v_cmp_lt_i16_e64 s5, s3, 2
	s_delay_alu instid0(VALU_DEP_1)
	s_and_b32 vcc_lo, exec_lo, s5
	s_mov_b32 s5, -1
	s_cbranch_vccnz .LBB87_506
; %bb.497:
	v_cmp_lt_i16_e64 s5, s3, 3
	s_delay_alu instid0(VALU_DEP_1)
	s_and_b32 vcc_lo, exec_lo, s5
	s_mov_b32 s5, -1
	s_cbranch_vccnz .LBB87_503
; %bb.498:
	v_cmp_gt_i16_e64 s5, s3, 3
	s_delay_alu instid0(VALU_DEP_1)
	s_and_b32 vcc_lo, exec_lo, s5
	s_mov_b32 s5, -1
	s_cbranch_vccz .LBB87_500
; %bb.499:
	s_lshl_b32 s5, s2, 16
	s_delay_alu instid0(SALU_CYCLE_1) | instskip(SKIP_1) | instid1(VALU_DEP_1)
	v_trunc_f32_e32 v5, s5
	s_mov_b32 s5, 0
	v_mul_f32_e64 v6, 0x2f800000, |v5|
	v_ashrrev_i32_e32 v8, 31, v5
	s_delay_alu instid0(VALU_DEP_2) | instskip(NEXT) | instid1(VALU_DEP_1)
	v_floor_f32_e32 v6, v6
	v_fma_f32 v7, 0xcf800000, v6, |v5|
	v_cvt_u32_f32_e32 v6, v6
	s_delay_alu instid0(VALU_DEP_2) | instskip(NEXT) | instid1(VALU_DEP_2)
	v_cvt_u32_f32_e32 v5, v7
	v_xor_b32_e32 v6, v6, v8
	s_delay_alu instid0(VALU_DEP_2) | instskip(NEXT) | instid1(VALU_DEP_1)
	v_xor_b32_e32 v5, v5, v8
	v_sub_co_u32 v5, vcc_lo, v5, v8
	s_delay_alu instid0(VALU_DEP_3)
	v_sub_co_ci_u32_e32 v6, vcc_lo, v6, v8, vcc_lo
	global_store_b64 v[3:4], v[5:6], off
.LBB87_500:
	s_and_not1_b32 vcc_lo, exec_lo, s5
	s_cbranch_vccnz .LBB87_502
; %bb.501:
	s_lshl_b32 s5, s2, 16
	s_delay_alu instid0(SALU_CYCLE_1)
	v_cvt_i32_f32_e32 v5, s5
	global_store_b32 v[3:4], v5, off
.LBB87_502:
	s_mov_b32 s5, 0
.LBB87_503:
	s_delay_alu instid0(SALU_CYCLE_1)
	s_and_not1_b32 vcc_lo, exec_lo, s5
	s_cbranch_vccnz .LBB87_505
; %bb.504:
	s_lshl_b32 s5, s2, 16
	s_delay_alu instid0(SALU_CYCLE_1)
	v_cvt_i32_f32_e32 v5, s5
	global_store_b16 v[3:4], v5, off
.LBB87_505:
	s_mov_b32 s5, 0
.LBB87_506:
	s_delay_alu instid0(SALU_CYCLE_1)
	s_and_not1_b32 vcc_lo, exec_lo, s5
	s_cbranch_vccnz .LBB87_511
; %bb.507:
	v_cmp_gt_i16_e64 s5, s3, 0
	s_delay_alu instid0(VALU_DEP_1)
	s_and_b32 vcc_lo, exec_lo, s5
	s_mov_b32 s5, -1
	s_cbranch_vccz .LBB87_509
; %bb.508:
	s_lshl_b32 s5, s2, 16
	s_delay_alu instid0(SALU_CYCLE_1)
	v_cvt_i32_f32_e32 v5, s5
	s_mov_b32 s5, 0
	global_store_b8 v[3:4], v5, off
.LBB87_509:
	s_and_not1_b32 vcc_lo, exec_lo, s5
	s_cbranch_vccnz .LBB87_511
; %bb.510:
	s_lshl_b32 s5, s2, 16
	s_delay_alu instid0(SALU_CYCLE_1) | instskip(NEXT) | instid1(VALU_DEP_1)
	v_trunc_f32_e32 v5, s5
	v_mul_f32_e64 v6, 0x2f800000, |v5|
	s_delay_alu instid0(VALU_DEP_1) | instskip(NEXT) | instid1(VALU_DEP_1)
	v_floor_f32_e32 v6, v6
	v_fma_f32 v6, 0xcf800000, v6, |v5|
	v_ashrrev_i32_e32 v5, 31, v5
	s_delay_alu instid0(VALU_DEP_2) | instskip(NEXT) | instid1(VALU_DEP_1)
	v_cvt_u32_f32_e32 v6, v6
	v_xor_b32_e32 v6, v6, v5
	s_delay_alu instid0(VALU_DEP_1)
	v_sub_nc_u32_e32 v5, v6, v5
	global_store_b8 v[3:4], v5, off
.LBB87_511:
	s_mov_b32 s8, -1
.LBB87_512:
	s_delay_alu instid0(SALU_CYCLE_1)
	s_and_not1_b32 vcc_lo, exec_lo, s8
	s_cbranch_vccnz .LBB87_910
; %bb.513:
	v_cmp_lt_i16_e64 s5, s3, 11
	v_add_co_u32 v2, s8, s0, v2
	s_delay_alu instid0(VALU_DEP_1) | instskip(SKIP_1) | instid1(VALU_DEP_3)
	v_add_co_ci_u32_e64 v3, null, s1, 0, s8
	s_mov_b32 s9, 0
	s_and_b32 vcc_lo, exec_lo, s5
	s_mov_b32 s5, -1
	s_cbranch_vccnz .LBB87_729
; %bb.514:
	v_cmp_gt_i16_e64 s5, s3, 25
	s_mov_b32 s10, -1
	s_mov_b32 s8, 0
	s_delay_alu instid0(VALU_DEP_1)
	s_and_b32 vcc_lo, exec_lo, s5
	s_mov_b32 s5, 0
	s_cbranch_vccz .LBB87_556
; %bb.515:
	v_cmp_gt_i16_e64 s5, s3, 28
	s_delay_alu instid0(VALU_DEP_1)
	s_and_b32 vcc_lo, exec_lo, s5
	s_cbranch_vccz .LBB87_520
; %bb.516:
	v_cmp_gt_i16_e64 s5, s3, 43
	s_delay_alu instid0(VALU_DEP_1)
	s_and_b32 vcc_lo, exec_lo, s5
	;; [unrolled: 5-line block ×3, first 2 shown]
	s_cbranch_vccz .LBB87_524
; %bb.518:
	v_cmp_eq_u16_e64 s9, s3, 46
	s_mov_b32 s5, -1
	s_mov_b32 s10, 0
	s_delay_alu instid0(VALU_DEP_1)
	s_and_b32 vcc_lo, exec_lo, s9
	s_mov_b32 s9, 0
	s_cbranch_vccz .LBB87_525
; %bb.519:
	v_mov_b32_e32 v4, s2
	s_mov_b32 s5, 0
	s_mov_b32 s9, -1
	global_store_b32 v[2:3], v4, off
	s_branch .LBB87_525
.LBB87_520:
	s_mov_b32 s5, 0
	s_branch .LBB87_535
.LBB87_521:
	s_mov_b32 s5, 0
	s_branch .LBB87_531
.LBB87_522:
	s_cbranch_execnz .LBB87_546
; %bb.523:
	s_or_b32 s4, s6, exec_lo
	s_cbranch_execz .LBB87_471
	s_branch .LBB87_472
.LBB87_524:
	s_mov_b32 s5, 0
.LBB87_525:
	s_and_b32 vcc_lo, exec_lo, s10
	s_cbranch_vccz .LBB87_530
; %bb.526:
	v_cmp_eq_u16_e64 s5, s3, 44
	s_delay_alu instid0(VALU_DEP_1)
	s_and_b32 vcc_lo, exec_lo, s5
	s_mov_b32 s5, -1
	s_cbranch_vccz .LBB87_530
; %bb.527:
	s_lshl_b32 s5, s2, 16
	v_mov_b32_e32 v4, 0xff
	s_bfe_u32 s9, s5, 0x80017
	s_delay_alu instid0(SALU_CYCLE_1)
	s_cmpk_eq_i32 s9, 0xff
	s_cbranch_scc1 .LBB87_529
; %bb.528:
	s_bfe_u32 s10, s2, 0x90007
	s_bitcmp1_b32 s2, 6
	s_cselect_b32 s11, -1, 0
	s_and_b32 s5, s5, 0x3f0000
	s_delay_alu instid0(SALU_CYCLE_1) | instskip(NEXT) | instid1(SALU_CYCLE_1)
	s_or_b32 s5, s9, s5
	s_cmp_lg_u32 s5, 0
	s_cselect_b32 s5, -1, 0
	s_delay_alu instid0(SALU_CYCLE_1) | instskip(NEXT) | instid1(SALU_CYCLE_1)
	s_and_b32 s5, s11, s5
	v_cndmask_b32_e64 v4, 0, 1, s5
	s_delay_alu instid0(VALU_DEP_1)
	v_add_nc_u32_e32 v4, s10, v4
.LBB87_529:
	s_mov_b32 s5, 0
	s_mov_b32 s9, -1
	global_store_b8 v[2:3], v4, off
.LBB87_530:
	s_mov_b32 s10, 0
.LBB87_531:
	s_delay_alu instid0(SALU_CYCLE_1)
	s_and_b32 vcc_lo, exec_lo, s10
	s_cbranch_vccz .LBB87_534
; %bb.532:
	v_cmp_eq_u16_e64 s5, s3, 29
	s_delay_alu instid0(VALU_DEP_1)
	s_and_b32 vcc_lo, exec_lo, s5
	s_mov_b32 s5, -1
	s_cbranch_vccz .LBB87_534
; %bb.533:
	s_lshl_b32 s5, s2, 16
	s_mov_b32 s9, -1
	v_trunc_f32_e32 v4, s5
	s_mov_b32 s5, 0
	s_mov_b32 s10, 0
	s_delay_alu instid0(VALU_DEP_1) | instskip(NEXT) | instid1(VALU_DEP_1)
	v_mul_f32_e32 v5, 0x2f800000, v4
	v_floor_f32_e32 v5, v5
	s_delay_alu instid0(VALU_DEP_1) | instskip(SKIP_1) | instid1(VALU_DEP_2)
	v_fmamk_f32 v4, v5, 0xcf800000, v4
	v_cvt_u32_f32_e32 v5, v5
	v_cvt_u32_f32_e32 v4, v4
	global_store_b64 v[2:3], v[4:5], off
	s_branch .LBB87_535
.LBB87_534:
	s_mov_b32 s10, 0
.LBB87_535:
	s_delay_alu instid0(SALU_CYCLE_1)
	s_and_b32 vcc_lo, exec_lo, s10
	s_cbranch_vccz .LBB87_555
; %bb.536:
	v_cmp_lt_i16_e64 s9, s3, 27
	s_delay_alu instid0(VALU_DEP_1)
	s_and_b32 vcc_lo, exec_lo, s9
	s_mov_b32 s9, -1
	s_cbranch_vccnz .LBB87_542
; %bb.537:
	v_cmp_gt_i16_e64 s9, s3, 27
	s_delay_alu instid0(VALU_DEP_1)
	s_and_b32 vcc_lo, exec_lo, s9
	s_mov_b32 s9, -1
	s_cbranch_vccz .LBB87_539
; %bb.538:
	s_lshl_b32 s9, s2, 16
	s_delay_alu instid0(SALU_CYCLE_1)
	v_cvt_u32_f32_e32 v4, s9
	s_mov_b32 s9, 0
	global_store_b32 v[2:3], v4, off
.LBB87_539:
	s_and_not1_b32 vcc_lo, exec_lo, s9
	s_cbranch_vccnz .LBB87_541
; %bb.540:
	s_lshl_b32 s9, s2, 16
	s_delay_alu instid0(SALU_CYCLE_1)
	v_cvt_u32_f32_e32 v4, s9
	global_store_b16 v[2:3], v4, off
.LBB87_541:
	s_mov_b32 s9, 0
.LBB87_542:
	s_delay_alu instid0(SALU_CYCLE_1)
	s_and_not1_b32 vcc_lo, exec_lo, s9
	s_cbranch_vccnz .LBB87_554
; %bb.543:
	s_lshl_b32 s9, s2, 16
	v_mov_b32_e32 v5, 0x80
	s_and_b32 s10, s9, 0x7fffffff
	s_delay_alu instid0(SALU_CYCLE_1)
	s_cmp_gt_u32 s10, 0x437fffff
	s_cbranch_scc1 .LBB87_553
; %bb.544:
	s_cmp_gt_u32 s10, 0x3bffffff
	s_cbranch_scc0 .LBB87_548
; %bb.545:
	s_bfe_u32 s10, s9, 0x10014
	s_mov_b32 s11, 0
	s_add_i32 s10, s9, s10
	s_delay_alu instid0(SALU_CYCLE_1) | instskip(NEXT) | instid1(SALU_CYCLE_1)
	s_add_i32 s10, s10, 0x487ffff
	s_lshr_b32 s12, s10, 20
	s_mov_b32 s10, -1
	s_branch .LBB87_549
.LBB87_546:
	s_trap 2
	s_sendmsg_rtn_b32 s0, sendmsg(MSG_RTN_GET_DOORBELL)
	s_mov_b32 ttmp2, m0
	s_waitcnt lgkmcnt(0)
	s_and_b32 s0, s0, 0x3ff
	s_delay_alu instid0(SALU_CYCLE_1) | instskip(NEXT) | instid1(SALU_CYCLE_1)
	s_bitset1_b32 s0, 10
	s_mov_b32 m0, s0
	s_sendmsg sendmsg(MSG_INTERRUPT)
	s_mov_b32 m0, ttmp2
.LBB87_547:                             ; =>This Inner Loop Header: Depth=1
	s_sethalt 5
	s_branch .LBB87_547
.LBB87_548:
	s_mov_b32 s11, -1
	s_mov_b32 s10, 0
                                        ; implicit-def: $sgpr12
.LBB87_549:
	v_mov_b32_e32 v4, s12
	s_and_not1_b32 vcc_lo, exec_lo, s11
                                        ; implicit-def: $sgpr11
	s_cbranch_vccnz .LBB87_551
; %bb.550:
	v_add_f32_e64 v4, 0x46000000, |s9|
	s_mov_b32 s11, 0
	s_delay_alu instid0(VALU_DEP_1) | instskip(NEXT) | instid1(VALU_DEP_1)
	v_and_b32_e32 v4, 0xff, v4
	v_cmp_ne_u32_e64 s10, 0, v4
.LBB87_551:
	v_mov_b32_e32 v5, s11
	s_delay_alu instid0(VALU_DEP_2)
	s_and_not1_b32 vcc_lo, exec_lo, s10
	s_cbranch_vccnz .LBB87_553
; %bb.552:
	s_lshr_b32 s9, s9, 24
	s_delay_alu instid0(SALU_CYCLE_1) | instskip(NEXT) | instid1(SALU_CYCLE_1)
	s_and_b32 s9, s9, 0x80
	v_or_b32_e32 v5, s9, v4
.LBB87_553:
	global_store_b8 v[2:3], v5, off
.LBB87_554:
	s_mov_b32 s9, -1
.LBB87_555:
	s_mov_b32 s10, 0
.LBB87_556:
	s_delay_alu instid0(SALU_CYCLE_1)
	s_and_b32 vcc_lo, exec_lo, s10
	s_cbranch_vccz .LBB87_725
; %bb.557:
	v_cmp_gt_i16_e64 s8, s3, 22
	s_delay_alu instid0(VALU_DEP_1)
	s_and_b32 vcc_lo, exec_lo, s8
	s_mov_b32 s8, -1
	s_cbranch_vccz .LBB87_718
; %bb.558:
	v_cmp_lt_i16_e64 s8, s3, 24
	s_delay_alu instid0(VALU_DEP_1)
	s_and_b32 vcc_lo, exec_lo, s8
	s_mov_b32 s8, -1
	s_cbranch_vccnz .LBB87_705
; %bb.559:
	v_cmp_gt_i16_e64 s8, s3, 24
	s_delay_alu instid0(VALU_DEP_1)
	s_and_b32 vcc_lo, exec_lo, s8
	s_mov_b32 s8, -1
	s_cbranch_vccz .LBB87_692
; %bb.560:
	s_lshl_b32 s8, s2, 16
	v_mov_b32_e32 v5, 0x80
	s_and_b32 s9, s8, 0x7fffffff
	s_delay_alu instid0(SALU_CYCLE_1)
	s_cmp_gt_u32 s9, 0x477fffff
	s_cbranch_scc1 .LBB87_691
; %bb.561:
	s_cmp_gt_u32 s9, 0x37ffffff
	s_cbranch_scc0 .LBB87_686
; %bb.562:
	s_bfe_u32 s9, s8, 0x10015
	s_mov_b32 s10, 0
	s_add_i32 s9, s8, s9
	s_delay_alu instid0(SALU_CYCLE_1) | instskip(NEXT) | instid1(SALU_CYCLE_1)
	s_add_i32 s9, s9, 0x88fffff
	s_lshr_b32 s11, s9, 21
	s_mov_b32 s9, -1
	s_branch .LBB87_687
.LBB87_563:
	s_mov_b32 s16, s56
.LBB87_564:
	s_and_b32 vcc_lo, exec_lo, s18
	s_cbranch_vccz .LBB87_567
; %bb.565:
	v_cmp_eq_u16_e32 vcc_lo, 44, v17
	s_mov_b32 s16, -1
	s_cbranch_vccz .LBB87_567
; %bb.566:
	v_cndmask_b32_e64 v18, v16, 0xff, s49
	s_mov_b32 s17, -1
	s_mov_b32 s16, 0
	global_store_b8 v[8:9], v18, off
.LBB87_567:
	s_mov_b32 s18, 0
.LBB87_568:
	s_delay_alu instid0(SALU_CYCLE_1)
	s_and_b32 vcc_lo, exec_lo, s18
	s_cbranch_vccz .LBB87_571
; %bb.569:
	v_cmp_eq_u16_e32 vcc_lo, 29, v17
	s_mov_b32 s16, -1
	s_cbranch_vccz .LBB87_571
; %bb.570:
	s_mov_b32 s17, -1
	s_mov_b32 s16, 0
	global_store_b64 v[8:9], v[6:7], off
.LBB87_571:
	s_mov_b32 s18, 0
.LBB87_572:
	s_delay_alu instid0(SALU_CYCLE_1)
	s_and_b32 vcc_lo, exec_lo, s18
	s_cbranch_vccz .LBB87_585
; %bb.573:
	v_cmp_gt_i16_e32 vcc_lo, 27, v17
	s_mov_b32 s17, -1
	s_cbranch_vccnz .LBB87_579
; %bb.574:
	v_cmp_lt_i16_e32 vcc_lo, 27, v17
	s_cbranch_vccz .LBB87_576
; %bb.575:
	s_mov_b32 s17, 0
	global_store_b32 v[8:9], v15, off
.LBB87_576:
	s_and_not1_b32 vcc_lo, exec_lo, s17
	s_cbranch_vccnz .LBB87_578
; %bb.577:
	global_store_b16 v[8:9], v15, off
.LBB87_578:
	s_mov_b32 s17, 0
.LBB87_579:
	s_delay_alu instid0(SALU_CYCLE_1)
	s_and_not1_b32 vcc_lo, exec_lo, s17
	s_cbranch_vccnz .LBB87_584
; %bb.580:
	s_and_not1_b32 vcc_lo, exec_lo, s47
	s_movk_i32 s17, 0x80
	s_cbranch_vccnz .LBB87_583
; %bb.581:
	s_or_b32 s17, s45, s48
	s_delay_alu instid0(SALU_CYCLE_1)
	s_and_not1_b32 vcc_lo, exec_lo, s17
	s_mov_b32 s17, 0
	s_cbranch_vccnz .LBB87_583
; %bb.582:
	s_and_b32 s17, s45, exec_lo
	s_cselect_b32 s17, s46, s44
	s_delay_alu instid0(SALU_CYCLE_1)
	s_or_b32 s17, s17, s27
.LBB87_583:
	s_delay_alu instid0(SALU_CYCLE_1)
	v_mov_b32_e32 v18, s17
	global_store_b8 v[8:9], v18, off
.LBB87_584:
	s_mov_b32 s17, -1
.LBB87_585:
	s_mov_b32 s18, 0
.LBB87_586:
	s_delay_alu instid0(SALU_CYCLE_1)
	s_and_b32 vcc_lo, exec_lo, s18
	s_cbranch_vccz .LBB87_608
; %bb.587:
	v_cmp_lt_i16_e32 vcc_lo, 22, v17
	s_mov_b32 s18, -1
	s_cbranch_vccz .LBB87_600
; %bb.588:
	v_cmp_gt_i16_e32 vcc_lo, 24, v17
	s_mov_b32 s17, -1
	s_cbranch_vccnz .LBB87_597
; %bb.589:
	v_cmp_lt_i16_e32 vcc_lo, 24, v17
	s_cbranch_vccz .LBB87_594
; %bb.590:
	s_and_not1_b32 vcc_lo, exec_lo, s40
	s_movk_i32 s17, 0x80
	s_cbranch_vccnz .LBB87_593
; %bb.591:
	s_or_b32 s17, s36, s41
	s_delay_alu instid0(SALU_CYCLE_1)
	s_and_not1_b32 vcc_lo, exec_lo, s17
	s_mov_b32 s17, 0
	s_cbranch_vccnz .LBB87_593
; %bb.592:
	s_and_b32 s17, s36, exec_lo
	s_cselect_b32 s17, s38, s35
	s_delay_alu instid0(SALU_CYCLE_1)
	s_or_b32 s17, s17, s27
.LBB87_593:
	s_delay_alu instid0(SALU_CYCLE_1)
	v_mov_b32_e32 v18, s17
	s_mov_b32 s17, 0
	global_store_b8 v[8:9], v18, off
.LBB87_594:
	s_and_b32 vcc_lo, exec_lo, s17
	s_cbranch_vccz .LBB87_596
; %bb.595:
	s_and_b32 s17, s31, exec_lo
	s_cselect_b32 s17, s43, s37
	s_and_b32 s18, s29, exec_lo
	s_cselect_b32 s17, s39, s17
	s_delay_alu instid0(SALU_CYCLE_1) | instskip(NEXT) | instid1(SALU_CYCLE_1)
	s_or_b32 s17, s17, s27
	v_mov_b32_e32 v18, s17
	global_store_b8 v[8:9], v18, off
.LBB87_596:
	s_mov_b32 s17, 0
.LBB87_597:
	s_delay_alu instid0(SALU_CYCLE_1)
	s_and_not1_b32 vcc_lo, exec_lo, s17
	s_cbranch_vccnz .LBB87_599
; %bb.598:
	s_and_b32 s17, s30, exec_lo
	s_cselect_b32 s17, s42, s33
	s_and_b32 s18, s28, exec_lo
	s_cselect_b32 s17, s34, s17
	s_delay_alu instid0(SALU_CYCLE_1) | instskip(NEXT) | instid1(SALU_CYCLE_1)
	s_or_b32 s17, s17, s27
	v_mov_b32_e32 v18, s17
	global_store_b8 v[8:9], v18, off
.LBB87_599:
	s_mov_b32 s18, 0
	s_mov_b32 s17, -1
.LBB87_600:
	s_and_not1_b32 vcc_lo, exec_lo, s18
	s_cbranch_vccnz .LBB87_608
; %bb.601:
	v_cmp_lt_i16_e32 vcc_lo, 14, v17
	s_mov_b32 s18, -1
	s_cbranch_vccz .LBB87_605
; %bb.602:
	v_cmp_eq_u16_e32 vcc_lo, 15, v17
	s_mov_b32 s16, -1
	s_cbranch_vccz .LBB87_604
; %bb.603:
	v_mov_b32_e32 v18, s6
	s_mov_b32 s17, -1
	s_mov_b32 s16, 0
	global_store_b16 v[8:9], v18, off
.LBB87_604:
	s_mov_b32 s18, 0
.LBB87_605:
	s_delay_alu instid0(SALU_CYCLE_1)
	s_and_b32 vcc_lo, exec_lo, s18
	s_cbranch_vccz .LBB87_608
; %bb.606:
	v_cmp_eq_u16_e32 vcc_lo, 11, v17
	s_mov_b32 s16, -1
	s_cbranch_vccz .LBB87_608
; %bb.607:
	s_mov_b32 s17, -1
	s_mov_b32 s16, 0
	global_store_b8 v[8:9], v14, off
.LBB87_608:
.LBB87_609:
	s_and_not1_b32 vcc_lo, exec_lo, s17
	s_cbranch_vccnz .LBB87_426
.LBB87_610:
	v_add_nc_u32_e32 v12, 0x80, v12
	s_mov_b32 s17, -1
.LBB87_611:
	s_and_not1_b32 s18, s56, exec_lo
	s_and_b32 s16, s16, exec_lo
	s_or_not1_b32 s59, s17, exec_lo
	s_or_b32 s18, s18, s16
.LBB87_612:
	s_or_b32 exec_lo, exec_lo, s58
	s_mov_b32 s16, 0
	s_mov_b32 s17, 0
                                        ; implicit-def: $vgpr17
                                        ; implicit-def: $vgpr8_vgpr9
	s_and_saveexec_b32 s19, s59
	s_cbranch_execz .LBB87_680
; %bb.613:
	v_cmp_gt_i32_e32 vcc_lo, s51, v12
	s_mov_b32 s58, s18
                                        ; implicit-def: $vgpr17
                                        ; implicit-def: $vgpr8_vgpr9
	s_and_saveexec_b32 s51, vcc_lo
	s_cbranch_execz .LBB87_679
; %bb.614:
	s_and_not1_b32 vcc_lo, exec_lo, s23
	s_cbranch_vccnz .LBB87_619
; %bb.615:
	v_mov_b32_e32 v8, 0
	s_and_not1_b32 vcc_lo, exec_lo, s53
	s_cbranch_vccnz .LBB87_624
; %bb.616:
	s_add_i32 s53, s52, 1
	s_cmp_eq_u32 s21, 2
	s_mov_b32 s52, 0
	s_cbranch_scc1 .LBB87_620
; %bb.617:
	v_dual_mov_b32 v8, 0 :: v_dual_mov_b32 v9, v12
	s_and_b32 s52, s53, 28
	s_mov_b32 s58, 0
	s_mov_b64 s[16:17], s[0:1]
.LBB87_618:                             ; =>This Inner Loop Header: Depth=1
	s_clause 0x1
	s_load_b256 s[60:67], s[16:17], 0x4
	s_load_b128 s[68:71], s[16:17], 0x24
	s_load_b128 s[72:75], s[14:15], 0x0
	s_add_u32 s16, s16, 48
	s_addc_u32 s17, s17, 0
	s_add_i32 s58, s58, 4
	s_add_u32 s14, s14, 16
	s_addc_u32 s15, s15, 0
	s_cmp_eq_u32 s52, s58
	s_waitcnt lgkmcnt(0)
	v_mul_hi_u32 v17, s61, v9
	s_delay_alu instid0(VALU_DEP_1) | instskip(NEXT) | instid1(VALU_DEP_1)
	v_add_nc_u32_e32 v17, v9, v17
	v_lshrrev_b32_e32 v17, s62, v17
	s_delay_alu instid0(VALU_DEP_1) | instskip(SKIP_1) | instid1(VALU_DEP_2)
	v_mul_hi_u32 v18, s64, v17
	v_mul_lo_u32 v21, v17, s60
	v_add_nc_u32_e32 v18, v17, v18
	s_delay_alu instid0(VALU_DEP_2) | instskip(NEXT) | instid1(VALU_DEP_2)
	v_sub_nc_u32_e32 v21, v9, v21
	v_lshrrev_b32_e32 v18, s65, v18
	s_delay_alu instid0(VALU_DEP_2) | instskip(NEXT) | instid1(VALU_DEP_2)
	v_mul_lo_u32 v21, v21, s72
	v_mul_hi_u32 v19, s67, v18
	v_mul_lo_u32 v22, v18, s63
	s_delay_alu instid0(VALU_DEP_2) | instskip(NEXT) | instid1(VALU_DEP_2)
	v_add_nc_u32_e32 v19, v18, v19
	v_sub_nc_u32_e32 v17, v17, v22
	s_delay_alu instid0(VALU_DEP_2) | instskip(NEXT) | instid1(VALU_DEP_2)
	v_lshrrev_b32_e32 v19, s68, v19
	v_mul_lo_u32 v17, v17, s73
	s_delay_alu instid0(VALU_DEP_2) | instskip(NEXT) | instid1(VALU_DEP_2)
	v_mul_hi_u32 v20, s70, v19
	v_add3_u32 v8, v21, v8, v17
	s_delay_alu instid0(VALU_DEP_2) | instskip(NEXT) | instid1(VALU_DEP_1)
	v_add_nc_u32_e32 v20, v19, v20
	v_lshrrev_b32_e32 v9, s71, v20
	v_mul_lo_u32 v20, v19, s66
	s_delay_alu instid0(VALU_DEP_2) | instskip(NEXT) | instid1(VALU_DEP_2)
	v_mul_lo_u32 v23, v9, s69
	v_sub_nc_u32_e32 v18, v18, v20
	s_delay_alu instid0(VALU_DEP_2) | instskip(NEXT) | instid1(VALU_DEP_2)
	v_sub_nc_u32_e32 v19, v19, v23
	v_mul_lo_u32 v18, v18, s74
	s_delay_alu instid0(VALU_DEP_2) | instskip(NEXT) | instid1(VALU_DEP_1)
	v_mul_lo_u32 v19, v19, s75
	v_add3_u32 v8, v18, v8, v19
	s_cbranch_scc0 .LBB87_618
	s_branch .LBB87_621
.LBB87_619:
	s_mov_b32 s14, -1
                                        ; implicit-def: $vgpr8
	s_branch .LBB87_625
.LBB87_620:
	v_mov_b32_e32 v9, v12
.LBB87_621:
	s_and_b32 s53, s53, 3
	s_delay_alu instid0(SALU_CYCLE_1)
	s_cmp_eq_u32 s53, 0
	s_cbranch_scc1 .LBB87_624
; %bb.622:
	s_lshl_b32 s14, s52, 2
	s_mul_i32 s16, s52, 12
	s_add_u32 s14, s14, s0
	s_addc_u32 s15, s1, 0
	s_add_u32 s14, s14, 0xc4
	s_addc_u32 s15, s15, 0
	;; [unrolled: 2-line block ×3, first 2 shown]
.LBB87_623:                             ; =>This Inner Loop Header: Depth=1
	s_clause 0x1
	s_load_b64 s[58:59], s[16:17], 0x4
	s_load_b32 s52, s[16:17], 0xc
	s_add_u32 s16, s16, 12
	s_addc_u32 s17, s17, 0
	s_waitcnt lgkmcnt(0)
	v_mul_hi_u32 v17, s59, v9
	s_load_b32 s59, s[14:15], 0x0
	s_add_u32 s14, s14, 4
	s_addc_u32 s15, s15, 0
	s_add_i32 s53, s53, -1
	s_delay_alu instid0(SALU_CYCLE_1) | instskip(NEXT) | instid1(VALU_DEP_1)
	s_cmp_lg_u32 s53, 0
	v_add_nc_u32_e32 v17, v9, v17
	s_delay_alu instid0(VALU_DEP_1) | instskip(NEXT) | instid1(VALU_DEP_1)
	v_lshrrev_b32_e32 v19, s52, v17
	v_mul_lo_u32 v17, v19, s58
	s_delay_alu instid0(VALU_DEP_1) | instskip(SKIP_1) | instid1(VALU_DEP_1)
	v_sub_nc_u32_e32 v9, v9, v17
	s_waitcnt lgkmcnt(0)
	v_mad_u64_u32 v[17:18], null, v9, s59, v[8:9]
	s_delay_alu instid0(VALU_DEP_1)
	v_dual_mov_b32 v9, v19 :: v_dual_mov_b32 v8, v17
	s_cbranch_scc1 .LBB87_623
.LBB87_624:
	s_mov_b32 s14, 0
.LBB87_625:
	s_delay_alu instid0(SALU_CYCLE_1)
	s_and_not1_b32 vcc_lo, exec_lo, s14
	s_cbranch_vccnz .LBB87_628
; %bb.626:
	s_waitcnt lgkmcnt(0)
	v_mul_hi_u32 v8, s9, v12
	s_and_not1_b32 vcc_lo, exec_lo, s50
	s_delay_alu instid0(VALU_DEP_1) | instskip(NEXT) | instid1(VALU_DEP_1)
	v_add_nc_u32_e32 v8, v12, v8
	v_lshrrev_b32_e32 v9, s10, v8
	s_delay_alu instid0(VALU_DEP_1) | instskip(NEXT) | instid1(VALU_DEP_1)
	v_mul_lo_u32 v8, v9, s8
	v_sub_nc_u32_e32 v8, v12, v8
	s_delay_alu instid0(VALU_DEP_1)
	v_mul_lo_u32 v8, v8, s2
	s_cbranch_vccnz .LBB87_628
; %bb.627:
	v_mul_hi_u32 v12, s12, v9
	s_delay_alu instid0(VALU_DEP_1) | instskip(NEXT) | instid1(VALU_DEP_1)
	v_add_nc_u32_e32 v12, v9, v12
	v_lshrrev_b32_e32 v12, s13, v12
	s_delay_alu instid0(VALU_DEP_1) | instskip(NEXT) | instid1(VALU_DEP_1)
	v_mul_lo_u32 v12, v12, s11
	v_sub_nc_u32_e32 v9, v9, v12
	s_delay_alu instid0(VALU_DEP_1) | instskip(NEXT) | instid1(VALU_DEP_1)
	v_mad_u64_u32 v[17:18], null, v9, s3, v[8:9]
	v_mov_b32_e32 v8, v17
.LBB87_628:
	v_and_b32_e64 v17, 0xff, s7
	s_waitcnt lgkmcnt(0)
	s_delay_alu instid0(VALU_DEP_2) | instskip(NEXT) | instid1(VALU_DEP_1)
	v_add_co_u32 v8, s2, s4, v8
	v_add_co_ci_u32_e64 v9, null, s5, 0, s2
	s_delay_alu instid0(VALU_DEP_3)
	v_cmp_gt_i16_e32 vcc_lo, 11, v17
	s_mov_b32 s7, 0
	s_mov_b32 s3, -1
	s_mov_b32 s2, s18
	s_cbranch_vccnz .LBB87_678
; %bb.629:
	v_cmp_lt_i16_e32 vcc_lo, 25, v17
	s_mov_b32 s2, s18
	s_cbranch_vccz .LBB87_657
; %bb.630:
	v_cmp_lt_i16_e32 vcc_lo, 28, v17
	s_mov_b32 s2, s18
	s_cbranch_vccz .LBB87_644
	;; [unrolled: 4-line block ×4, first 2 shown]
; %bb.633:
	v_cmp_eq_u16_e32 vcc_lo, 46, v17
	s_mov_b32 s2, -1
	s_cbranch_vccz .LBB87_635
; %bb.634:
	v_mov_b32_e32 v12, s6
	s_mov_b32 s2, 0
	global_store_b32 v[8:9], v12, off
.LBB87_635:
	s_mov_b32 s3, 0
.LBB87_636:
	s_delay_alu instid0(SALU_CYCLE_1)
	s_and_b32 vcc_lo, exec_lo, s3
	s_cbranch_vccz .LBB87_639
; %bb.637:
	v_cmp_eq_u16_e32 vcc_lo, 44, v17
	s_mov_b32 s2, -1
	s_cbranch_vccz .LBB87_639
; %bb.638:
	v_cndmask_b32_e64 v12, v16, 0xff, s49
	s_mov_b32 s2, 0
	global_store_b8 v[8:9], v12, off
.LBB87_639:
	s_mov_b32 s3, 0
.LBB87_640:
	s_delay_alu instid0(SALU_CYCLE_1)
	s_and_b32 vcc_lo, exec_lo, s3
	s_cbranch_vccz .LBB87_643
; %bb.641:
	v_cmp_eq_u16_e32 vcc_lo, 29, v17
	s_mov_b32 s2, -1
	s_cbranch_vccz .LBB87_643
; %bb.642:
	s_mov_b32 s2, 0
	global_store_b64 v[8:9], v[6:7], off
.LBB87_643:
	s_mov_b32 s3, 0
.LBB87_644:
	s_delay_alu instid0(SALU_CYCLE_1)
	s_and_b32 vcc_lo, exec_lo, s3
	s_cbranch_vccz .LBB87_656
; %bb.645:
	v_cmp_gt_i16_e32 vcc_lo, 27, v17
	s_mov_b32 s3, -1
	s_cbranch_vccnz .LBB87_651
; %bb.646:
	v_cmp_lt_i16_e32 vcc_lo, 27, v17
	s_cbranch_vccz .LBB87_648
; %bb.647:
	s_mov_b32 s3, 0
	global_store_b32 v[8:9], v15, off
.LBB87_648:
	s_and_not1_b32 vcc_lo, exec_lo, s3
	s_cbranch_vccnz .LBB87_650
; %bb.649:
	global_store_b16 v[8:9], v15, off
.LBB87_650:
	s_mov_b32 s3, 0
.LBB87_651:
	s_delay_alu instid0(SALU_CYCLE_1)
	s_and_not1_b32 vcc_lo, exec_lo, s3
	s_cbranch_vccnz .LBB87_656
; %bb.652:
	s_and_not1_b32 vcc_lo, exec_lo, s47
	s_movk_i32 s3, 0x80
	s_cbranch_vccnz .LBB87_655
; %bb.653:
	s_or_b32 s3, s45, s48
	s_delay_alu instid0(SALU_CYCLE_1)
	s_and_not1_b32 vcc_lo, exec_lo, s3
	s_mov_b32 s3, 0
	s_cbranch_vccnz .LBB87_655
; %bb.654:
	s_and_b32 s3, s45, exec_lo
	s_cselect_b32 s3, s46, s44
	s_delay_alu instid0(SALU_CYCLE_1)
	s_or_b32 s3, s3, s27
.LBB87_655:
	s_delay_alu instid0(SALU_CYCLE_1)
	v_mov_b32_e32 v6, s3
	global_store_b8 v[8:9], v6, off
.LBB87_656:
	s_mov_b32 s3, 0
.LBB87_657:
	s_delay_alu instid0(SALU_CYCLE_1)
	s_and_b32 vcc_lo, exec_lo, s3
	s_mov_b32 s3, 0
	s_cbranch_vccz .LBB87_678
; %bb.658:
	v_cmp_lt_i16_e32 vcc_lo, 22, v17
	s_mov_b32 s4, -1
	s_cbranch_vccz .LBB87_671
; %bb.659:
	v_cmp_gt_i16_e32 vcc_lo, 24, v17
	s_cbranch_vccnz .LBB87_668
; %bb.660:
	v_cmp_lt_i16_e32 vcc_lo, 24, v17
	s_cbranch_vccz .LBB87_665
; %bb.661:
	s_and_not1_b32 vcc_lo, exec_lo, s40
	s_movk_i32 s4, 0x80
	s_cbranch_vccnz .LBB87_664
; %bb.662:
	s_or_b32 s4, s36, s41
	s_delay_alu instid0(SALU_CYCLE_1)
	s_and_not1_b32 vcc_lo, exec_lo, s4
	s_mov_b32 s4, 0
	s_cbranch_vccnz .LBB87_664
; %bb.663:
	s_and_b32 s4, s36, exec_lo
	s_cselect_b32 s4, s38, s35
	s_delay_alu instid0(SALU_CYCLE_1)
	s_or_b32 s4, s4, s27
.LBB87_664:
	s_delay_alu instid0(SALU_CYCLE_1)
	v_mov_b32_e32 v6, s4
	s_mov_b32 s4, 0
	global_store_b8 v[8:9], v6, off
.LBB87_665:
	s_and_b32 vcc_lo, exec_lo, s4
	s_cbranch_vccz .LBB87_667
; %bb.666:
	s_and_b32 s4, s31, exec_lo
	s_cselect_b32 s4, s43, s37
	s_and_b32 s5, s29, exec_lo
	s_cselect_b32 s4, s39, s4
	s_delay_alu instid0(SALU_CYCLE_1) | instskip(NEXT) | instid1(SALU_CYCLE_1)
	s_or_b32 s4, s4, s27
	v_mov_b32_e32 v6, s4
	global_store_b8 v[8:9], v6, off
.LBB87_667:
	s_mov_b32 s4, 0
.LBB87_668:
	s_delay_alu instid0(SALU_CYCLE_1)
	s_and_not1_b32 vcc_lo, exec_lo, s4
	s_cbranch_vccnz .LBB87_670
; %bb.669:
	s_and_b32 s4, s30, exec_lo
	s_cselect_b32 s4, s42, s33
	s_and_b32 s5, s28, exec_lo
	s_cselect_b32 s4, s34, s4
	s_delay_alu instid0(SALU_CYCLE_1) | instskip(NEXT) | instid1(SALU_CYCLE_1)
	s_or_b32 s4, s4, s27
	v_mov_b32_e32 v6, s4
	global_store_b8 v[8:9], v6, off
.LBB87_670:
	s_mov_b32 s4, 0
.LBB87_671:
	s_delay_alu instid0(SALU_CYCLE_1)
	s_and_not1_b32 vcc_lo, exec_lo, s4
	s_cbranch_vccnz .LBB87_678
; %bb.672:
	v_cmp_lt_i16_e32 vcc_lo, 14, v17
	s_mov_b32 s4, -1
	s_cbranch_vccz .LBB87_676
; %bb.673:
	v_cmp_eq_u16_e32 vcc_lo, 15, v17
	s_mov_b32 s2, -1
	s_cbranch_vccz .LBB87_675
; %bb.674:
	v_mov_b32_e32 v6, s6
	s_mov_b32 s2, 0
	global_store_b16 v[8:9], v6, off
.LBB87_675:
	s_mov_b32 s4, 0
.LBB87_676:
	s_delay_alu instid0(SALU_CYCLE_1)
	s_and_b32 vcc_lo, exec_lo, s4
	s_cbranch_vccz .LBB87_678
; %bb.677:
	v_cmp_ne_u16_e32 vcc_lo, 11, v17
	s_and_not1_b32 s2, s2, exec_lo
	s_mov_b32 s7, -1
	s_and_b32 s4, vcc_lo, exec_lo
	s_delay_alu instid0(SALU_CYCLE_1)
	s_or_b32 s2, s2, s4
.LBB87_678:
	s_and_b32 s17, s3, exec_lo
	s_and_not1_b32 s3, s18, exec_lo
	s_and_b32 s2, s2, exec_lo
	s_and_b32 s16, s7, exec_lo
	s_or_b32 s58, s3, s2
.LBB87_679:
	s_or_b32 exec_lo, exec_lo, s51
	s_waitcnt lgkmcnt(0)
	s_and_not1_b32 s2, s18, exec_lo
	s_and_b32 s3, s58, exec_lo
	s_and_b32 s17, s17, exec_lo
	;; [unrolled: 1-line block ×3, first 2 shown]
	s_or_b32 s18, s2, s3
.LBB87_680:
	s_or_b32 exec_lo, exec_lo, s19
	s_waitcnt lgkmcnt(0)
	s_and_not1_b32 s2, s56, exec_lo
	s_and_b32 s3, s18, exec_lo
	s_and_b32 s17, s17, exec_lo
	;; [unrolled: 1-line block ×3, first 2 shown]
	s_or_b32 s56, s2, s3
.LBB87_681:
	s_or_b32 exec_lo, exec_lo, s57
	s_waitcnt lgkmcnt(0)
	s_and_not1_b32 s2, s54, exec_lo
	s_and_b32 s3, s56, exec_lo
	s_and_b32 s17, s17, exec_lo
	;; [unrolled: 1-line block ×3, first 2 shown]
	s_or_b32 s54, s2, s3
	s_or_b32 exec_lo, exec_lo, s55
	s_mov_b32 s2, 0
	s_and_saveexec_b32 s3, s54
	s_cbranch_execz .LBB87_118
.LBB87_682:
	s_cbranch_execnz .LBB87_684
; %bb.683:
	s_mov_b32 s2, exec_lo
	s_and_not1_b32 s56, s56, exec_lo
	s_or_b32 exec_lo, exec_lo, s3
	s_and_saveexec_b32 s3, s56
	s_delay_alu instid0(SALU_CYCLE_1)
	s_xor_b32 s3, exec_lo, s3
	s_cbranch_execnz .LBB87_119
	s_branch .LBB87_120
.LBB87_684:
	s_trap 2
	s_sendmsg_rtn_b32 s0, sendmsg(MSG_RTN_GET_DOORBELL)
	s_mov_b32 ttmp2, m0
	s_waitcnt lgkmcnt(0)
	s_and_b32 s0, s0, 0x3ff
	s_delay_alu instid0(SALU_CYCLE_1) | instskip(NEXT) | instid1(SALU_CYCLE_1)
	s_bitset1_b32 s0, 10
	s_mov_b32 m0, s0
	s_sendmsg sendmsg(MSG_INTERRUPT)
	s_mov_b32 m0, ttmp2
.LBB87_685:                             ; =>This Inner Loop Header: Depth=1
	s_sethalt 5
	s_branch .LBB87_685
.LBB87_686:
	s_mov_b32 s10, -1
	s_mov_b32 s9, 0
                                        ; implicit-def: $sgpr11
.LBB87_687:
	v_mov_b32_e32 v4, s11
	s_and_not1_b32 vcc_lo, exec_lo, s10
                                        ; implicit-def: $sgpr10
	s_cbranch_vccnz .LBB87_689
; %bb.688:
	v_add_f32_e64 v4, 0x42800000, |s8|
	s_mov_b32 s10, 0
	s_delay_alu instid0(VALU_DEP_1) | instskip(NEXT) | instid1(VALU_DEP_1)
	v_and_b32_e32 v4, 0xff, v4
	v_cmp_ne_u32_e64 s9, 0, v4
.LBB87_689:
	v_mov_b32_e32 v5, s10
	s_delay_alu instid0(VALU_DEP_2)
	s_and_not1_b32 vcc_lo, exec_lo, s9
	s_cbranch_vccnz .LBB87_691
; %bb.690:
	s_lshr_b32 s8, s8, 24
	s_delay_alu instid0(SALU_CYCLE_1) | instskip(NEXT) | instid1(SALU_CYCLE_1)
	s_and_b32 s8, s8, 0x80
	v_or_b32_e32 v5, s8, v4
.LBB87_691:
	s_mov_b32 s8, 0
	global_store_b8 v[2:3], v5, off
.LBB87_692:
	s_and_b32 vcc_lo, exec_lo, s8
	s_cbranch_vccz .LBB87_704
; %bb.693:
	s_lshl_b32 s8, s2, 16
	s_delay_alu instid0(SALU_CYCLE_1) | instskip(NEXT) | instid1(SALU_CYCLE_1)
	s_and_b32 s9, s8, 0x7fffffff
	s_cmp_lt_u32 s9, 0x43f00000
	s_cbranch_scc0 .LBB87_696
; %bb.694:
	s_cmp_gt_u32 s9, 0x3c7fffff
	s_cbranch_scc0 .LBB87_697
; %bb.695:
	s_bfe_u32 s10, s8, 0x10014
	s_delay_alu instid0(SALU_CYCLE_1) | instskip(NEXT) | instid1(SALU_CYCLE_1)
	s_add_i32 s10, s8, s10
	s_add_i32 s10, s10, 0x407ffff
	s_delay_alu instid0(SALU_CYCLE_1)
	s_and_b32 s11, s10, 0xff00000
	s_lshr_b32 s10, s10, 20
	s_cmp_lg_u32 s11, 0x7f00000
	s_cselect_b32 s11, s10, 0x7e
	s_mov_b32 s10, 0
	s_branch .LBB87_698
.LBB87_696:
	s_mov_b32 s10, -1
                                        ; implicit-def: $vgpr4
	s_branch .LBB87_701
.LBB87_697:
	s_mov_b32 s10, -1
                                        ; implicit-def: $sgpr11
.LBB87_698:
	v_mov_b32_e32 v4, s11
	s_and_not1_b32 vcc_lo, exec_lo, s10
	s_cbranch_vccnz .LBB87_700
; %bb.699:
	v_add_f32_e64 v4, 0x46800000, |s8|
.LBB87_700:
	s_mov_b32 s10, 0
.LBB87_701:
	s_delay_alu instid0(SALU_CYCLE_1)
	s_and_not1_b32 vcc_lo, exec_lo, s10
	s_cbranch_vccnz .LBB87_703
; %bb.702:
	s_cmp_gt_u32 s9, 0x7f800000
	s_movk_i32 s9, 0x7f
	s_delay_alu instid0(SALU_CYCLE_1) | instskip(NEXT) | instid1(SALU_CYCLE_1)
	s_cselect_b32 s9, s9, 0x7e
	v_mov_b32_e32 v4, s9
.LBB87_703:
	s_lshr_b32 s8, s8, 24
	s_delay_alu instid0(SALU_CYCLE_1)
	s_and_b32 s8, s8, 0x80
	s_delay_alu instid0(VALU_DEP_1) | instid1(SALU_CYCLE_1)
	v_or_b32_e32 v4, s8, v4
	global_store_b8 v[2:3], v4, off
.LBB87_704:
	s_mov_b32 s8, 0
.LBB87_705:
	s_delay_alu instid0(SALU_CYCLE_1)
	s_and_not1_b32 vcc_lo, exec_lo, s8
	s_cbranch_vccnz .LBB87_717
; %bb.706:
	s_lshl_b32 s8, s2, 16
	s_delay_alu instid0(SALU_CYCLE_1) | instskip(NEXT) | instid1(SALU_CYCLE_1)
	s_and_b32 s9, s8, 0x7fffffff
	s_cmp_lt_u32 s9, 0x47800000
	s_cbranch_scc0 .LBB87_709
; %bb.707:
	s_cmp_gt_u32 s9, 0x387fffff
	s_cbranch_scc0 .LBB87_710
; %bb.708:
	s_bfe_u32 s10, s8, 0x10015
	s_delay_alu instid0(SALU_CYCLE_1) | instskip(NEXT) | instid1(SALU_CYCLE_1)
	s_add_i32 s10, s8, s10
	s_add_i32 s10, s10, 0x80fffff
	s_delay_alu instid0(SALU_CYCLE_1)
	s_lshr_b32 s11, s10, 21
	s_mov_b32 s10, 0
	s_branch .LBB87_711
.LBB87_709:
	s_mov_b32 s10, -1
                                        ; implicit-def: $vgpr4
	s_branch .LBB87_714
.LBB87_710:
	s_mov_b32 s10, -1
                                        ; implicit-def: $sgpr11
.LBB87_711:
	v_mov_b32_e32 v4, s11
	s_and_not1_b32 vcc_lo, exec_lo, s10
	s_cbranch_vccnz .LBB87_713
; %bb.712:
	v_add_f32_e64 v4, 0x43000000, |s8|
.LBB87_713:
	s_mov_b32 s10, 0
.LBB87_714:
	s_delay_alu instid0(SALU_CYCLE_1)
	s_and_not1_b32 vcc_lo, exec_lo, s10
	s_cbranch_vccnz .LBB87_716
; %bb.715:
	s_cmp_gt_u32 s9, 0x7f800000
	s_movk_i32 s9, 0x7f
	s_delay_alu instid0(SALU_CYCLE_1) | instskip(NEXT) | instid1(SALU_CYCLE_1)
	s_cselect_b32 s9, s9, 0x7c
	v_mov_b32_e32 v4, s9
.LBB87_716:
	s_lshr_b32 s8, s8, 24
	s_delay_alu instid0(SALU_CYCLE_1)
	s_and_b32 s8, s8, 0x80
	s_delay_alu instid0(VALU_DEP_1) | instid1(SALU_CYCLE_1)
	v_or_b32_e32 v4, s8, v4
	global_store_b8 v[2:3], v4, off
.LBB87_717:
	s_mov_b32 s8, 0
	s_mov_b32 s9, -1
.LBB87_718:
	s_and_not1_b32 vcc_lo, exec_lo, s8
	s_mov_b32 s8, 0
	s_cbranch_vccnz .LBB87_725
; %bb.719:
	v_cmp_gt_i16_e64 s8, s3, 14
	s_delay_alu instid0(VALU_DEP_1)
	s_and_b32 vcc_lo, exec_lo, s8
	s_mov_b32 s8, -1
	s_cbranch_vccz .LBB87_723
; %bb.720:
	v_cmp_eq_u16_e64 s5, s3, 15
	s_delay_alu instid0(VALU_DEP_1)
	s_and_b32 vcc_lo, exec_lo, s5
	s_mov_b32 s5, -1
	s_cbranch_vccz .LBB87_722
; %bb.721:
	v_mov_b32_e32 v4, s2
	s_mov_b32 s5, 0
	s_mov_b32 s9, -1
	global_store_b16 v[2:3], v4, off
.LBB87_722:
	s_mov_b32 s8, 0
.LBB87_723:
	s_delay_alu instid0(SALU_CYCLE_1)
	s_and_b32 vcc_lo, exec_lo, s8
	s_mov_b32 s8, 0
	s_cbranch_vccz .LBB87_725
; %bb.724:
	v_cmp_ne_u16_e64 s5, s3, 11
	s_mov_b32 s8, -1
.LBB87_725:
	s_delay_alu instid0(VALU_DEP_1)
	s_and_b32 vcc_lo, exec_lo, s5
	s_cbranch_vccnz .LBB87_778
; %bb.726:
	s_and_not1_b32 vcc_lo, exec_lo, s8
	s_cbranch_vccnz .LBB87_728
.LBB87_727:
	s_and_b32 s5, s2, 0x7fff7fff
	s_mov_b32 s9, -1
	s_cmp_lg_u32 s5, 0
	s_cselect_b32 s5, -1, 0
	s_delay_alu instid0(SALU_CYCLE_1)
	v_cndmask_b32_e64 v4, 0, 1, s5
	global_store_b8 v[2:3], v4, off
.LBB87_728:
	s_mov_b32 s5, 0
.LBB87_729:
	s_delay_alu instid0(SALU_CYCLE_1)
	s_and_b32 vcc_lo, exec_lo, s5
	s_cbranch_vccz .LBB87_768
; %bb.730:
	v_cmp_lt_i16_e64 s5, s3, 5
	s_delay_alu instid0(VALU_DEP_1)
	s_and_b32 vcc_lo, exec_lo, s5
	s_mov_b32 s5, -1
	s_cbranch_vccnz .LBB87_751
; %bb.731:
	v_cmp_lt_i16_e64 s5, s3, 8
	s_delay_alu instid0(VALU_DEP_1)
	s_and_b32 vcc_lo, exec_lo, s5
	s_mov_b32 s5, -1
	s_cbranch_vccnz .LBB87_741
	;; [unrolled: 6-line block ×3, first 2 shown]
; %bb.733:
	v_cmp_gt_i16_e64 s5, s3, 9
	s_delay_alu instid0(VALU_DEP_1)
	s_and_b32 vcc_lo, exec_lo, s5
	s_mov_b32 s5, -1
	s_cbranch_vccz .LBB87_735
; %bb.734:
	s_lshl_b32 s5, s2, 16
	s_and_b32 s8, s2, 0xffff0000
	v_cvt_f64_f32_e32 v[4:5], s5
	v_cvt_f64_f32_e32 v[6:7], s8
	s_mov_b32 s5, 0
	global_store_b128 v[2:3], v[4:7], off
.LBB87_735:
	s_and_not1_b32 vcc_lo, exec_lo, s5
	s_cbranch_vccnz .LBB87_737
; %bb.736:
	s_lshl_b32 s5, s2, 16
	s_and_b32 s8, s2, 0xffff0000
	s_delay_alu instid0(SALU_CYCLE_1)
	v_dual_mov_b32 v4, s5 :: v_dual_mov_b32 v5, s8
	global_store_b64 v[2:3], v[4:5], off
.LBB87_737:
	s_mov_b32 s5, 0
.LBB87_738:
	s_delay_alu instid0(SALU_CYCLE_1)
	s_and_not1_b32 vcc_lo, exec_lo, s5
	s_cbranch_vccnz .LBB87_740
; %bb.739:
	s_and_b32 s5, s2, 0xffff0000
	s_lshl_b32 s8, s2, 16
	v_cvt_f16_f32_e32 v4, s5
	v_cvt_f16_f32_e32 v5, s8
	s_delay_alu instid0(VALU_DEP_2) | instskip(NEXT) | instid1(VALU_DEP_2)
	v_lshlrev_b32_e32 v4, 16, v4
	v_and_b32_e32 v5, 0xffff, v5
	s_delay_alu instid0(VALU_DEP_1)
	v_or_b32_e32 v4, v4, v5
	global_store_b32 v[2:3], v4, off
.LBB87_740:
	s_mov_b32 s5, 0
.LBB87_741:
	s_delay_alu instid0(SALU_CYCLE_1)
	s_and_not1_b32 vcc_lo, exec_lo, s5
	s_cbranch_vccnz .LBB87_750
; %bb.742:
	v_cmp_lt_i16_e64 s5, s3, 6
	s_delay_alu instid0(VALU_DEP_1)
	s_and_b32 vcc_lo, exec_lo, s5
	s_mov_b32 s5, -1
	s_cbranch_vccnz .LBB87_748
; %bb.743:
	v_cmp_gt_i16_e64 s5, s3, 6
	s_delay_alu instid0(VALU_DEP_1)
	s_and_b32 vcc_lo, exec_lo, s5
	s_mov_b32 s5, -1
	s_cbranch_vccz .LBB87_745
; %bb.744:
	s_lshl_b32 s5, s2, 16
	s_delay_alu instid0(SALU_CYCLE_1)
	v_cvt_f64_f32_e32 v[4:5], s5
	s_mov_b32 s5, 0
	global_store_b64 v[2:3], v[4:5], off
.LBB87_745:
	s_and_not1_b32 vcc_lo, exec_lo, s5
	s_cbranch_vccnz .LBB87_747
; %bb.746:
	s_lshl_b32 s5, s2, 16
	s_delay_alu instid0(SALU_CYCLE_1)
	v_mov_b32_e32 v4, s5
	global_store_b32 v[2:3], v4, off
.LBB87_747:
	s_mov_b32 s5, 0
.LBB87_748:
	s_delay_alu instid0(SALU_CYCLE_1)
	s_and_not1_b32 vcc_lo, exec_lo, s5
	s_cbranch_vccnz .LBB87_750
; %bb.749:
	s_lshl_b32 s5, s2, 16
	s_delay_alu instid0(SALU_CYCLE_1)
	v_cvt_f16_f32_e32 v4, s5
	global_store_b16 v[2:3], v4, off
.LBB87_750:
	s_mov_b32 s5, 0
.LBB87_751:
	s_delay_alu instid0(SALU_CYCLE_1)
	s_and_not1_b32 vcc_lo, exec_lo, s5
	s_cbranch_vccnz .LBB87_767
; %bb.752:
	v_cmp_lt_i16_e64 s5, s3, 2
	s_delay_alu instid0(VALU_DEP_1)
	s_and_b32 vcc_lo, exec_lo, s5
	s_mov_b32 s5, -1
	s_cbranch_vccnz .LBB87_762
; %bb.753:
	v_cmp_lt_i16_e64 s5, s3, 3
	s_delay_alu instid0(VALU_DEP_1)
	s_and_b32 vcc_lo, exec_lo, s5
	s_mov_b32 s5, -1
	s_cbranch_vccnz .LBB87_759
; %bb.754:
	v_cmp_gt_i16_e64 s5, s3, 3
	s_delay_alu instid0(VALU_DEP_1)
	s_and_b32 vcc_lo, exec_lo, s5
	s_mov_b32 s5, -1
	s_cbranch_vccz .LBB87_756
; %bb.755:
	s_lshl_b32 s5, s2, 16
	s_delay_alu instid0(SALU_CYCLE_1) | instskip(SKIP_1) | instid1(VALU_DEP_1)
	v_trunc_f32_e32 v4, s5
	s_mov_b32 s5, 0
	v_mul_f32_e64 v5, 0x2f800000, |v4|
	v_ashrrev_i32_e32 v7, 31, v4
	s_delay_alu instid0(VALU_DEP_2) | instskip(NEXT) | instid1(VALU_DEP_1)
	v_floor_f32_e32 v5, v5
	v_fma_f32 v6, 0xcf800000, v5, |v4|
	v_cvt_u32_f32_e32 v5, v5
	s_delay_alu instid0(VALU_DEP_2) | instskip(NEXT) | instid1(VALU_DEP_2)
	v_cvt_u32_f32_e32 v4, v6
	v_xor_b32_e32 v5, v5, v7
	s_delay_alu instid0(VALU_DEP_2) | instskip(NEXT) | instid1(VALU_DEP_1)
	v_xor_b32_e32 v4, v4, v7
	v_sub_co_u32 v4, vcc_lo, v4, v7
	s_delay_alu instid0(VALU_DEP_3)
	v_sub_co_ci_u32_e32 v5, vcc_lo, v5, v7, vcc_lo
	global_store_b64 v[2:3], v[4:5], off
.LBB87_756:
	s_and_not1_b32 vcc_lo, exec_lo, s5
	s_cbranch_vccnz .LBB87_758
; %bb.757:
	s_lshl_b32 s5, s2, 16
	s_delay_alu instid0(SALU_CYCLE_1)
	v_cvt_i32_f32_e32 v4, s5
	global_store_b32 v[2:3], v4, off
.LBB87_758:
	s_mov_b32 s5, 0
.LBB87_759:
	s_delay_alu instid0(SALU_CYCLE_1)
	s_and_not1_b32 vcc_lo, exec_lo, s5
	s_cbranch_vccnz .LBB87_761
; %bb.760:
	s_lshl_b32 s5, s2, 16
	s_delay_alu instid0(SALU_CYCLE_1)
	v_cvt_i32_f32_e32 v4, s5
	global_store_b16 v[2:3], v4, off
.LBB87_761:
	s_mov_b32 s5, 0
.LBB87_762:
	s_delay_alu instid0(SALU_CYCLE_1)
	s_and_not1_b32 vcc_lo, exec_lo, s5
	s_cbranch_vccnz .LBB87_767
; %bb.763:
	v_cmp_gt_i16_e64 s5, s3, 0
	s_delay_alu instid0(VALU_DEP_1)
	s_and_b32 vcc_lo, exec_lo, s5
	s_mov_b32 s5, -1
	s_cbranch_vccz .LBB87_765
; %bb.764:
	s_lshl_b32 s5, s2, 16
	s_delay_alu instid0(SALU_CYCLE_1)
	v_cvt_i32_f32_e32 v4, s5
	s_mov_b32 s5, 0
	global_store_b8 v[2:3], v4, off
.LBB87_765:
	s_and_not1_b32 vcc_lo, exec_lo, s5
	s_cbranch_vccnz .LBB87_767
; %bb.766:
	s_lshl_b32 s5, s2, 16
	s_delay_alu instid0(SALU_CYCLE_1) | instskip(NEXT) | instid1(VALU_DEP_1)
	v_trunc_f32_e32 v4, s5
	v_mul_f32_e64 v5, 0x2f800000, |v4|
	s_delay_alu instid0(VALU_DEP_1) | instskip(NEXT) | instid1(VALU_DEP_1)
	v_floor_f32_e32 v5, v5
	v_fma_f32 v5, 0xcf800000, v5, |v4|
	v_ashrrev_i32_e32 v4, 31, v4
	s_delay_alu instid0(VALU_DEP_2) | instskip(NEXT) | instid1(VALU_DEP_1)
	v_cvt_u32_f32_e32 v5, v5
	v_xor_b32_e32 v5, v5, v4
	s_delay_alu instid0(VALU_DEP_1)
	v_sub_nc_u32_e32 v4, v5, v4
	global_store_b8 v[2:3], v4, off
.LBB87_767:
	s_mov_b32 s9, -1
.LBB87_768:
	s_delay_alu instid0(SALU_CYCLE_1)
	s_and_not1_b32 vcc_lo, exec_lo, s9
	s_cbranch_vccnz .LBB87_910
; %bb.769:
	v_cmp_lt_i16_e64 s5, s3, 11
	v_add_co_u32 v1, s8, s0, v1
	s_delay_alu instid0(VALU_DEP_1) | instskip(SKIP_1) | instid1(VALU_DEP_3)
	v_add_co_ci_u32_e64 v2, null, s1, 0, s8
	s_mov_b32 s9, 0
	s_and_b32 vcc_lo, exec_lo, s5
	s_mov_b32 s5, -1
	s_cbranch_vccnz .LBB87_862
; %bb.770:
	v_cmp_gt_i16_e64 s5, s3, 25
	s_mov_b32 s10, -1
	s_mov_b32 s8, 0
	s_delay_alu instid0(VALU_DEP_1)
	s_and_b32 vcc_lo, exec_lo, s5
	s_mov_b32 s5, 0
	s_cbranch_vccz .LBB87_812
; %bb.771:
	v_cmp_gt_i16_e64 s5, s3, 28
	s_delay_alu instid0(VALU_DEP_1)
	s_and_b32 vcc_lo, exec_lo, s5
	s_cbranch_vccz .LBB87_776
; %bb.772:
	v_cmp_gt_i16_e64 s5, s3, 43
	s_delay_alu instid0(VALU_DEP_1)
	s_and_b32 vcc_lo, exec_lo, s5
	;; [unrolled: 5-line block ×3, first 2 shown]
	s_cbranch_vccz .LBB87_780
; %bb.774:
	v_cmp_eq_u16_e64 s9, s3, 46
	s_mov_b32 s5, -1
	s_mov_b32 s10, 0
	s_delay_alu instid0(VALU_DEP_1)
	s_and_b32 vcc_lo, exec_lo, s9
	s_mov_b32 s9, 0
	s_cbranch_vccz .LBB87_781
; %bb.775:
	v_mov_b32_e32 v3, s2
	s_mov_b32 s5, 0
	s_mov_b32 s9, -1
	global_store_b32 v[1:2], v3, off
	s_branch .LBB87_781
.LBB87_776:
	s_mov_b32 s5, 0
	s_branch .LBB87_791
.LBB87_777:
	s_mov_b32 s5, 0
	s_branch .LBB87_787
.LBB87_778:
	s_cbranch_execnz .LBB87_802
; %bb.779:
	s_or_b32 s4, s4, exec_lo
	s_cbranch_execz .LBB87_727
	s_branch .LBB87_728
.LBB87_780:
	s_mov_b32 s5, 0
.LBB87_781:
	s_and_b32 vcc_lo, exec_lo, s10
	s_cbranch_vccz .LBB87_786
; %bb.782:
	v_cmp_eq_u16_e64 s5, s3, 44
	s_delay_alu instid0(VALU_DEP_1)
	s_and_b32 vcc_lo, exec_lo, s5
	s_mov_b32 s5, -1
	s_cbranch_vccz .LBB87_786
; %bb.783:
	s_lshl_b32 s5, s2, 16
	v_mov_b32_e32 v3, 0xff
	s_bfe_u32 s9, s5, 0x80017
	s_delay_alu instid0(SALU_CYCLE_1)
	s_cmpk_eq_i32 s9, 0xff
	s_cbranch_scc1 .LBB87_785
; %bb.784:
	s_bfe_u32 s10, s2, 0x90007
	s_bitcmp1_b32 s2, 6
	s_cselect_b32 s11, -1, 0
	s_and_b32 s5, s5, 0x3f0000
	s_delay_alu instid0(SALU_CYCLE_1) | instskip(NEXT) | instid1(SALU_CYCLE_1)
	s_or_b32 s5, s9, s5
	s_cmp_lg_u32 s5, 0
	s_cselect_b32 s5, -1, 0
	s_delay_alu instid0(SALU_CYCLE_1) | instskip(NEXT) | instid1(SALU_CYCLE_1)
	s_and_b32 s5, s11, s5
	v_cndmask_b32_e64 v3, 0, 1, s5
	s_delay_alu instid0(VALU_DEP_1)
	v_add_nc_u32_e32 v3, s10, v3
.LBB87_785:
	s_mov_b32 s5, 0
	s_mov_b32 s9, -1
	global_store_b8 v[1:2], v3, off
.LBB87_786:
	s_mov_b32 s10, 0
.LBB87_787:
	s_delay_alu instid0(SALU_CYCLE_1)
	s_and_b32 vcc_lo, exec_lo, s10
	s_cbranch_vccz .LBB87_790
; %bb.788:
	v_cmp_eq_u16_e64 s5, s3, 29
	s_delay_alu instid0(VALU_DEP_1)
	s_and_b32 vcc_lo, exec_lo, s5
	s_mov_b32 s5, -1
	s_cbranch_vccz .LBB87_790
; %bb.789:
	s_lshl_b32 s5, s2, 16
	s_mov_b32 s9, -1
	v_trunc_f32_e32 v3, s5
	s_mov_b32 s5, 0
	s_mov_b32 s10, 0
	s_delay_alu instid0(VALU_DEP_1) | instskip(NEXT) | instid1(VALU_DEP_1)
	v_mul_f32_e32 v4, 0x2f800000, v3
	v_floor_f32_e32 v4, v4
	s_delay_alu instid0(VALU_DEP_1) | instskip(SKIP_1) | instid1(VALU_DEP_2)
	v_fmamk_f32 v3, v4, 0xcf800000, v3
	v_cvt_u32_f32_e32 v4, v4
	v_cvt_u32_f32_e32 v3, v3
	global_store_b64 v[1:2], v[3:4], off
	s_branch .LBB87_791
.LBB87_790:
	s_mov_b32 s10, 0
.LBB87_791:
	s_delay_alu instid0(SALU_CYCLE_1)
	s_and_b32 vcc_lo, exec_lo, s10
	s_cbranch_vccz .LBB87_811
; %bb.792:
	v_cmp_lt_i16_e64 s9, s3, 27
	s_delay_alu instid0(VALU_DEP_1)
	s_and_b32 vcc_lo, exec_lo, s9
	s_mov_b32 s9, -1
	s_cbranch_vccnz .LBB87_798
; %bb.793:
	v_cmp_gt_i16_e64 s9, s3, 27
	s_delay_alu instid0(VALU_DEP_1)
	s_and_b32 vcc_lo, exec_lo, s9
	s_mov_b32 s9, -1
	s_cbranch_vccz .LBB87_795
; %bb.794:
	s_lshl_b32 s9, s2, 16
	s_delay_alu instid0(SALU_CYCLE_1)
	v_cvt_u32_f32_e32 v3, s9
	s_mov_b32 s9, 0
	global_store_b32 v[1:2], v3, off
.LBB87_795:
	s_and_not1_b32 vcc_lo, exec_lo, s9
	s_cbranch_vccnz .LBB87_797
; %bb.796:
	s_lshl_b32 s9, s2, 16
	s_delay_alu instid0(SALU_CYCLE_1)
	v_cvt_u32_f32_e32 v3, s9
	global_store_b16 v[1:2], v3, off
.LBB87_797:
	s_mov_b32 s9, 0
.LBB87_798:
	s_delay_alu instid0(SALU_CYCLE_1)
	s_and_not1_b32 vcc_lo, exec_lo, s9
	s_cbranch_vccnz .LBB87_810
; %bb.799:
	s_lshl_b32 s9, s2, 16
	v_mov_b32_e32 v4, 0x80
	s_and_b32 s10, s9, 0x7fffffff
	s_delay_alu instid0(SALU_CYCLE_1)
	s_cmp_gt_u32 s10, 0x437fffff
	s_cbranch_scc1 .LBB87_809
; %bb.800:
	s_cmp_gt_u32 s10, 0x3bffffff
	s_cbranch_scc0 .LBB87_804
; %bb.801:
	s_bfe_u32 s10, s9, 0x10014
	s_mov_b32 s11, 0
	s_add_i32 s10, s9, s10
	s_delay_alu instid0(SALU_CYCLE_1) | instskip(NEXT) | instid1(SALU_CYCLE_1)
	s_add_i32 s10, s10, 0x487ffff
	s_lshr_b32 s12, s10, 20
	s_mov_b32 s10, -1
	s_branch .LBB87_805
.LBB87_802:
	s_trap 2
	s_sendmsg_rtn_b32 s0, sendmsg(MSG_RTN_GET_DOORBELL)
	s_mov_b32 ttmp2, m0
	s_waitcnt lgkmcnt(0)
	s_and_b32 s0, s0, 0x3ff
	s_delay_alu instid0(SALU_CYCLE_1) | instskip(NEXT) | instid1(SALU_CYCLE_1)
	s_bitset1_b32 s0, 10
	s_mov_b32 m0, s0
	s_sendmsg sendmsg(MSG_INTERRUPT)
	s_mov_b32 m0, ttmp2
.LBB87_803:                             ; =>This Inner Loop Header: Depth=1
	s_sethalt 5
	s_branch .LBB87_803
.LBB87_804:
	s_mov_b32 s11, -1
	s_mov_b32 s10, 0
                                        ; implicit-def: $sgpr12
.LBB87_805:
	v_mov_b32_e32 v3, s12
	s_and_not1_b32 vcc_lo, exec_lo, s11
                                        ; implicit-def: $sgpr11
	s_cbranch_vccnz .LBB87_807
; %bb.806:
	v_add_f32_e64 v3, 0x46000000, |s9|
	s_mov_b32 s11, 0
	s_delay_alu instid0(VALU_DEP_1) | instskip(NEXT) | instid1(VALU_DEP_1)
	v_and_b32_e32 v3, 0xff, v3
	v_cmp_ne_u32_e64 s10, 0, v3
.LBB87_807:
	v_mov_b32_e32 v4, s11
	s_delay_alu instid0(VALU_DEP_2)
	s_and_not1_b32 vcc_lo, exec_lo, s10
	s_cbranch_vccnz .LBB87_809
; %bb.808:
	s_lshr_b32 s9, s9, 24
	s_delay_alu instid0(SALU_CYCLE_1) | instskip(NEXT) | instid1(SALU_CYCLE_1)
	s_and_b32 s9, s9, 0x80
	v_or_b32_e32 v4, s9, v3
.LBB87_809:
	global_store_b8 v[1:2], v4, off
.LBB87_810:
	s_mov_b32 s9, -1
.LBB87_811:
	s_mov_b32 s10, 0
.LBB87_812:
	s_delay_alu instid0(SALU_CYCLE_1)
	s_and_b32 vcc_lo, exec_lo, s10
	s_cbranch_vccz .LBB87_858
; %bb.813:
	v_cmp_gt_i16_e64 s8, s3, 22
	s_delay_alu instid0(VALU_DEP_1)
	s_and_b32 vcc_lo, exec_lo, s8
	s_mov_b32 s8, -1
	s_cbranch_vccz .LBB87_851
; %bb.814:
	v_cmp_lt_i16_e64 s8, s3, 24
	s_delay_alu instid0(VALU_DEP_1)
	s_and_b32 vcc_lo, exec_lo, s8
	s_mov_b32 s8, -1
	s_cbranch_vccnz .LBB87_838
; %bb.815:
	v_cmp_gt_i16_e64 s8, s3, 24
	s_delay_alu instid0(VALU_DEP_1)
	s_and_b32 vcc_lo, exec_lo, s8
	s_mov_b32 s8, -1
	s_cbranch_vccz .LBB87_825
; %bb.816:
	s_lshl_b32 s8, s2, 16
	v_mov_b32_e32 v4, 0x80
	s_and_b32 s9, s8, 0x7fffffff
	s_delay_alu instid0(SALU_CYCLE_1)
	s_cmp_gt_u32 s9, 0x477fffff
	s_cbranch_scc1 .LBB87_824
; %bb.817:
	s_cmp_gt_u32 s9, 0x37ffffff
	s_cbranch_scc0 .LBB87_819
; %bb.818:
	s_bfe_u32 s9, s8, 0x10015
	s_mov_b32 s10, 0
	s_add_i32 s9, s8, s9
	s_delay_alu instid0(SALU_CYCLE_1) | instskip(NEXT) | instid1(SALU_CYCLE_1)
	s_add_i32 s9, s9, 0x88fffff
	s_lshr_b32 s11, s9, 21
	s_mov_b32 s9, -1
	s_branch .LBB87_820
.LBB87_819:
	s_mov_b32 s10, -1
	s_mov_b32 s9, 0
                                        ; implicit-def: $sgpr11
.LBB87_820:
	v_mov_b32_e32 v3, s11
	s_and_not1_b32 vcc_lo, exec_lo, s10
                                        ; implicit-def: $sgpr10
	s_cbranch_vccnz .LBB87_822
; %bb.821:
	v_add_f32_e64 v3, 0x42800000, |s8|
	s_mov_b32 s10, 0
	s_delay_alu instid0(VALU_DEP_1) | instskip(NEXT) | instid1(VALU_DEP_1)
	v_and_b32_e32 v3, 0xff, v3
	v_cmp_ne_u32_e64 s9, 0, v3
.LBB87_822:
	v_mov_b32_e32 v4, s10
	s_delay_alu instid0(VALU_DEP_2)
	s_and_not1_b32 vcc_lo, exec_lo, s9
	s_cbranch_vccnz .LBB87_824
; %bb.823:
	s_lshr_b32 s8, s8, 24
	s_delay_alu instid0(SALU_CYCLE_1) | instskip(NEXT) | instid1(SALU_CYCLE_1)
	s_and_b32 s8, s8, 0x80
	v_or_b32_e32 v4, s8, v3
.LBB87_824:
	s_mov_b32 s8, 0
	global_store_b8 v[1:2], v4, off
.LBB87_825:
	s_and_b32 vcc_lo, exec_lo, s8
	s_cbranch_vccz .LBB87_837
; %bb.826:
	s_lshl_b32 s8, s2, 16
	s_delay_alu instid0(SALU_CYCLE_1) | instskip(NEXT) | instid1(SALU_CYCLE_1)
	s_and_b32 s9, s8, 0x7fffffff
	s_cmp_lt_u32 s9, 0x43f00000
	s_cbranch_scc0 .LBB87_829
; %bb.827:
	s_cmp_gt_u32 s9, 0x3c7fffff
	s_cbranch_scc0 .LBB87_830
; %bb.828:
	s_bfe_u32 s10, s8, 0x10014
	s_delay_alu instid0(SALU_CYCLE_1) | instskip(NEXT) | instid1(SALU_CYCLE_1)
	s_add_i32 s10, s8, s10
	s_add_i32 s10, s10, 0x407ffff
	s_delay_alu instid0(SALU_CYCLE_1)
	s_and_b32 s11, s10, 0xff00000
	s_lshr_b32 s10, s10, 20
	s_cmp_lg_u32 s11, 0x7f00000
	s_cselect_b32 s11, s10, 0x7e
	s_mov_b32 s10, 0
	s_branch .LBB87_831
.LBB87_829:
	s_mov_b32 s10, -1
                                        ; implicit-def: $vgpr3
	s_branch .LBB87_834
.LBB87_830:
	s_mov_b32 s10, -1
                                        ; implicit-def: $sgpr11
.LBB87_831:
	v_mov_b32_e32 v3, s11
	s_and_not1_b32 vcc_lo, exec_lo, s10
	s_cbranch_vccnz .LBB87_833
; %bb.832:
	v_add_f32_e64 v3, 0x46800000, |s8|
.LBB87_833:
	s_mov_b32 s10, 0
.LBB87_834:
	s_delay_alu instid0(SALU_CYCLE_1)
	s_and_not1_b32 vcc_lo, exec_lo, s10
	s_cbranch_vccnz .LBB87_836
; %bb.835:
	s_cmp_gt_u32 s9, 0x7f800000
	s_movk_i32 s9, 0x7f
	s_delay_alu instid0(SALU_CYCLE_1) | instskip(NEXT) | instid1(SALU_CYCLE_1)
	s_cselect_b32 s9, s9, 0x7e
	v_mov_b32_e32 v3, s9
.LBB87_836:
	s_lshr_b32 s8, s8, 24
	s_delay_alu instid0(SALU_CYCLE_1)
	s_and_b32 s8, s8, 0x80
	s_delay_alu instid0(VALU_DEP_1) | instid1(SALU_CYCLE_1)
	v_or_b32_e32 v3, s8, v3
	global_store_b8 v[1:2], v3, off
.LBB87_837:
	s_mov_b32 s8, 0
.LBB87_838:
	s_delay_alu instid0(SALU_CYCLE_1)
	s_and_not1_b32 vcc_lo, exec_lo, s8
	s_cbranch_vccnz .LBB87_850
; %bb.839:
	s_lshl_b32 s8, s2, 16
	s_delay_alu instid0(SALU_CYCLE_1) | instskip(NEXT) | instid1(SALU_CYCLE_1)
	s_and_b32 s9, s8, 0x7fffffff
	s_cmp_lt_u32 s9, 0x47800000
	s_cbranch_scc0 .LBB87_842
; %bb.840:
	s_cmp_gt_u32 s9, 0x387fffff
	s_cbranch_scc0 .LBB87_843
; %bb.841:
	s_bfe_u32 s10, s8, 0x10015
	s_delay_alu instid0(SALU_CYCLE_1) | instskip(NEXT) | instid1(SALU_CYCLE_1)
	s_add_i32 s10, s8, s10
	s_add_i32 s10, s10, 0x80fffff
	s_delay_alu instid0(SALU_CYCLE_1)
	s_lshr_b32 s11, s10, 21
	s_mov_b32 s10, 0
	s_branch .LBB87_844
.LBB87_842:
	s_mov_b32 s10, -1
                                        ; implicit-def: $vgpr3
	s_branch .LBB87_847
.LBB87_843:
	s_mov_b32 s10, -1
                                        ; implicit-def: $sgpr11
.LBB87_844:
	v_mov_b32_e32 v3, s11
	s_and_not1_b32 vcc_lo, exec_lo, s10
	s_cbranch_vccnz .LBB87_846
; %bb.845:
	v_add_f32_e64 v3, 0x43000000, |s8|
.LBB87_846:
	s_mov_b32 s10, 0
.LBB87_847:
	s_delay_alu instid0(SALU_CYCLE_1)
	s_and_not1_b32 vcc_lo, exec_lo, s10
	s_cbranch_vccnz .LBB87_849
; %bb.848:
	s_cmp_gt_u32 s9, 0x7f800000
	s_movk_i32 s9, 0x7f
	s_delay_alu instid0(SALU_CYCLE_1) | instskip(NEXT) | instid1(SALU_CYCLE_1)
	s_cselect_b32 s9, s9, 0x7c
	v_mov_b32_e32 v3, s9
.LBB87_849:
	s_lshr_b32 s8, s8, 24
	s_delay_alu instid0(SALU_CYCLE_1)
	s_and_b32 s8, s8, 0x80
	s_delay_alu instid0(VALU_DEP_1) | instid1(SALU_CYCLE_1)
	v_or_b32_e32 v3, s8, v3
	global_store_b8 v[1:2], v3, off
.LBB87_850:
	s_mov_b32 s8, 0
	s_mov_b32 s9, -1
.LBB87_851:
	s_and_not1_b32 vcc_lo, exec_lo, s8
	s_mov_b32 s8, 0
	s_cbranch_vccnz .LBB87_858
; %bb.852:
	v_cmp_gt_i16_e64 s8, s3, 14
	s_delay_alu instid0(VALU_DEP_1)
	s_and_b32 vcc_lo, exec_lo, s8
	s_mov_b32 s8, -1
	s_cbranch_vccz .LBB87_856
; %bb.853:
	v_cmp_eq_u16_e64 s5, s3, 15
	s_delay_alu instid0(VALU_DEP_1)
	s_and_b32 vcc_lo, exec_lo, s5
	s_mov_b32 s5, -1
	s_cbranch_vccz .LBB87_855
; %bb.854:
	v_mov_b32_e32 v3, s2
	s_mov_b32 s5, 0
	s_mov_b32 s9, -1
	global_store_b16 v[1:2], v3, off
.LBB87_855:
	s_mov_b32 s8, 0
.LBB87_856:
	s_delay_alu instid0(SALU_CYCLE_1)
	s_and_b32 vcc_lo, exec_lo, s8
	s_mov_b32 s8, 0
	s_cbranch_vccz .LBB87_858
; %bb.857:
	v_cmp_ne_u16_e64 s5, s3, 11
	s_mov_b32 s8, -1
.LBB87_858:
	s_delay_alu instid0(VALU_DEP_1)
	s_and_b32 vcc_lo, exec_lo, s5
	s_cbranch_vccnz .LBB87_957
; %bb.859:
	s_and_not1_b32 vcc_lo, exec_lo, s8
	s_cbranch_vccnz .LBB87_861
.LBB87_860:
	s_and_b32 s5, s2, 0x7fff7fff
	s_mov_b32 s9, -1
	s_cmp_lg_u32 s5, 0
	s_cselect_b32 s5, -1, 0
	s_delay_alu instid0(SALU_CYCLE_1)
	v_cndmask_b32_e64 v3, 0, 1, s5
	global_store_b8 v[1:2], v3, off
.LBB87_861:
	s_mov_b32 s5, 0
.LBB87_862:
	s_delay_alu instid0(SALU_CYCLE_1)
	s_and_b32 vcc_lo, exec_lo, s5
	s_cbranch_vccz .LBB87_901
; %bb.863:
	v_cmp_lt_i16_e64 s5, s3, 5
	s_delay_alu instid0(VALU_DEP_1)
	s_and_b32 vcc_lo, exec_lo, s5
	s_mov_b32 s5, -1
	s_cbranch_vccnz .LBB87_884
; %bb.864:
	v_cmp_lt_i16_e64 s5, s3, 8
	s_delay_alu instid0(VALU_DEP_1)
	s_and_b32 vcc_lo, exec_lo, s5
	s_mov_b32 s5, -1
	s_cbranch_vccnz .LBB87_874
	;; [unrolled: 6-line block ×3, first 2 shown]
; %bb.866:
	v_cmp_gt_i16_e64 s5, s3, 9
	s_delay_alu instid0(VALU_DEP_1)
	s_and_b32 vcc_lo, exec_lo, s5
	s_mov_b32 s5, -1
	s_cbranch_vccz .LBB87_868
; %bb.867:
	s_lshl_b32 s5, s2, 16
	s_and_b32 s8, s2, 0xffff0000
	v_cvt_f64_f32_e32 v[3:4], s5
	v_cvt_f64_f32_e32 v[5:6], s8
	s_mov_b32 s5, 0
	global_store_b128 v[1:2], v[3:6], off
.LBB87_868:
	s_and_not1_b32 vcc_lo, exec_lo, s5
	s_cbranch_vccnz .LBB87_870
; %bb.869:
	s_lshl_b32 s5, s2, 16
	s_and_b32 s8, s2, 0xffff0000
	s_delay_alu instid0(SALU_CYCLE_1)
	v_dual_mov_b32 v3, s5 :: v_dual_mov_b32 v4, s8
	global_store_b64 v[1:2], v[3:4], off
.LBB87_870:
	s_mov_b32 s5, 0
.LBB87_871:
	s_delay_alu instid0(SALU_CYCLE_1)
	s_and_not1_b32 vcc_lo, exec_lo, s5
	s_cbranch_vccnz .LBB87_873
; %bb.872:
	s_and_b32 s5, s2, 0xffff0000
	s_lshl_b32 s8, s2, 16
	v_cvt_f16_f32_e32 v3, s5
	v_cvt_f16_f32_e32 v4, s8
	s_delay_alu instid0(VALU_DEP_2) | instskip(NEXT) | instid1(VALU_DEP_2)
	v_lshlrev_b32_e32 v3, 16, v3
	v_and_b32_e32 v4, 0xffff, v4
	s_delay_alu instid0(VALU_DEP_1)
	v_or_b32_e32 v3, v3, v4
	global_store_b32 v[1:2], v3, off
.LBB87_873:
	s_mov_b32 s5, 0
.LBB87_874:
	s_delay_alu instid0(SALU_CYCLE_1)
	s_and_not1_b32 vcc_lo, exec_lo, s5
	s_cbranch_vccnz .LBB87_883
; %bb.875:
	v_cmp_lt_i16_e64 s5, s3, 6
	s_delay_alu instid0(VALU_DEP_1)
	s_and_b32 vcc_lo, exec_lo, s5
	s_mov_b32 s5, -1
	s_cbranch_vccnz .LBB87_881
; %bb.876:
	v_cmp_gt_i16_e64 s5, s3, 6
	s_delay_alu instid0(VALU_DEP_1)
	s_and_b32 vcc_lo, exec_lo, s5
	s_mov_b32 s5, -1
	s_cbranch_vccz .LBB87_878
; %bb.877:
	s_lshl_b32 s5, s2, 16
	s_delay_alu instid0(SALU_CYCLE_1)
	v_cvt_f64_f32_e32 v[3:4], s5
	s_mov_b32 s5, 0
	global_store_b64 v[1:2], v[3:4], off
.LBB87_878:
	s_and_not1_b32 vcc_lo, exec_lo, s5
	s_cbranch_vccnz .LBB87_880
; %bb.879:
	s_lshl_b32 s5, s2, 16
	s_delay_alu instid0(SALU_CYCLE_1)
	v_mov_b32_e32 v3, s5
	global_store_b32 v[1:2], v3, off
.LBB87_880:
	s_mov_b32 s5, 0
.LBB87_881:
	s_delay_alu instid0(SALU_CYCLE_1)
	s_and_not1_b32 vcc_lo, exec_lo, s5
	s_cbranch_vccnz .LBB87_883
; %bb.882:
	s_lshl_b32 s5, s2, 16
	s_delay_alu instid0(SALU_CYCLE_1)
	v_cvt_f16_f32_e32 v3, s5
	global_store_b16 v[1:2], v3, off
.LBB87_883:
	s_mov_b32 s5, 0
.LBB87_884:
	s_delay_alu instid0(SALU_CYCLE_1)
	s_and_not1_b32 vcc_lo, exec_lo, s5
	s_cbranch_vccnz .LBB87_900
; %bb.885:
	v_cmp_lt_i16_e64 s5, s3, 2
	s_delay_alu instid0(VALU_DEP_1)
	s_and_b32 vcc_lo, exec_lo, s5
	s_mov_b32 s5, -1
	s_cbranch_vccnz .LBB87_895
; %bb.886:
	v_cmp_lt_i16_e64 s5, s3, 3
	s_delay_alu instid0(VALU_DEP_1)
	s_and_b32 vcc_lo, exec_lo, s5
	s_mov_b32 s5, -1
	s_cbranch_vccnz .LBB87_892
; %bb.887:
	v_cmp_gt_i16_e64 s5, s3, 3
	s_delay_alu instid0(VALU_DEP_1)
	s_and_b32 vcc_lo, exec_lo, s5
	s_mov_b32 s5, -1
	s_cbranch_vccz .LBB87_889
; %bb.888:
	s_lshl_b32 s5, s2, 16
	s_delay_alu instid0(SALU_CYCLE_1) | instskip(SKIP_1) | instid1(VALU_DEP_1)
	v_trunc_f32_e32 v3, s5
	s_mov_b32 s5, 0
	v_mul_f32_e64 v4, 0x2f800000, |v3|
	v_ashrrev_i32_e32 v6, 31, v3
	s_delay_alu instid0(VALU_DEP_2) | instskip(NEXT) | instid1(VALU_DEP_1)
	v_floor_f32_e32 v4, v4
	v_fma_f32 v5, 0xcf800000, v4, |v3|
	v_cvt_u32_f32_e32 v4, v4
	s_delay_alu instid0(VALU_DEP_2) | instskip(NEXT) | instid1(VALU_DEP_2)
	v_cvt_u32_f32_e32 v3, v5
	v_xor_b32_e32 v4, v4, v6
	s_delay_alu instid0(VALU_DEP_2) | instskip(NEXT) | instid1(VALU_DEP_1)
	v_xor_b32_e32 v3, v3, v6
	v_sub_co_u32 v3, vcc_lo, v3, v6
	s_delay_alu instid0(VALU_DEP_3)
	v_sub_co_ci_u32_e32 v4, vcc_lo, v4, v6, vcc_lo
	global_store_b64 v[1:2], v[3:4], off
.LBB87_889:
	s_and_not1_b32 vcc_lo, exec_lo, s5
	s_cbranch_vccnz .LBB87_891
; %bb.890:
	s_lshl_b32 s5, s2, 16
	s_delay_alu instid0(SALU_CYCLE_1)
	v_cvt_i32_f32_e32 v3, s5
	global_store_b32 v[1:2], v3, off
.LBB87_891:
	s_mov_b32 s5, 0
.LBB87_892:
	s_delay_alu instid0(SALU_CYCLE_1)
	s_and_not1_b32 vcc_lo, exec_lo, s5
	s_cbranch_vccnz .LBB87_894
; %bb.893:
	s_lshl_b32 s5, s2, 16
	s_delay_alu instid0(SALU_CYCLE_1)
	v_cvt_i32_f32_e32 v3, s5
	global_store_b16 v[1:2], v3, off
.LBB87_894:
	s_mov_b32 s5, 0
.LBB87_895:
	s_delay_alu instid0(SALU_CYCLE_1)
	s_and_not1_b32 vcc_lo, exec_lo, s5
	s_cbranch_vccnz .LBB87_900
; %bb.896:
	v_cmp_gt_i16_e64 s5, s3, 0
	s_delay_alu instid0(VALU_DEP_1)
	s_and_b32 vcc_lo, exec_lo, s5
	s_mov_b32 s5, -1
	s_cbranch_vccz .LBB87_898
; %bb.897:
	s_lshl_b32 s5, s2, 16
	s_delay_alu instid0(SALU_CYCLE_1)
	v_cvt_i32_f32_e32 v3, s5
	s_mov_b32 s5, 0
	global_store_b8 v[1:2], v3, off
.LBB87_898:
	s_and_not1_b32 vcc_lo, exec_lo, s5
	s_cbranch_vccnz .LBB87_900
; %bb.899:
	s_lshl_b32 s5, s2, 16
	s_delay_alu instid0(SALU_CYCLE_1) | instskip(NEXT) | instid1(VALU_DEP_1)
	v_trunc_f32_e32 v3, s5
	v_mul_f32_e64 v4, 0x2f800000, |v3|
	s_delay_alu instid0(VALU_DEP_1) | instskip(NEXT) | instid1(VALU_DEP_1)
	v_floor_f32_e32 v4, v4
	v_fma_f32 v4, 0xcf800000, v4, |v3|
	v_ashrrev_i32_e32 v3, 31, v3
	s_delay_alu instid0(VALU_DEP_2) | instskip(NEXT) | instid1(VALU_DEP_1)
	v_cvt_u32_f32_e32 v4, v4
	v_xor_b32_e32 v4, v4, v3
	s_delay_alu instid0(VALU_DEP_1)
	v_sub_nc_u32_e32 v3, v4, v3
	global_store_b8 v[1:2], v3, off
.LBB87_900:
	s_mov_b32 s9, -1
.LBB87_901:
	s_delay_alu instid0(SALU_CYCLE_1)
	s_and_not1_b32 vcc_lo, exec_lo, s9
	s_cbranch_vccnz .LBB87_910
; %bb.902:
	v_cmp_lt_i16_e64 s8, s3, 11
	v_add_co_u32 v0, s0, s0, v0
	s_delay_alu instid0(VALU_DEP_1) | instskip(SKIP_1) | instid1(VALU_DEP_3)
	v_add_co_ci_u32_e64 v1, null, s1, 0, s0
	s_mov_b32 s5, 0
	s_and_b32 vcc_lo, exec_lo, s8
	s_mov_b32 s0, -1
	s_cbranch_vccnz .LBB87_911
; %bb.903:
	v_cmp_gt_i16_e64 s0, s3, 25
	s_mov_b32 s1, -1
	s_delay_alu instid0(VALU_DEP_1)
	s_and_b32 vcc_lo, exec_lo, s0
	s_mov_b32 s0, 0
	s_cbranch_vccz .LBB87_990
; %bb.904:
	v_cmp_gt_i16_e64 s0, s3, 28
	s_delay_alu instid0(VALU_DEP_1)
	s_and_b32 vcc_lo, exec_lo, s0
	s_cbranch_vccz .LBB87_955
; %bb.905:
	v_cmp_gt_i16_e64 s0, s3, 43
	s_delay_alu instid0(VALU_DEP_1)
	s_and_b32 vcc_lo, exec_lo, s0
	;; [unrolled: 5-line block ×3, first 2 shown]
	s_cbranch_vccz .LBB87_959
; %bb.907:
	v_cmp_eq_u16_e64 s0, s3, 46
	s_delay_alu instid0(VALU_DEP_1)
	s_and_b32 vcc_lo, exec_lo, s0
	s_mov_b32 s0, -1
	s_cbranch_vccz .LBB87_909
; %bb.908:
	v_mov_b32_e32 v2, s2
	s_mov_b32 s0, 0
	global_store_b32 v[0:1], v2, off
.LBB87_909:
	s_mov_b32 s1, 0
	s_branch .LBB87_960
.LBB87_910:
	s_mov_b32 s0, 0
	s_mov_b32 s5, 0
                                        ; implicit-def: $sgpr3
                                        ; implicit-def: $vgpr0_vgpr1
.LBB87_911:
	s_and_b32 s8, s0, exec_lo
	s_and_not1_b32 s0, s6, exec_lo
	s_and_b32 s1, s4, exec_lo
	s_and_b32 s22, s5, exec_lo
	s_or_b32 s6, s0, s1
.LBB87_912:
	s_or_b32 exec_lo, exec_lo, s7
	s_and_saveexec_b32 s0, s6
	s_cbranch_execz .LBB87_915
; %bb.913:
	; divergent unreachable
	s_or_b32 exec_lo, exec_lo, s0
	s_and_saveexec_b32 s0, s22
	s_delay_alu instid0(SALU_CYCLE_1)
	s_xor_b32 s0, exec_lo, s0
	s_cbranch_execnz .LBB87_916
.LBB87_914:
	s_or_b32 exec_lo, exec_lo, s0
	s_and_saveexec_b32 s0, s8
	s_cbranch_execnz .LBB87_917
	s_branch .LBB87_954
.LBB87_915:
	s_or_b32 exec_lo, exec_lo, s0
	s_and_saveexec_b32 s0, s22
	s_delay_alu instid0(SALU_CYCLE_1)
	s_xor_b32 s0, exec_lo, s0
	s_cbranch_execz .LBB87_914
.LBB87_916:
	s_and_b32 s1, s2, 0x7fff7fff
	s_delay_alu instid0(SALU_CYCLE_1) | instskip(SKIP_1) | instid1(SALU_CYCLE_1)
	s_cmp_lg_u32 s1, 0
	s_cselect_b32 s1, -1, 0
	v_cndmask_b32_e64 v2, 0, 1, s1
	global_store_b8 v[0:1], v2, off
	s_or_b32 exec_lo, exec_lo, s0
	s_and_saveexec_b32 s0, s8
	s_cbranch_execz .LBB87_954
.LBB87_917:
	v_cmp_lt_i16_e64 s0, s3, 5
	s_delay_alu instid0(VALU_DEP_1)
	s_and_b32 vcc_lo, exec_lo, s0
	s_mov_b32 s0, -1
	s_cbranch_vccnz .LBB87_938
; %bb.918:
	v_cmp_lt_i16_e64 s0, s3, 8
	s_delay_alu instid0(VALU_DEP_1)
	s_and_b32 vcc_lo, exec_lo, s0
	s_mov_b32 s0, -1
	s_cbranch_vccnz .LBB87_928
; %bb.919:
	;; [unrolled: 6-line block ×3, first 2 shown]
	v_cmp_gt_i16_e64 s0, s3, 9
	s_delay_alu instid0(VALU_DEP_1)
	s_and_b32 vcc_lo, exec_lo, s0
	s_mov_b32 s0, -1
	s_cbranch_vccz .LBB87_922
; %bb.921:
	s_lshl_b32 s0, s2, 16
	s_and_b32 s1, s2, 0xffff0000
	v_cvt_f64_f32_e32 v[2:3], s0
	v_cvt_f64_f32_e32 v[4:5], s1
	s_mov_b32 s0, 0
	global_store_b128 v[0:1], v[2:5], off
.LBB87_922:
	s_and_not1_b32 vcc_lo, exec_lo, s0
	s_cbranch_vccnz .LBB87_924
; %bb.923:
	s_lshl_b32 s0, s2, 16
	s_and_b32 s1, s2, 0xffff0000
	s_delay_alu instid0(SALU_CYCLE_1)
	v_dual_mov_b32 v2, s0 :: v_dual_mov_b32 v3, s1
	global_store_b64 v[0:1], v[2:3], off
.LBB87_924:
	s_mov_b32 s0, 0
.LBB87_925:
	s_delay_alu instid0(SALU_CYCLE_1)
	s_and_not1_b32 vcc_lo, exec_lo, s0
	s_cbranch_vccnz .LBB87_927
; %bb.926:
	s_and_b32 s0, s2, 0xffff0000
	s_lshl_b32 s1, s2, 16
	v_cvt_f16_f32_e32 v2, s0
	v_cvt_f16_f32_e32 v3, s1
	s_delay_alu instid0(VALU_DEP_2) | instskip(NEXT) | instid1(VALU_DEP_2)
	v_lshlrev_b32_e32 v2, 16, v2
	v_and_b32_e32 v3, 0xffff, v3
	s_delay_alu instid0(VALU_DEP_1)
	v_or_b32_e32 v2, v2, v3
	global_store_b32 v[0:1], v2, off
.LBB87_927:
	s_mov_b32 s0, 0
.LBB87_928:
	s_delay_alu instid0(SALU_CYCLE_1)
	s_and_not1_b32 vcc_lo, exec_lo, s0
	s_cbranch_vccnz .LBB87_937
; %bb.929:
	v_cmp_lt_i16_e64 s0, s3, 6
	s_delay_alu instid0(VALU_DEP_1)
	s_and_b32 vcc_lo, exec_lo, s0
	s_mov_b32 s0, -1
	s_cbranch_vccnz .LBB87_935
; %bb.930:
	v_cmp_gt_i16_e64 s0, s3, 6
	s_delay_alu instid0(VALU_DEP_1)
	s_and_b32 vcc_lo, exec_lo, s0
	s_mov_b32 s0, -1
	s_cbranch_vccz .LBB87_932
; %bb.931:
	s_lshl_b32 s0, s2, 16
	s_delay_alu instid0(SALU_CYCLE_1)
	v_cvt_f64_f32_e32 v[2:3], s0
	s_mov_b32 s0, 0
	global_store_b64 v[0:1], v[2:3], off
.LBB87_932:
	s_and_not1_b32 vcc_lo, exec_lo, s0
	s_cbranch_vccnz .LBB87_934
; %bb.933:
	s_lshl_b32 s0, s2, 16
	s_delay_alu instid0(SALU_CYCLE_1)
	v_mov_b32_e32 v2, s0
	global_store_b32 v[0:1], v2, off
.LBB87_934:
	s_mov_b32 s0, 0
.LBB87_935:
	s_delay_alu instid0(SALU_CYCLE_1)
	s_and_not1_b32 vcc_lo, exec_lo, s0
	s_cbranch_vccnz .LBB87_937
; %bb.936:
	s_lshl_b32 s0, s2, 16
	s_delay_alu instid0(SALU_CYCLE_1)
	v_cvt_f16_f32_e32 v2, s0
	global_store_b16 v[0:1], v2, off
.LBB87_937:
	s_mov_b32 s0, 0
.LBB87_938:
	s_delay_alu instid0(SALU_CYCLE_1)
	s_and_not1_b32 vcc_lo, exec_lo, s0
	s_cbranch_vccnz .LBB87_954
; %bb.939:
	v_cmp_lt_i16_e64 s0, s3, 2
	s_delay_alu instid0(VALU_DEP_1)
	s_and_b32 vcc_lo, exec_lo, s0
	s_mov_b32 s0, -1
	s_cbranch_vccnz .LBB87_949
; %bb.940:
	v_cmp_lt_i16_e64 s0, s3, 3
	s_delay_alu instid0(VALU_DEP_1)
	s_and_b32 vcc_lo, exec_lo, s0
	s_mov_b32 s0, -1
	s_cbranch_vccnz .LBB87_946
; %bb.941:
	v_cmp_gt_i16_e64 s0, s3, 3
	s_delay_alu instid0(VALU_DEP_1)
	s_and_b32 vcc_lo, exec_lo, s0
	s_mov_b32 s0, -1
	s_cbranch_vccz .LBB87_943
; %bb.942:
	s_lshl_b32 s0, s2, 16
	s_delay_alu instid0(SALU_CYCLE_1) | instskip(SKIP_1) | instid1(VALU_DEP_1)
	v_trunc_f32_e32 v2, s0
	s_mov_b32 s0, 0
	v_mul_f32_e64 v3, 0x2f800000, |v2|
	v_ashrrev_i32_e32 v5, 31, v2
	s_delay_alu instid0(VALU_DEP_2) | instskip(NEXT) | instid1(VALU_DEP_1)
	v_floor_f32_e32 v3, v3
	v_fma_f32 v4, 0xcf800000, v3, |v2|
	v_cvt_u32_f32_e32 v3, v3
	s_delay_alu instid0(VALU_DEP_2) | instskip(NEXT) | instid1(VALU_DEP_2)
	v_cvt_u32_f32_e32 v2, v4
	v_xor_b32_e32 v3, v3, v5
	s_delay_alu instid0(VALU_DEP_2) | instskip(NEXT) | instid1(VALU_DEP_1)
	v_xor_b32_e32 v2, v2, v5
	v_sub_co_u32 v2, vcc_lo, v2, v5
	s_delay_alu instid0(VALU_DEP_3)
	v_sub_co_ci_u32_e32 v3, vcc_lo, v3, v5, vcc_lo
	global_store_b64 v[0:1], v[2:3], off
.LBB87_943:
	s_and_not1_b32 vcc_lo, exec_lo, s0
	s_cbranch_vccnz .LBB87_945
; %bb.944:
	s_lshl_b32 s0, s2, 16
	s_delay_alu instid0(SALU_CYCLE_1)
	v_cvt_i32_f32_e32 v2, s0
	global_store_b32 v[0:1], v2, off
.LBB87_945:
	s_mov_b32 s0, 0
.LBB87_946:
	s_delay_alu instid0(SALU_CYCLE_1)
	s_and_not1_b32 vcc_lo, exec_lo, s0
	s_cbranch_vccnz .LBB87_948
; %bb.947:
	s_lshl_b32 s0, s2, 16
	s_delay_alu instid0(SALU_CYCLE_1)
	v_cvt_i32_f32_e32 v2, s0
	global_store_b16 v[0:1], v2, off
.LBB87_948:
	s_mov_b32 s0, 0
.LBB87_949:
	s_delay_alu instid0(SALU_CYCLE_1)
	s_and_not1_b32 vcc_lo, exec_lo, s0
	s_cbranch_vccnz .LBB87_954
; %bb.950:
	v_cmp_gt_i16_e64 s0, s3, 0
	s_delay_alu instid0(VALU_DEP_1)
	s_and_b32 vcc_lo, exec_lo, s0
	s_mov_b32 s0, -1
	s_cbranch_vccz .LBB87_952
; %bb.951:
	s_lshl_b32 s0, s2, 16
	s_delay_alu instid0(SALU_CYCLE_1)
	v_cvt_i32_f32_e32 v2, s0
	s_mov_b32 s0, 0
	global_store_b8 v[0:1], v2, off
.LBB87_952:
	s_and_not1_b32 vcc_lo, exec_lo, s0
	s_cbranch_vccnz .LBB87_954
; %bb.953:
	s_lshl_b32 s0, s2, 16
	s_delay_alu instid0(SALU_CYCLE_1) | instskip(NEXT) | instid1(VALU_DEP_1)
	v_trunc_f32_e32 v2, s0
	v_mul_f32_e64 v3, 0x2f800000, |v2|
	s_delay_alu instid0(VALU_DEP_1) | instskip(NEXT) | instid1(VALU_DEP_1)
	v_floor_f32_e32 v3, v3
	v_fma_f32 v3, 0xcf800000, v3, |v2|
	v_ashrrev_i32_e32 v2, 31, v2
	s_delay_alu instid0(VALU_DEP_2) | instskip(NEXT) | instid1(VALU_DEP_1)
	v_cvt_u32_f32_e32 v3, v3
	v_xor_b32_e32 v3, v3, v2
	s_delay_alu instid0(VALU_DEP_1)
	v_sub_nc_u32_e32 v2, v3, v2
	global_store_b8 v[0:1], v2, off
	s_nop 0
	s_sendmsg sendmsg(MSG_DEALLOC_VGPRS)
	s_endpgm
.LBB87_954:
	s_nop 0
	s_sendmsg sendmsg(MSG_DEALLOC_VGPRS)
	s_endpgm
.LBB87_955:
	s_mov_b32 s0, 0
	s_branch .LBB87_970
.LBB87_956:
	s_mov_b32 s0, 0
	s_branch .LBB87_966
.LBB87_957:
	s_cbranch_execnz .LBB87_981
; %bb.958:
	s_or_b32 s4, s4, exec_lo
	s_cbranch_execz .LBB87_860
	s_branch .LBB87_861
.LBB87_959:
	s_mov_b32 s0, 0
.LBB87_960:
	s_and_b32 vcc_lo, exec_lo, s1
	s_cbranch_vccz .LBB87_965
; %bb.961:
	v_cmp_eq_u16_e64 s0, s3, 44
	s_delay_alu instid0(VALU_DEP_1)
	s_and_b32 vcc_lo, exec_lo, s0
	s_mov_b32 s0, -1
	s_cbranch_vccz .LBB87_965
; %bb.962:
	s_lshl_b32 s0, s2, 16
	v_mov_b32_e32 v2, 0xff
	s_bfe_u32 s1, s0, 0x80017
	s_delay_alu instid0(SALU_CYCLE_1)
	s_cmpk_eq_i32 s1, 0xff
	s_cbranch_scc1 .LBB87_964
; %bb.963:
	s_bfe_u32 s8, s2, 0x90007
	s_bitcmp1_b32 s2, 6
	s_cselect_b32 s9, -1, 0
	s_and_b32 s0, s0, 0x3f0000
	s_delay_alu instid0(SALU_CYCLE_1) | instskip(NEXT) | instid1(SALU_CYCLE_1)
	s_or_b32 s0, s1, s0
	s_cmp_lg_u32 s0, 0
	s_cselect_b32 s0, -1, 0
	s_delay_alu instid0(SALU_CYCLE_1) | instskip(NEXT) | instid1(SALU_CYCLE_1)
	s_and_b32 s0, s9, s0
	v_cndmask_b32_e64 v2, 0, 1, s0
	s_delay_alu instid0(VALU_DEP_1)
	v_add_nc_u32_e32 v2, s8, v2
.LBB87_964:
	s_mov_b32 s0, 0
	global_store_b8 v[0:1], v2, off
.LBB87_965:
	s_mov_b32 s1, 0
.LBB87_966:
	s_delay_alu instid0(SALU_CYCLE_1)
	s_and_b32 vcc_lo, exec_lo, s1
	s_cbranch_vccz .LBB87_969
; %bb.967:
	v_cmp_eq_u16_e64 s0, s3, 29
	s_delay_alu instid0(VALU_DEP_1)
	s_and_b32 vcc_lo, exec_lo, s0
	s_mov_b32 s0, -1
	s_cbranch_vccz .LBB87_969
; %bb.968:
	s_lshl_b32 s0, s2, 16
	s_delay_alu instid0(SALU_CYCLE_1) | instskip(SKIP_1) | instid1(VALU_DEP_1)
	v_trunc_f32_e32 v2, s0
	s_mov_b32 s0, 0
	v_mul_f32_e32 v3, 0x2f800000, v2
	s_delay_alu instid0(VALU_DEP_1) | instskip(NEXT) | instid1(VALU_DEP_1)
	v_floor_f32_e32 v3, v3
	v_fmamk_f32 v2, v3, 0xcf800000, v2
	v_cvt_u32_f32_e32 v3, v3
	s_delay_alu instid0(VALU_DEP_2)
	v_cvt_u32_f32_e32 v2, v2
	global_store_b64 v[0:1], v[2:3], off
.LBB87_969:
	s_mov_b32 s1, 0
.LBB87_970:
	s_delay_alu instid0(SALU_CYCLE_1)
	s_and_b32 vcc_lo, exec_lo, s1
	s_cbranch_vccz .LBB87_989
; %bb.971:
	v_cmp_lt_i16_e64 s1, s3, 27
	s_delay_alu instid0(VALU_DEP_1)
	s_and_b32 vcc_lo, exec_lo, s1
	s_mov_b32 s1, -1
	s_cbranch_vccnz .LBB87_977
; %bb.972:
	v_cmp_gt_i16_e64 s1, s3, 27
	s_delay_alu instid0(VALU_DEP_1)
	s_and_b32 vcc_lo, exec_lo, s1
	s_mov_b32 s1, -1
	s_cbranch_vccz .LBB87_974
; %bb.973:
	s_lshl_b32 s1, s2, 16
	s_delay_alu instid0(SALU_CYCLE_1)
	v_cvt_u32_f32_e32 v2, s1
	s_mov_b32 s1, 0
	global_store_b32 v[0:1], v2, off
.LBB87_974:
	s_and_not1_b32 vcc_lo, exec_lo, s1
	s_cbranch_vccnz .LBB87_976
; %bb.975:
	s_lshl_b32 s1, s2, 16
	s_delay_alu instid0(SALU_CYCLE_1)
	v_cvt_u32_f32_e32 v2, s1
	global_store_b16 v[0:1], v2, off
.LBB87_976:
	s_mov_b32 s1, 0
.LBB87_977:
	s_delay_alu instid0(SALU_CYCLE_1)
	s_and_not1_b32 vcc_lo, exec_lo, s1
	s_cbranch_vccnz .LBB87_989
; %bb.978:
	s_lshl_b32 s1, s2, 16
	v_mov_b32_e32 v3, 0x80
	s_and_b32 s8, s1, 0x7fffffff
	s_delay_alu instid0(SALU_CYCLE_1)
	s_cmp_gt_u32 s8, 0x437fffff
	s_cbranch_scc1 .LBB87_988
; %bb.979:
	s_cmp_gt_u32 s8, 0x3bffffff
	s_cbranch_scc0 .LBB87_983
; %bb.980:
	s_bfe_u32 s8, s1, 0x10014
	s_mov_b32 s9, 0
	s_add_i32 s8, s1, s8
	s_delay_alu instid0(SALU_CYCLE_1) | instskip(NEXT) | instid1(SALU_CYCLE_1)
	s_add_i32 s8, s8, 0x487ffff
	s_lshr_b32 s10, s8, 20
	s_mov_b32 s8, -1
	s_branch .LBB87_984
.LBB87_981:
	s_trap 2
	s_sendmsg_rtn_b32 s0, sendmsg(MSG_RTN_GET_DOORBELL)
	s_mov_b32 ttmp2, m0
	s_waitcnt lgkmcnt(0)
	s_and_b32 s0, s0, 0x3ff
	s_delay_alu instid0(SALU_CYCLE_1) | instskip(NEXT) | instid1(SALU_CYCLE_1)
	s_bitset1_b32 s0, 10
	s_mov_b32 m0, s0
	s_sendmsg sendmsg(MSG_INTERRUPT)
	s_mov_b32 m0, ttmp2
.LBB87_982:                             ; =>This Inner Loop Header: Depth=1
	s_sethalt 5
	s_branch .LBB87_982
.LBB87_983:
	s_mov_b32 s9, -1
	s_mov_b32 s8, 0
                                        ; implicit-def: $sgpr10
.LBB87_984:
	v_mov_b32_e32 v2, s10
	s_and_not1_b32 vcc_lo, exec_lo, s9
                                        ; implicit-def: $sgpr9
	s_cbranch_vccnz .LBB87_986
; %bb.985:
	v_add_f32_e64 v2, 0x46000000, |s1|
	s_mov_b32 s9, 0
	s_delay_alu instid0(VALU_DEP_1) | instskip(NEXT) | instid1(VALU_DEP_1)
	v_and_b32_e32 v2, 0xff, v2
	v_cmp_ne_u32_e64 s8, 0, v2
.LBB87_986:
	v_mov_b32_e32 v3, s9
	s_delay_alu instid0(VALU_DEP_2)
	s_and_not1_b32 vcc_lo, exec_lo, s8
	s_cbranch_vccnz .LBB87_988
; %bb.987:
	s_lshr_b32 s1, s1, 24
	s_delay_alu instid0(SALU_CYCLE_1) | instskip(NEXT) | instid1(SALU_CYCLE_1)
	s_and_b32 s1, s1, 0x80
	v_or_b32_e32 v3, s1, v2
.LBB87_988:
	global_store_b8 v[0:1], v3, off
.LBB87_989:
	s_mov_b32 s1, 0
.LBB87_990:
	s_delay_alu instid0(SALU_CYCLE_1)
	s_and_b32 vcc_lo, exec_lo, s1
	s_cbranch_vccz .LBB87_1036
; %bb.991:
	v_cmp_gt_i16_e64 s1, s3, 22
	s_delay_alu instid0(VALU_DEP_1)
	s_and_b32 vcc_lo, exec_lo, s1
	s_mov_b32 s1, -1
	s_cbranch_vccz .LBB87_1029
; %bb.992:
	v_cmp_lt_i16_e64 s1, s3, 24
	s_delay_alu instid0(VALU_DEP_1)
	s_and_b32 vcc_lo, exec_lo, s1
	s_mov_b32 s1, -1
	s_cbranch_vccnz .LBB87_1016
; %bb.993:
	v_cmp_gt_i16_e64 s1, s3, 24
	s_delay_alu instid0(VALU_DEP_1)
	s_and_b32 vcc_lo, exec_lo, s1
	s_mov_b32 s1, -1
	s_cbranch_vccz .LBB87_1003
; %bb.994:
	s_lshl_b32 s1, s2, 16
	v_mov_b32_e32 v3, 0x80
	s_and_b32 s5, s1, 0x7fffffff
	s_delay_alu instid0(SALU_CYCLE_1)
	s_cmp_gt_u32 s5, 0x477fffff
	s_cbranch_scc1 .LBB87_1002
; %bb.995:
	s_cmp_gt_u32 s5, 0x37ffffff
	s_cbranch_scc0 .LBB87_997
; %bb.996:
	s_bfe_u32 s5, s1, 0x10015
	s_mov_b32 s8, 0
	s_add_i32 s5, s1, s5
	s_delay_alu instid0(SALU_CYCLE_1) | instskip(NEXT) | instid1(SALU_CYCLE_1)
	s_add_i32 s5, s5, 0x88fffff
	s_lshr_b32 s9, s5, 21
	s_mov_b32 s5, -1
	s_branch .LBB87_998
.LBB87_997:
	s_mov_b32 s8, -1
	s_mov_b32 s5, 0
                                        ; implicit-def: $sgpr9
.LBB87_998:
	v_mov_b32_e32 v2, s9
	s_and_not1_b32 vcc_lo, exec_lo, s8
                                        ; implicit-def: $sgpr8
	s_cbranch_vccnz .LBB87_1000
; %bb.999:
	v_add_f32_e64 v2, 0x42800000, |s1|
	s_mov_b32 s8, 0
	s_delay_alu instid0(VALU_DEP_1) | instskip(NEXT) | instid1(VALU_DEP_1)
	v_and_b32_e32 v2, 0xff, v2
	v_cmp_ne_u32_e64 s5, 0, v2
.LBB87_1000:
	v_mov_b32_e32 v3, s8
	s_delay_alu instid0(VALU_DEP_2)
	s_and_not1_b32 vcc_lo, exec_lo, s5
	s_cbranch_vccnz .LBB87_1002
; %bb.1001:
	s_lshr_b32 s1, s1, 24
	s_delay_alu instid0(SALU_CYCLE_1) | instskip(NEXT) | instid1(SALU_CYCLE_1)
	s_and_b32 s1, s1, 0x80
	v_or_b32_e32 v3, s1, v2
.LBB87_1002:
	s_mov_b32 s1, 0
	global_store_b8 v[0:1], v3, off
.LBB87_1003:
	s_and_b32 vcc_lo, exec_lo, s1
	s_cbranch_vccz .LBB87_1015
; %bb.1004:
	s_lshl_b32 s1, s2, 16
	s_delay_alu instid0(SALU_CYCLE_1) | instskip(NEXT) | instid1(SALU_CYCLE_1)
	s_and_b32 s5, s1, 0x7fffffff
	s_cmp_lt_u32 s5, 0x43f00000
	s_cbranch_scc0 .LBB87_1007
; %bb.1005:
	s_cmp_gt_u32 s5, 0x3c7fffff
	s_cbranch_scc0 .LBB87_1008
; %bb.1006:
	s_bfe_u32 s8, s1, 0x10014
	s_delay_alu instid0(SALU_CYCLE_1) | instskip(NEXT) | instid1(SALU_CYCLE_1)
	s_add_i32 s8, s1, s8
	s_add_i32 s8, s8, 0x407ffff
	s_delay_alu instid0(SALU_CYCLE_1)
	s_and_b32 s9, s8, 0xff00000
	s_lshr_b32 s8, s8, 20
	s_cmp_lg_u32 s9, 0x7f00000
	s_cselect_b32 s9, s8, 0x7e
	s_mov_b32 s8, 0
	s_branch .LBB87_1009
.LBB87_1007:
	s_mov_b32 s8, -1
                                        ; implicit-def: $vgpr2
	s_branch .LBB87_1012
.LBB87_1008:
	s_mov_b32 s8, -1
                                        ; implicit-def: $sgpr9
.LBB87_1009:
	v_mov_b32_e32 v2, s9
	s_and_not1_b32 vcc_lo, exec_lo, s8
	s_cbranch_vccnz .LBB87_1011
; %bb.1010:
	v_add_f32_e64 v2, 0x46800000, |s1|
.LBB87_1011:
	s_mov_b32 s8, 0
.LBB87_1012:
	s_delay_alu instid0(SALU_CYCLE_1)
	s_and_not1_b32 vcc_lo, exec_lo, s8
	s_cbranch_vccnz .LBB87_1014
; %bb.1013:
	s_cmp_gt_u32 s5, 0x7f800000
	s_movk_i32 s5, 0x7f
	s_delay_alu instid0(SALU_CYCLE_1) | instskip(NEXT) | instid1(SALU_CYCLE_1)
	s_cselect_b32 s5, s5, 0x7e
	v_mov_b32_e32 v2, s5
.LBB87_1014:
	s_lshr_b32 s1, s1, 24
	s_delay_alu instid0(SALU_CYCLE_1)
	s_and_b32 s1, s1, 0x80
	s_delay_alu instid0(VALU_DEP_1) | instid1(SALU_CYCLE_1)
	v_or_b32_e32 v2, s1, v2
	global_store_b8 v[0:1], v2, off
.LBB87_1015:
	s_mov_b32 s1, 0
.LBB87_1016:
	s_delay_alu instid0(SALU_CYCLE_1)
	s_and_not1_b32 vcc_lo, exec_lo, s1
	s_cbranch_vccnz .LBB87_1028
; %bb.1017:
	s_lshl_b32 s1, s2, 16
	s_delay_alu instid0(SALU_CYCLE_1) | instskip(NEXT) | instid1(SALU_CYCLE_1)
	s_and_b32 s5, s1, 0x7fffffff
	s_cmp_lt_u32 s5, 0x47800000
	s_cbranch_scc0 .LBB87_1020
; %bb.1018:
	s_cmp_gt_u32 s5, 0x387fffff
	s_cbranch_scc0 .LBB87_1021
; %bb.1019:
	s_bfe_u32 s8, s1, 0x10015
	s_delay_alu instid0(SALU_CYCLE_1) | instskip(NEXT) | instid1(SALU_CYCLE_1)
	s_add_i32 s8, s1, s8
	s_add_i32 s8, s8, 0x80fffff
	s_delay_alu instid0(SALU_CYCLE_1)
	s_lshr_b32 s9, s8, 21
	s_mov_b32 s8, 0
	s_branch .LBB87_1022
.LBB87_1020:
	s_mov_b32 s8, -1
                                        ; implicit-def: $vgpr2
	s_branch .LBB87_1025
.LBB87_1021:
	s_mov_b32 s8, -1
                                        ; implicit-def: $sgpr9
.LBB87_1022:
	v_mov_b32_e32 v2, s9
	s_and_not1_b32 vcc_lo, exec_lo, s8
	s_cbranch_vccnz .LBB87_1024
; %bb.1023:
	v_add_f32_e64 v2, 0x43000000, |s1|
.LBB87_1024:
	s_mov_b32 s8, 0
.LBB87_1025:
	s_delay_alu instid0(SALU_CYCLE_1)
	s_and_not1_b32 vcc_lo, exec_lo, s8
	s_cbranch_vccnz .LBB87_1027
; %bb.1026:
	s_cmp_gt_u32 s5, 0x7f800000
	s_movk_i32 s5, 0x7f
	s_delay_alu instid0(SALU_CYCLE_1) | instskip(NEXT) | instid1(SALU_CYCLE_1)
	s_cselect_b32 s5, s5, 0x7c
	v_mov_b32_e32 v2, s5
.LBB87_1027:
	s_lshr_b32 s1, s1, 24
	s_delay_alu instid0(SALU_CYCLE_1)
	s_and_b32 s1, s1, 0x80
	s_delay_alu instid0(VALU_DEP_1) | instid1(SALU_CYCLE_1)
	v_or_b32_e32 v2, s1, v2
	global_store_b8 v[0:1], v2, off
.LBB87_1028:
	s_mov_b32 s1, 0
.LBB87_1029:
	s_delay_alu instid0(SALU_CYCLE_1)
	s_and_not1_b32 vcc_lo, exec_lo, s1
	s_mov_b32 s5, 0
	s_cbranch_vccnz .LBB87_1036
; %bb.1030:
	v_cmp_gt_i16_e64 s1, s3, 14
	s_delay_alu instid0(VALU_DEP_1)
	s_and_b32 vcc_lo, exec_lo, s1
	s_mov_b32 s1, -1
	s_cbranch_vccz .LBB87_1034
; %bb.1031:
	v_cmp_eq_u16_e64 s0, s3, 15
	s_delay_alu instid0(VALU_DEP_1)
	s_and_b32 vcc_lo, exec_lo, s0
	s_mov_b32 s0, -1
	s_cbranch_vccz .LBB87_1033
; %bb.1032:
	v_mov_b32_e32 v2, s2
	s_mov_b32 s0, 0
	global_store_b16 v[0:1], v2, off
.LBB87_1033:
	s_mov_b32 s1, 0
.LBB87_1034:
	s_delay_alu instid0(SALU_CYCLE_1)
	s_and_b32 vcc_lo, exec_lo, s1
	s_cbranch_vccz .LBB87_1036
; %bb.1035:
	v_cmp_ne_u16_e64 s0, s3, 11
	s_mov_b32 s5, -1
.LBB87_1036:
	s_delay_alu instid0(VALU_DEP_1)
	s_and_b32 vcc_lo, exec_lo, s0
	s_cbranch_vccnz .LBB87_1038
.LBB87_1037:
	s_mov_b32 s0, 0
	s_branch .LBB87_911
.LBB87_1038:
	s_cbranch_execnz .LBB87_1040
; %bb.1039:
	s_mov_b32 s5, 0
	s_or_b32 s4, s4, exec_lo
	s_branch .LBB87_1037
.LBB87_1040:
	s_trap 2
	s_sendmsg_rtn_b32 s0, sendmsg(MSG_RTN_GET_DOORBELL)
	s_mov_b32 ttmp2, m0
	s_waitcnt lgkmcnt(0)
	s_and_b32 s0, s0, 0x3ff
	s_delay_alu instid0(SALU_CYCLE_1) | instskip(NEXT) | instid1(SALU_CYCLE_1)
	s_bitset1_b32 s0, 10
	s_mov_b32 m0, s0
	s_sendmsg sendmsg(MSG_INTERRUPT)
	s_mov_b32 m0, ttmp2
.LBB87_1041:                            ; =>This Inner Loop Header: Depth=1
	s_sethalt 5
	s_branch .LBB87_1041
	.section	.rodata,"a",@progbits
	.p2align	6, 0x0
	.amdhsa_kernel _ZN2at6native32elementwise_kernel_manual_unrollILi128ELi4EZNS0_15gpu_kernel_implINS0_11FillFunctorIN3c107complexINS4_8BFloat16EEEEEEEvRNS_18TensorIteratorBaseERKT_EUlibE0_EEviT1_
		.amdhsa_group_segment_fixed_size 0
		.amdhsa_private_segment_fixed_size 0
		.amdhsa_kernarg_size 288
		.amdhsa_user_sgpr_count 15
		.amdhsa_user_sgpr_dispatch_ptr 0
		.amdhsa_user_sgpr_queue_ptr 0
		.amdhsa_user_sgpr_kernarg_segment_ptr 1
		.amdhsa_user_sgpr_dispatch_id 0
		.amdhsa_user_sgpr_private_segment_size 0
		.amdhsa_wavefront_size32 1
		.amdhsa_uses_dynamic_stack 0
		.amdhsa_enable_private_segment 0
		.amdhsa_system_sgpr_workgroup_id_x 1
		.amdhsa_system_sgpr_workgroup_id_y 0
		.amdhsa_system_sgpr_workgroup_id_z 0
		.amdhsa_system_sgpr_workgroup_info 0
		.amdhsa_system_vgpr_workitem_id 0
		.amdhsa_next_free_vgpr 24
		.amdhsa_next_free_sgpr 80
		.amdhsa_reserve_vcc 1
		.amdhsa_float_round_mode_32 0
		.amdhsa_float_round_mode_16_64 0
		.amdhsa_float_denorm_mode_32 3
		.amdhsa_float_denorm_mode_16_64 3
		.amdhsa_dx10_clamp 1
		.amdhsa_ieee_mode 1
		.amdhsa_fp16_overflow 0
		.amdhsa_workgroup_processor_mode 1
		.amdhsa_memory_ordered 1
		.amdhsa_forward_progress 0
		.amdhsa_shared_vgpr_count 0
		.amdhsa_exception_fp_ieee_invalid_op 0
		.amdhsa_exception_fp_denorm_src 0
		.amdhsa_exception_fp_ieee_div_zero 0
		.amdhsa_exception_fp_ieee_overflow 0
		.amdhsa_exception_fp_ieee_underflow 0
		.amdhsa_exception_fp_ieee_inexact 0
		.amdhsa_exception_int_div_zero 0
	.end_amdhsa_kernel
	.section	.text._ZN2at6native32elementwise_kernel_manual_unrollILi128ELi4EZNS0_15gpu_kernel_implINS0_11FillFunctorIN3c107complexINS4_8BFloat16EEEEEEEvRNS_18TensorIteratorBaseERKT_EUlibE0_EEviT1_,"axG",@progbits,_ZN2at6native32elementwise_kernel_manual_unrollILi128ELi4EZNS0_15gpu_kernel_implINS0_11FillFunctorIN3c107complexINS4_8BFloat16EEEEEEEvRNS_18TensorIteratorBaseERKT_EUlibE0_EEviT1_,comdat
.Lfunc_end87:
	.size	_ZN2at6native32elementwise_kernel_manual_unrollILi128ELi4EZNS0_15gpu_kernel_implINS0_11FillFunctorIN3c107complexINS4_8BFloat16EEEEEEEvRNS_18TensorIteratorBaseERKT_EUlibE0_EEviT1_, .Lfunc_end87-_ZN2at6native32elementwise_kernel_manual_unrollILi128ELi4EZNS0_15gpu_kernel_implINS0_11FillFunctorIN3c107complexINS4_8BFloat16EEEEEEEvRNS_18TensorIteratorBaseERKT_EUlibE0_EEviT1_
                                        ; -- End function
	.section	.AMDGPU.csdata,"",@progbits
; Kernel info:
; codeLenInByte = 21280
; NumSgprs: 82
; NumVgprs: 24
; ScratchSize: 0
; MemoryBound: 0
; FloatMode: 240
; IeeeMode: 1
; LDSByteSize: 0 bytes/workgroup (compile time only)
; SGPRBlocks: 10
; VGPRBlocks: 2
; NumSGPRsForWavesPerEU: 82
; NumVGPRsForWavesPerEU: 24
; Occupancy: 16
; WaveLimiterHint : 1
; COMPUTE_PGM_RSRC2:SCRATCH_EN: 0
; COMPUTE_PGM_RSRC2:USER_SGPR: 15
; COMPUTE_PGM_RSRC2:TRAP_HANDLER: 0
; COMPUTE_PGM_RSRC2:TGID_X_EN: 1
; COMPUTE_PGM_RSRC2:TGID_Y_EN: 0
; COMPUTE_PGM_RSRC2:TGID_Z_EN: 0
; COMPUTE_PGM_RSRC2:TIDIG_COMP_CNT: 0
	.section	.text._ZN2at6native29vectorized_elementwise_kernelILi16ENS0_11FillFunctorIbEESt5arrayIPcLm1EEEEviT0_T1_,"axG",@progbits,_ZN2at6native29vectorized_elementwise_kernelILi16ENS0_11FillFunctorIbEESt5arrayIPcLm1EEEEviT0_T1_,comdat
	.protected	_ZN2at6native29vectorized_elementwise_kernelILi16ENS0_11FillFunctorIbEESt5arrayIPcLm1EEEEviT0_T1_ ; -- Begin function _ZN2at6native29vectorized_elementwise_kernelILi16ENS0_11FillFunctorIbEESt5arrayIPcLm1EEEEviT0_T1_
	.globl	_ZN2at6native29vectorized_elementwise_kernelILi16ENS0_11FillFunctorIbEESt5arrayIPcLm1EEEEviT0_T1_
	.p2align	8
	.type	_ZN2at6native29vectorized_elementwise_kernelILi16ENS0_11FillFunctorIbEESt5arrayIPcLm1EEEEviT0_T1_,@function
_ZN2at6native29vectorized_elementwise_kernelILi16ENS0_11FillFunctorIbEESt5arrayIPcLm1EEEEviT0_T1_: ; @_ZN2at6native29vectorized_elementwise_kernelILi16ENS0_11FillFunctorIbEESt5arrayIPcLm1EEEEviT0_T1_
; %bb.0:
	s_load_b128 s[0:3], s[0:1], 0x0
	s_waitcnt lgkmcnt(0)
	v_and_b32_e64 v2, s1, 1
	s_lshl_b32 s1, s15, 12
	s_delay_alu instid0(SALU_CYCLE_1) | instskip(SKIP_1) | instid1(VALU_DEP_1)
	s_sub_i32 s4, s0, s1
	s_mov_b32 s0, -1
	v_lshlrev_b16 v1, 8, v2
	s_cmpk_gt_i32 s4, 0xfff
	s_cbranch_scc0 .LBB88_2
; %bb.1:
	s_delay_alu instid0(VALU_DEP_1)
	v_or_b32_e32 v3, v2, v1
	s_ashr_i32 s0, s1, 31
	s_add_u32 s6, s2, s1
	s_addc_u32 s7, s3, s0
	s_mov_b32 s0, 0
	v_and_b32_e32 v4, 0xffff, v3
	v_lshlrev_b32_e32 v3, 16, v3
	s_delay_alu instid0(VALU_DEP_1) | instskip(NEXT) | instid1(VALU_DEP_1)
	v_or_b32_e32 v3, v4, v3
	v_dual_mov_b32 v4, v3 :: v_dual_lshlrev_b32 v7, 4, v0
	v_mov_b32_e32 v5, v3
	v_mov_b32_e32 v6, v3
	global_store_b128 v7, v[3:6], s[6:7]
.LBB88_2:
	s_and_not1_b32 vcc_lo, exec_lo, s0
	s_cbranch_vccnz .LBB88_20
; %bb.3:
	v_or_b32_e32 v3, 0x400, v0
	v_and_b32_e32 v5, 0xffff, v2
	v_or_b32_e32 v4, 0xc00, v0
	v_or_b32_e32 v9, 0x500, v0
	;; [unrolled: 1-line block ×3, first 2 shown]
	v_cmp_gt_i32_e32 vcc_lo, s4, v3
	v_or_b32_e32 v11, v2, v1
	v_or_b32_e32 v13, 0x900, v0
	v_cmp_gt_i32_e64 s0, s4, v9
	v_or_b32_e32 v14, 0xa00, v0
	v_cndmask_b32_e32 v3, 0, v5, vcc_lo
	v_cmp_gt_i32_e32 vcc_lo, s4, v4
	v_and_b32_e32 v11, 0xffff, v11
	s_delay_alu instid0(VALU_DEP_3) | instskip(SKIP_2) | instid1(VALU_DEP_3)
	v_and_b32_e32 v4, 0xff, v3
	v_cndmask_b32_e32 v6, 0, v5, vcc_lo
	v_cmp_gt_i32_e32 vcc_lo, s4, v0
	v_or_b32_e32 v8, v4, v1
	s_delay_alu instid0(VALU_DEP_3) | instskip(SKIP_1) | instid1(VALU_DEP_3)
	v_and_b32_e32 v7, 0xff, v6
	v_or_b32_e32 v4, 0x100, v0
	v_and_b32_e32 v8, 0xffff, v8
	s_delay_alu instid0(VALU_DEP_3) | instskip(NEXT) | instid1(VALU_DEP_2)
	v_or_b32_e32 v7, v7, v1
	v_cndmask_b32_e64 v3, v3, v8, s0
	s_delay_alu instid0(VALU_DEP_2) | instskip(SKIP_4) | instid1(VALU_DEP_4)
	v_and_b32_e32 v7, 0xffff, v7
	v_cmp_gt_i32_e64 s0, s4, v10
	v_lshlrev_b32_e32 v8, 16, v2
	v_or_b32_e32 v10, 0x600, v0
	v_lshrrev_b32_e32 v9, 16, v3
	v_cndmask_b32_e64 v6, v6, v7, s0
	v_cmp_gt_i32_e64 s0, s4, v4
	v_or_b32_e32 v7, 0x200, v0
	s_delay_alu instid0(VALU_DEP_4) | instskip(NEXT) | instid1(VALU_DEP_4)
	v_and_b32_e32 v9, 0xffffff00, v9
	v_lshrrev_b32_e32 v12, 16, v6
	s_delay_alu instid0(VALU_DEP_4) | instskip(SKIP_1) | instid1(VALU_DEP_4)
	v_cndmask_b32_e64 v15, v5, v11, s0
	v_cmp_gt_i32_e64 s0, s4, v13
	v_or_b32_e32 v9, v2, v9
	v_or_b32_e32 v13, 0xb00, v0
	v_and_b32_e32 v12, 0xffffff00, v12
	s_delay_alu instid0(VALU_DEP_4) | instskip(SKIP_2) | instid1(VALU_DEP_4)
	v_cndmask_b32_e64 v5, v5, v11, s0
	v_cmp_gt_i32_e64 s0, s4, v7
	v_lshlrev_b32_e32 v9, 16, v9
	v_or_b32_e32 v2, v2, v12
	v_or_b32_e32 v12, v15, v8
	;; [unrolled: 1-line block ×4, first 2 shown]
	v_and_or_b32 v9, 0xffff, v3, v9
	v_lshlrev_b32_e32 v2, 16, v2
	v_cndmask_b32_e64 v7, v15, v12, s0
	v_cmp_gt_i32_e64 s0, s4, v14
	v_or_b32_e32 v12, 0x700, v0
	s_delay_alu instid0(VALU_DEP_4) | instskip(NEXT) | instid1(VALU_DEP_3)
	v_and_or_b32 v2, 0xffff, v6, v2
	v_cndmask_b32_e64 v8, v5, v8, s0
	v_cmp_gt_i32_e64 s0, s4, v10
	v_lshrrev_b32_e32 v5, 16, v7
	s_delay_alu instid0(VALU_DEP_2) | instskip(SKIP_1) | instid1(VALU_DEP_3)
	v_cndmask_b32_e64 v3, v3, v9, s0
	v_cmp_gt_i32_e64 s0, s4, v11
	v_and_b32_e32 v5, 0xff, v5
	v_or_b32_e32 v9, 0x300, v0
	s_delay_alu instid0(VALU_DEP_4) | instskip(NEXT) | instid1(VALU_DEP_4)
	v_lshrrev_b32_e32 v10, 16, v3
	v_cndmask_b32_e64 v6, v6, v2, s0
	v_lshrrev_b32_e32 v2, 16, v8
	v_or_b32_e32 v5, v5, v1
	v_cmp_gt_i32_e64 s0, s4, v9
	v_and_b32_e32 v10, 0xff, v10
	v_lshrrev_b32_e32 v11, 16, v6
	v_and_b32_e32 v2, 0xff, v2
	v_lshlrev_b32_e32 v5, 16, v5
	s_delay_alu instid0(VALU_DEP_4) | instskip(NEXT) | instid1(VALU_DEP_4)
	v_or_b32_e32 v10, v10, v1
	v_and_b32_e32 v11, 0xff, v11
	s_delay_alu instid0(VALU_DEP_4) | instskip(NEXT) | instid1(VALU_DEP_4)
	v_or_b32_e32 v2, v2, v1
	v_and_or_b32 v5, 0xffff, v7, v5
	s_delay_alu instid0(VALU_DEP_4) | instskip(NEXT) | instid1(VALU_DEP_4)
	v_lshlrev_b32_e32 v10, 16, v10
	v_or_b32_e32 v1, v11, v1
	s_delay_alu instid0(VALU_DEP_4) | instskip(NEXT) | instid1(VALU_DEP_4)
	v_lshlrev_b32_e32 v2, 16, v2
	v_cndmask_b32_e64 v5, v7, v5, s0
	v_cmp_gt_i32_e64 s0, s4, v13
	v_or_b32_e32 v11, 0xf00, v0
	v_lshlrev_b32_e32 v1, 16, v1
	v_and_or_b32 v2, 0xffff, v8, v2
	v_and_or_b32 v7, 0xffff, v3, v10
	s_delay_alu instid0(VALU_DEP_3) | instskip(NEXT) | instid1(VALU_DEP_3)
	v_and_or_b32 v1, 0xffff, v6, v1
	v_cndmask_b32_e64 v2, v8, v2, s0
	v_cmp_gt_i32_e64 s0, s4, v12
	s_delay_alu instid0(VALU_DEP_1) | instskip(SKIP_1) | instid1(VALU_DEP_1)
	v_cndmask_b32_e64 v3, v3, v7, s0
	v_cmp_gt_i32_e64 s0, s4, v11
	v_cndmask_b32_e64 v1, v6, v1, s0
	s_and_saveexec_b32 s0, vcc_lo
	s_cbranch_execnz .LBB88_21
; %bb.4:
	s_or_b32 exec_lo, exec_lo, s0
	s_delay_alu instid0(SALU_CYCLE_1)
	s_mov_b32 s0, exec_lo
	v_cmpx_gt_i32_e64 s4, v0
	s_cbranch_execnz .LBB88_22
.LBB88_5:
	s_or_b32 exec_lo, exec_lo, s0
	s_delay_alu instid0(SALU_CYCLE_1)
	s_mov_b32 s0, exec_lo
	v_cmpx_gt_i32_e64 s4, v0
	s_cbranch_execnz .LBB88_23
.LBB88_6:
	s_or_b32 exec_lo, exec_lo, s0
	s_delay_alu instid0(SALU_CYCLE_1)
	s_mov_b32 s0, exec_lo
	v_cmpx_gt_i32_e64 s4, v0
	s_cbranch_execnz .LBB88_24
.LBB88_7:
	s_or_b32 exec_lo, exec_lo, s0
	s_delay_alu instid0(SALU_CYCLE_1)
	s_mov_b32 s0, exec_lo
	v_cmpx_gt_i32_e64 s4, v0
	s_cbranch_execnz .LBB88_25
.LBB88_8:
	s_or_b32 exec_lo, exec_lo, s0
	s_delay_alu instid0(SALU_CYCLE_1)
	s_mov_b32 s0, exec_lo
	v_cmpx_gt_i32_e64 s4, v0
	s_cbranch_execnz .LBB88_26
.LBB88_9:
	s_or_b32 exec_lo, exec_lo, s0
	s_delay_alu instid0(SALU_CYCLE_1)
	s_mov_b32 s0, exec_lo
	v_cmpx_gt_i32_e64 s4, v0
	s_cbranch_execnz .LBB88_27
.LBB88_10:
	s_or_b32 exec_lo, exec_lo, s0
	s_delay_alu instid0(SALU_CYCLE_1)
	s_mov_b32 s0, exec_lo
	v_cmpx_gt_i32_e64 s4, v0
	s_cbranch_execnz .LBB88_28
.LBB88_11:
	s_or_b32 exec_lo, exec_lo, s0
	s_delay_alu instid0(SALU_CYCLE_1)
	s_mov_b32 s0, exec_lo
	v_cmpx_gt_i32_e64 s4, v0
	s_cbranch_execnz .LBB88_29
.LBB88_12:
	s_or_b32 exec_lo, exec_lo, s0
	s_delay_alu instid0(SALU_CYCLE_1)
	s_mov_b32 s0, exec_lo
	v_cmpx_gt_i32_e64 s4, v0
	s_cbranch_execnz .LBB88_30
.LBB88_13:
	s_or_b32 exec_lo, exec_lo, s0
	s_delay_alu instid0(SALU_CYCLE_1)
	s_mov_b32 s0, exec_lo
	v_cmpx_gt_i32_e64 s4, v0
	s_cbranch_execnz .LBB88_31
.LBB88_14:
	s_or_b32 exec_lo, exec_lo, s0
	s_delay_alu instid0(SALU_CYCLE_1)
	s_mov_b32 s0, exec_lo
	v_cmpx_gt_i32_e64 s4, v0
	s_cbranch_execnz .LBB88_32
.LBB88_15:
	s_or_b32 exec_lo, exec_lo, s0
	s_delay_alu instid0(SALU_CYCLE_1)
	s_mov_b32 s0, exec_lo
	v_cmpx_gt_i32_e64 s4, v0
	s_cbranch_execnz .LBB88_33
.LBB88_16:
	s_or_b32 exec_lo, exec_lo, s0
	s_delay_alu instid0(SALU_CYCLE_1)
	s_mov_b32 s0, exec_lo
	v_cmpx_gt_i32_e64 s4, v0
	s_cbranch_execnz .LBB88_34
.LBB88_17:
	s_or_b32 exec_lo, exec_lo, s0
	s_delay_alu instid0(SALU_CYCLE_1)
	s_mov_b32 s0, exec_lo
	v_cmpx_gt_i32_e64 s4, v0
	s_cbranch_execnz .LBB88_35
.LBB88_18:
	s_or_b32 exec_lo, exec_lo, s0
	s_delay_alu instid0(SALU_CYCLE_1)
	s_mov_b32 s0, exec_lo
	v_cmpx_gt_i32_e64 s4, v0
	s_cbranch_execz .LBB88_20
.LBB88_19:
	v_lshrrev_b32_e32 v1, 24, v1
	v_add_nc_u32_e32 v0, s1, v0
	global_store_b8 v0, v1, s[2:3]
.LBB88_20:
	s_nop 0
	s_sendmsg sendmsg(MSG_DEALLOC_VGPRS)
	s_endpgm
.LBB88_21:
	v_or_b32_e32 v6, s1, v0
	v_mov_b32_e32 v0, v4
	global_store_b8 v6, v5, s[2:3]
	s_or_b32 exec_lo, exec_lo, s0
	s_delay_alu instid0(SALU_CYCLE_1)
	s_mov_b32 s0, exec_lo
	v_cmpx_gt_i32_e64 s4, v0
	s_cbranch_execz .LBB88_5
.LBB88_22:
	v_lshrrev_b32_e32 v4, 8, v5
	v_add_nc_u32_e32 v6, s1, v0
	v_add_nc_u32_e32 v0, 0x100, v0
	global_store_b8 v6, v4, s[2:3]
	s_or_b32 exec_lo, exec_lo, s0
	s_delay_alu instid0(SALU_CYCLE_1)
	s_mov_b32 s0, exec_lo
	v_cmpx_gt_i32_e64 s4, v0
	s_cbranch_execz .LBB88_6
.LBB88_23:
	v_add_nc_u32_e32 v4, s1, v0
	v_add_nc_u32_e32 v0, 0x100, v0
	global_store_d16_hi_b8 v4, v5, s[2:3]
	s_or_b32 exec_lo, exec_lo, s0
	s_delay_alu instid0(SALU_CYCLE_1)
	s_mov_b32 s0, exec_lo
	v_cmpx_gt_i32_e64 s4, v0
	s_cbranch_execz .LBB88_7
.LBB88_24:
	v_lshrrev_b32_e32 v4, 24, v5
	v_add_nc_u32_e32 v5, s1, v0
	v_add_nc_u32_e32 v0, 0x100, v0
	global_store_b8 v5, v4, s[2:3]
	s_or_b32 exec_lo, exec_lo, s0
	s_delay_alu instid0(SALU_CYCLE_1)
	s_mov_b32 s0, exec_lo
	v_cmpx_gt_i32_e64 s4, v0
	s_cbranch_execz .LBB88_8
.LBB88_25:
	v_add_nc_u32_e32 v4, s1, v0
	v_add_nc_u32_e32 v0, 0x100, v0
	global_store_b8 v4, v3, s[2:3]
	s_or_b32 exec_lo, exec_lo, s0
	s_delay_alu instid0(SALU_CYCLE_1)
	s_mov_b32 s0, exec_lo
	v_cmpx_gt_i32_e64 s4, v0
	s_cbranch_execz .LBB88_9
.LBB88_26:
	v_lshrrev_b32_e32 v4, 8, v3
	v_add_nc_u32_e32 v5, s1, v0
	v_add_nc_u32_e32 v0, 0x100, v0
	global_store_b8 v5, v4, s[2:3]
	s_or_b32 exec_lo, exec_lo, s0
	s_delay_alu instid0(SALU_CYCLE_1)
	s_mov_b32 s0, exec_lo
	v_cmpx_gt_i32_e64 s4, v0
	s_cbranch_execz .LBB88_10
.LBB88_27:
	v_add_nc_u32_e32 v4, s1, v0
	v_add_nc_u32_e32 v0, 0x100, v0
	global_store_d16_hi_b8 v4, v3, s[2:3]
	s_or_b32 exec_lo, exec_lo, s0
	s_delay_alu instid0(SALU_CYCLE_1)
	s_mov_b32 s0, exec_lo
	v_cmpx_gt_i32_e64 s4, v0
	s_cbranch_execz .LBB88_11
.LBB88_28:
	v_lshrrev_b32_e32 v3, 24, v3
	v_add_nc_u32_e32 v4, s1, v0
	v_add_nc_u32_e32 v0, 0x100, v0
	global_store_b8 v4, v3, s[2:3]
	s_or_b32 exec_lo, exec_lo, s0
	s_delay_alu instid0(SALU_CYCLE_1)
	s_mov_b32 s0, exec_lo
	v_cmpx_gt_i32_e64 s4, v0
	s_cbranch_execz .LBB88_12
.LBB88_29:
	v_add_nc_u32_e32 v3, s1, v0
	v_add_nc_u32_e32 v0, 0x100, v0
	global_store_b8 v3, v2, s[2:3]
	s_or_b32 exec_lo, exec_lo, s0
	s_delay_alu instid0(SALU_CYCLE_1)
	s_mov_b32 s0, exec_lo
	v_cmpx_gt_i32_e64 s4, v0
	s_cbranch_execz .LBB88_13
.LBB88_30:
	v_lshrrev_b32_e32 v3, 8, v2
	v_add_nc_u32_e32 v4, s1, v0
	v_add_nc_u32_e32 v0, 0x100, v0
	global_store_b8 v4, v3, s[2:3]
	s_or_b32 exec_lo, exec_lo, s0
	s_delay_alu instid0(SALU_CYCLE_1)
	s_mov_b32 s0, exec_lo
	v_cmpx_gt_i32_e64 s4, v0
	s_cbranch_execz .LBB88_14
.LBB88_31:
	v_add_nc_u32_e32 v3, s1, v0
	v_add_nc_u32_e32 v0, 0x100, v0
	global_store_d16_hi_b8 v3, v2, s[2:3]
	s_or_b32 exec_lo, exec_lo, s0
	s_delay_alu instid0(SALU_CYCLE_1)
	s_mov_b32 s0, exec_lo
	v_cmpx_gt_i32_e64 s4, v0
	s_cbranch_execz .LBB88_15
.LBB88_32:
	v_lshrrev_b32_e32 v2, 24, v2
	v_add_nc_u32_e32 v3, s1, v0
	v_add_nc_u32_e32 v0, 0x100, v0
	global_store_b8 v3, v2, s[2:3]
	s_or_b32 exec_lo, exec_lo, s0
	s_delay_alu instid0(SALU_CYCLE_1)
	s_mov_b32 s0, exec_lo
	v_cmpx_gt_i32_e64 s4, v0
	s_cbranch_execz .LBB88_16
.LBB88_33:
	v_add_nc_u32_e32 v2, s1, v0
	v_add_nc_u32_e32 v0, 0x100, v0
	global_store_b8 v2, v1, s[2:3]
	s_or_b32 exec_lo, exec_lo, s0
	s_delay_alu instid0(SALU_CYCLE_1)
	s_mov_b32 s0, exec_lo
	v_cmpx_gt_i32_e64 s4, v0
	s_cbranch_execz .LBB88_17
.LBB88_34:
	v_lshrrev_b32_e32 v2, 8, v1
	v_add_nc_u32_e32 v3, s1, v0
	v_add_nc_u32_e32 v0, 0x100, v0
	global_store_b8 v3, v2, s[2:3]
	s_or_b32 exec_lo, exec_lo, s0
	s_delay_alu instid0(SALU_CYCLE_1)
	s_mov_b32 s0, exec_lo
	v_cmpx_gt_i32_e64 s4, v0
	s_cbranch_execz .LBB88_18
.LBB88_35:
	v_add_nc_u32_e32 v2, s1, v0
	v_add_nc_u32_e32 v0, 0x100, v0
	global_store_d16_hi_b8 v2, v1, s[2:3]
	s_or_b32 exec_lo, exec_lo, s0
	s_delay_alu instid0(SALU_CYCLE_1)
	s_mov_b32 s0, exec_lo
	v_cmpx_gt_i32_e64 s4, v0
	s_cbranch_execnz .LBB88_19
	s_branch .LBB88_20
	.section	.rodata,"a",@progbits
	.p2align	6, 0x0
	.amdhsa_kernel _ZN2at6native29vectorized_elementwise_kernelILi16ENS0_11FillFunctorIbEESt5arrayIPcLm1EEEEviT0_T1_
		.amdhsa_group_segment_fixed_size 0
		.amdhsa_private_segment_fixed_size 0
		.amdhsa_kernarg_size 16
		.amdhsa_user_sgpr_count 15
		.amdhsa_user_sgpr_dispatch_ptr 0
		.amdhsa_user_sgpr_queue_ptr 0
		.amdhsa_user_sgpr_kernarg_segment_ptr 1
		.amdhsa_user_sgpr_dispatch_id 0
		.amdhsa_user_sgpr_private_segment_size 0
		.amdhsa_wavefront_size32 1
		.amdhsa_uses_dynamic_stack 0
		.amdhsa_enable_private_segment 0
		.amdhsa_system_sgpr_workgroup_id_x 1
		.amdhsa_system_sgpr_workgroup_id_y 0
		.amdhsa_system_sgpr_workgroup_id_z 0
		.amdhsa_system_sgpr_workgroup_info 0
		.amdhsa_system_vgpr_workitem_id 0
		.amdhsa_next_free_vgpr 16
		.amdhsa_next_free_sgpr 16
		.amdhsa_reserve_vcc 1
		.amdhsa_float_round_mode_32 0
		.amdhsa_float_round_mode_16_64 0
		.amdhsa_float_denorm_mode_32 3
		.amdhsa_float_denorm_mode_16_64 3
		.amdhsa_dx10_clamp 1
		.amdhsa_ieee_mode 1
		.amdhsa_fp16_overflow 0
		.amdhsa_workgroup_processor_mode 1
		.amdhsa_memory_ordered 1
		.amdhsa_forward_progress 0
		.amdhsa_shared_vgpr_count 0
		.amdhsa_exception_fp_ieee_invalid_op 0
		.amdhsa_exception_fp_denorm_src 0
		.amdhsa_exception_fp_ieee_div_zero 0
		.amdhsa_exception_fp_ieee_overflow 0
		.amdhsa_exception_fp_ieee_underflow 0
		.amdhsa_exception_fp_ieee_inexact 0
		.amdhsa_exception_int_div_zero 0
	.end_amdhsa_kernel
	.section	.text._ZN2at6native29vectorized_elementwise_kernelILi16ENS0_11FillFunctorIbEESt5arrayIPcLm1EEEEviT0_T1_,"axG",@progbits,_ZN2at6native29vectorized_elementwise_kernelILi16ENS0_11FillFunctorIbEESt5arrayIPcLm1EEEEviT0_T1_,comdat
.Lfunc_end88:
	.size	_ZN2at6native29vectorized_elementwise_kernelILi16ENS0_11FillFunctorIbEESt5arrayIPcLm1EEEEviT0_T1_, .Lfunc_end88-_ZN2at6native29vectorized_elementwise_kernelILi16ENS0_11FillFunctorIbEESt5arrayIPcLm1EEEEviT0_T1_
                                        ; -- End function
	.section	.AMDGPU.csdata,"",@progbits
; Kernel info:
; codeLenInByte = 1864
; NumSgprs: 18
; NumVgprs: 16
; ScratchSize: 0
; MemoryBound: 0
; FloatMode: 240
; IeeeMode: 1
; LDSByteSize: 0 bytes/workgroup (compile time only)
; SGPRBlocks: 2
; VGPRBlocks: 1
; NumSGPRsForWavesPerEU: 18
; NumVGPRsForWavesPerEU: 16
; Occupancy: 16
; WaveLimiterHint : 0
; COMPUTE_PGM_RSRC2:SCRATCH_EN: 0
; COMPUTE_PGM_RSRC2:USER_SGPR: 15
; COMPUTE_PGM_RSRC2:TRAP_HANDLER: 0
; COMPUTE_PGM_RSRC2:TGID_X_EN: 1
; COMPUTE_PGM_RSRC2:TGID_Y_EN: 0
; COMPUTE_PGM_RSRC2:TGID_Z_EN: 0
; COMPUTE_PGM_RSRC2:TIDIG_COMP_CNT: 0
	.section	.text._ZN2at6native29vectorized_elementwise_kernelILi8ENS0_11FillFunctorIbEESt5arrayIPcLm1EEEEviT0_T1_,"axG",@progbits,_ZN2at6native29vectorized_elementwise_kernelILi8ENS0_11FillFunctorIbEESt5arrayIPcLm1EEEEviT0_T1_,comdat
	.protected	_ZN2at6native29vectorized_elementwise_kernelILi8ENS0_11FillFunctorIbEESt5arrayIPcLm1EEEEviT0_T1_ ; -- Begin function _ZN2at6native29vectorized_elementwise_kernelILi8ENS0_11FillFunctorIbEESt5arrayIPcLm1EEEEviT0_T1_
	.globl	_ZN2at6native29vectorized_elementwise_kernelILi8ENS0_11FillFunctorIbEESt5arrayIPcLm1EEEEviT0_T1_
	.p2align	8
	.type	_ZN2at6native29vectorized_elementwise_kernelILi8ENS0_11FillFunctorIbEESt5arrayIPcLm1EEEEviT0_T1_,@function
_ZN2at6native29vectorized_elementwise_kernelILi8ENS0_11FillFunctorIbEESt5arrayIPcLm1EEEEviT0_T1_: ; @_ZN2at6native29vectorized_elementwise_kernelILi8ENS0_11FillFunctorIbEESt5arrayIPcLm1EEEEviT0_T1_
; %bb.0:
	s_load_b128 s[0:3], s[0:1], 0x0
	s_waitcnt lgkmcnt(0)
	s_bitcmp1_b32 s1, 0
	s_cselect_b32 s5, -1, 0
	s_lshl_b32 s1, s15, 12
	v_cndmask_b32_e64 v1, 0, 1, s5
	s_sub_i32 s4, s0, s1
	s_mov_b32 s0, -1
	s_cmpk_gt_i32 s4, 0xfff
	s_cbranch_scc0 .LBB89_2
; %bb.1:
	s_ashr_i32 s0, s1, 31
	s_add_u32 s6, s2, s1
	s_addc_u32 s7, s3, s0
	s_and_b32 s0, s5, exec_lo
	s_cselect_b32 s0, 0x1010100, 0
	s_cselect_b32 s5, 0x1010101, 0
	s_delay_alu instid0(SALU_CYCLE_1)
	v_dual_mov_b32 v3, s5 :: v_dual_lshlrev_b32 v4, 3, v0
	v_or_b32_e32 v2, s0, v1
	s_mov_b32 s0, 0
	s_clause 0x1
	global_store_b64 v4, v[2:3], s[6:7]
	global_store_b64 v4, v[2:3], s[6:7] offset:2048
.LBB89_2:
	s_and_not1_b32 vcc_lo, exec_lo, s0
	s_cbranch_vccnz .LBB89_20
; %bb.3:
	v_or_b32_e32 v2, 0x400, v0
	v_and_b32_e32 v3, 0xffff, v1
	v_or_b32_e32 v4, 0xc00, v0
	v_lshlrev_b16 v5, 8, v1
	v_or_b32_e32 v8, 0x500, v0
	v_cmp_gt_i32_e32 vcc_lo, s4, v2
	v_or_b32_e32 v9, 0xd00, v0
	v_or_b32_e32 v12, 0x900, v0
	;; [unrolled: 1-line block ×3, first 2 shown]
	v_cmp_gt_i32_e64 s0, s4, v8
	v_cndmask_b32_e32 v2, 0, v3, vcc_lo
	v_cmp_gt_i32_e32 vcc_lo, s4, v4
	v_or_b32_e32 v13, 0xa00, v0
	s_delay_alu instid0(VALU_DEP_3) | instskip(SKIP_1) | instid1(VALU_DEP_2)
	v_dual_cndmask_b32 v3, 0, v3 :: v_dual_and_b32 v4, 0xff, v2
	v_cmp_gt_i32_e32 vcc_lo, s4, v0
	v_or_b32_e32 v7, v4, v5
	s_delay_alu instid0(VALU_DEP_3) | instskip(SKIP_1) | instid1(VALU_DEP_3)
	v_and_b32_e32 v6, 0xff, v3
	v_or_b32_e32 v4, 0x100, v0
	v_and_b32_e32 v7, 0xffff, v7
	s_delay_alu instid0(VALU_DEP_3) | instskip(NEXT) | instid1(VALU_DEP_2)
	v_or_b32_e32 v6, v6, v5
	v_cndmask_b32_e64 v2, v2, v7, s0
	s_delay_alu instid0(VALU_DEP_2) | instskip(SKIP_4) | instid1(VALU_DEP_4)
	v_and_b32_e32 v6, 0xffff, v6
	v_cmp_gt_i32_e64 s0, s4, v9
	v_or_b32_e32 v7, v1, v5
	v_or_b32_e32 v9, 0x600, v0
	v_lshrrev_b32_e32 v8, 16, v2
	v_cndmask_b32_e64 v3, v3, v6, s0
	s_delay_alu instid0(VALU_DEP_4) | instskip(SKIP_4) | instid1(VALU_DEP_4)
	v_and_b32_e32 v7, 0xffff, v7
	v_cmp_gt_i32_e64 s0, s4, v4
	v_lshlrev_b32_e32 v6, 16, v1
	v_and_b32_e32 v8, 0xffffff00, v8
	v_lshrrev_b32_e32 v11, 16, v3
	v_cndmask_b32_e64 v14, v1, v7, s0
	v_cmp_gt_i32_e64 s0, s4, v12
	s_delay_alu instid0(VALU_DEP_4) | instskip(NEXT) | instid1(VALU_DEP_4)
	v_or_b32_e32 v8, v1, v8
	v_and_b32_e32 v11, 0xffffff00, v11
	s_delay_alu instid0(VALU_DEP_4) | instskip(NEXT) | instid1(VALU_DEP_4)
	v_or_b32_e32 v12, v14, v6
	v_cndmask_b32_e64 v7, v1, v7, s0
	v_cmp_gt_i32_e64 s0, s4, v10
	s_delay_alu instid0(VALU_DEP_4)
	v_or_b32_e32 v1, v1, v11
	v_lshlrev_b32_e32 v8, 16, v8
	v_or_b32_e32 v11, 0xe00, v0
	v_or_b32_e32 v6, v7, v6
	v_cndmask_b32_e64 v10, v14, v12, s0
	v_cmp_gt_i32_e64 s0, s4, v13
	v_lshlrev_b32_e32 v1, 16, v1
	v_and_or_b32 v8, 0xffff, v2, v8
	v_or_b32_e32 v13, 0xb00, v0
	v_or_b32_e32 v12, 0x700, v0
	v_cndmask_b32_e64 v6, v7, v6, s0
	v_cmp_gt_i32_e64 s0, s4, v9
	v_and_or_b32 v1, 0xffff, v3, v1
	v_lshrrev_b32_e32 v7, 16, v10
	s_delay_alu instid0(VALU_DEP_3) | instskip(SKIP_2) | instid1(VALU_DEP_4)
	v_cndmask_b32_e64 v8, v2, v8, s0
	v_cmp_gt_i32_e64 s0, s4, v11
	v_lshrrev_b32_e32 v2, 16, v6
	v_and_b32_e32 v7, 0xff, v7
	s_delay_alu instid0(VALU_DEP_4) | instskip(NEXT) | instid1(VALU_DEP_4)
	v_lshrrev_b32_e32 v9, 16, v8
	v_cndmask_b32_e64 v1, v3, v1, s0
	s_delay_alu instid0(VALU_DEP_4) | instskip(NEXT) | instid1(VALU_DEP_4)
	v_and_b32_e32 v2, 0xff, v2
	v_or_b32_e32 v7, v7, v5
	v_or_b32_e32 v3, 0x300, v0
	v_and_b32_e32 v9, 0xff, v9
	v_lshrrev_b32_e32 v11, 16, v1
	v_or_b32_e32 v2, v2, v5
	v_lshlrev_b32_e32 v7, 16, v7
	v_cmp_gt_i32_e64 s0, s4, v3
	v_or_b32_e32 v9, v9, v5
	v_and_b32_e32 v11, 0xff, v11
	v_lshlrev_b32_e32 v2, 16, v2
	v_and_or_b32 v7, 0xffff, v10, v7
	s_delay_alu instid0(VALU_DEP_4) | instskip(NEXT) | instid1(VALU_DEP_4)
	v_lshlrev_b32_e32 v9, 16, v9
	v_or_b32_e32 v5, v11, v5
	s_delay_alu instid0(VALU_DEP_4) | instskip(SKIP_1) | instid1(VALU_DEP_4)
	v_and_or_b32 v2, 0xffff, v6, v2
	v_or_b32_e32 v11, 0xf00, v0
	v_and_or_b32 v3, 0xffff, v8, v9
	s_delay_alu instid0(VALU_DEP_4) | instskip(SKIP_2) | instid1(VALU_DEP_3)
	v_lshlrev_b32_e32 v14, 16, v5
	v_cndmask_b32_e64 v5, v10, v7, s0
	v_cmp_gt_i32_e64 s0, s4, v13
	v_and_or_b32 v7, 0xffff, v1, v14
	s_delay_alu instid0(VALU_DEP_2) | instskip(SKIP_1) | instid1(VALU_DEP_1)
	v_cndmask_b32_e64 v2, v6, v2, s0
	v_cmp_gt_i32_e64 s0, s4, v12
	v_cndmask_b32_e64 v3, v8, v3, s0
	v_cmp_gt_i32_e64 s0, s4, v11
	s_delay_alu instid0(VALU_DEP_1)
	v_cndmask_b32_e64 v1, v1, v7, s0
	s_and_saveexec_b32 s0, vcc_lo
	s_cbranch_execnz .LBB89_21
; %bb.4:
	s_or_b32 exec_lo, exec_lo, s0
	s_delay_alu instid0(SALU_CYCLE_1)
	s_mov_b32 s0, exec_lo
	v_cmpx_gt_i32_e64 s4, v0
	s_cbranch_execnz .LBB89_22
.LBB89_5:
	s_or_b32 exec_lo, exec_lo, s0
	s_delay_alu instid0(SALU_CYCLE_1)
	s_mov_b32 s0, exec_lo
	v_cmpx_gt_i32_e64 s4, v0
	s_cbranch_execnz .LBB89_23
.LBB89_6:
	s_or_b32 exec_lo, exec_lo, s0
	s_delay_alu instid0(SALU_CYCLE_1)
	s_mov_b32 s0, exec_lo
	v_cmpx_gt_i32_e64 s4, v0
	s_cbranch_execnz .LBB89_24
.LBB89_7:
	s_or_b32 exec_lo, exec_lo, s0
	s_delay_alu instid0(SALU_CYCLE_1)
	s_mov_b32 s0, exec_lo
	v_cmpx_gt_i32_e64 s4, v0
	s_cbranch_execnz .LBB89_25
.LBB89_8:
	s_or_b32 exec_lo, exec_lo, s0
	s_delay_alu instid0(SALU_CYCLE_1)
	s_mov_b32 s0, exec_lo
	v_cmpx_gt_i32_e64 s4, v0
	s_cbranch_execnz .LBB89_26
.LBB89_9:
	s_or_b32 exec_lo, exec_lo, s0
	s_delay_alu instid0(SALU_CYCLE_1)
	s_mov_b32 s0, exec_lo
	v_cmpx_gt_i32_e64 s4, v0
	s_cbranch_execnz .LBB89_27
.LBB89_10:
	s_or_b32 exec_lo, exec_lo, s0
	s_delay_alu instid0(SALU_CYCLE_1)
	s_mov_b32 s0, exec_lo
	v_cmpx_gt_i32_e64 s4, v0
	s_cbranch_execnz .LBB89_28
.LBB89_11:
	s_or_b32 exec_lo, exec_lo, s0
	s_delay_alu instid0(SALU_CYCLE_1)
	s_mov_b32 s0, exec_lo
	v_cmpx_gt_i32_e64 s4, v0
	s_cbranch_execnz .LBB89_29
.LBB89_12:
	s_or_b32 exec_lo, exec_lo, s0
	s_delay_alu instid0(SALU_CYCLE_1)
	s_mov_b32 s0, exec_lo
	v_cmpx_gt_i32_e64 s4, v0
	s_cbranch_execnz .LBB89_30
.LBB89_13:
	s_or_b32 exec_lo, exec_lo, s0
	s_delay_alu instid0(SALU_CYCLE_1)
	s_mov_b32 s0, exec_lo
	v_cmpx_gt_i32_e64 s4, v0
	s_cbranch_execnz .LBB89_31
.LBB89_14:
	s_or_b32 exec_lo, exec_lo, s0
	s_delay_alu instid0(SALU_CYCLE_1)
	s_mov_b32 s0, exec_lo
	v_cmpx_gt_i32_e64 s4, v0
	s_cbranch_execnz .LBB89_32
.LBB89_15:
	s_or_b32 exec_lo, exec_lo, s0
	s_delay_alu instid0(SALU_CYCLE_1)
	s_mov_b32 s0, exec_lo
	v_cmpx_gt_i32_e64 s4, v0
	s_cbranch_execnz .LBB89_33
.LBB89_16:
	s_or_b32 exec_lo, exec_lo, s0
	s_delay_alu instid0(SALU_CYCLE_1)
	s_mov_b32 s0, exec_lo
	v_cmpx_gt_i32_e64 s4, v0
	s_cbranch_execnz .LBB89_34
.LBB89_17:
	s_or_b32 exec_lo, exec_lo, s0
	s_delay_alu instid0(SALU_CYCLE_1)
	s_mov_b32 s0, exec_lo
	v_cmpx_gt_i32_e64 s4, v0
	s_cbranch_execnz .LBB89_35
.LBB89_18:
	s_or_b32 exec_lo, exec_lo, s0
	s_delay_alu instid0(SALU_CYCLE_1)
	s_mov_b32 s0, exec_lo
	v_cmpx_gt_i32_e64 s4, v0
	s_cbranch_execz .LBB89_20
.LBB89_19:
	v_lshrrev_b32_e32 v1, 24, v1
	v_add_nc_u32_e32 v0, s1, v0
	global_store_b8 v0, v1, s[2:3]
.LBB89_20:
	s_nop 0
	s_sendmsg sendmsg(MSG_DEALLOC_VGPRS)
	s_endpgm
.LBB89_21:
	v_or_b32_e32 v6, s1, v0
	v_mov_b32_e32 v0, v4
	global_store_b8 v6, v5, s[2:3]
	s_or_b32 exec_lo, exec_lo, s0
	s_delay_alu instid0(SALU_CYCLE_1)
	s_mov_b32 s0, exec_lo
	v_cmpx_gt_i32_e64 s4, v0
	s_cbranch_execz .LBB89_5
.LBB89_22:
	v_lshrrev_b32_e32 v4, 8, v5
	v_add_nc_u32_e32 v6, s1, v0
	v_add_nc_u32_e32 v0, 0x100, v0
	global_store_b8 v6, v4, s[2:3]
	s_or_b32 exec_lo, exec_lo, s0
	s_delay_alu instid0(SALU_CYCLE_1)
	s_mov_b32 s0, exec_lo
	v_cmpx_gt_i32_e64 s4, v0
	s_cbranch_execz .LBB89_6
.LBB89_23:
	v_add_nc_u32_e32 v4, s1, v0
	v_add_nc_u32_e32 v0, 0x100, v0
	global_store_d16_hi_b8 v4, v5, s[2:3]
	s_or_b32 exec_lo, exec_lo, s0
	s_delay_alu instid0(SALU_CYCLE_1)
	s_mov_b32 s0, exec_lo
	v_cmpx_gt_i32_e64 s4, v0
	s_cbranch_execz .LBB89_7
.LBB89_24:
	v_lshrrev_b32_e32 v4, 24, v5
	v_add_nc_u32_e32 v5, s1, v0
	v_add_nc_u32_e32 v0, 0x100, v0
	global_store_b8 v5, v4, s[2:3]
	s_or_b32 exec_lo, exec_lo, s0
	s_delay_alu instid0(SALU_CYCLE_1)
	s_mov_b32 s0, exec_lo
	v_cmpx_gt_i32_e64 s4, v0
	s_cbranch_execz .LBB89_8
.LBB89_25:
	v_add_nc_u32_e32 v4, s1, v0
	v_add_nc_u32_e32 v0, 0x100, v0
	global_store_b8 v4, v3, s[2:3]
	s_or_b32 exec_lo, exec_lo, s0
	s_delay_alu instid0(SALU_CYCLE_1)
	s_mov_b32 s0, exec_lo
	v_cmpx_gt_i32_e64 s4, v0
	s_cbranch_execz .LBB89_9
.LBB89_26:
	v_lshrrev_b32_e32 v4, 8, v3
	v_add_nc_u32_e32 v5, s1, v0
	v_add_nc_u32_e32 v0, 0x100, v0
	global_store_b8 v5, v4, s[2:3]
	s_or_b32 exec_lo, exec_lo, s0
	s_delay_alu instid0(SALU_CYCLE_1)
	s_mov_b32 s0, exec_lo
	v_cmpx_gt_i32_e64 s4, v0
	s_cbranch_execz .LBB89_10
.LBB89_27:
	v_add_nc_u32_e32 v4, s1, v0
	v_add_nc_u32_e32 v0, 0x100, v0
	global_store_d16_hi_b8 v4, v3, s[2:3]
	s_or_b32 exec_lo, exec_lo, s0
	s_delay_alu instid0(SALU_CYCLE_1)
	s_mov_b32 s0, exec_lo
	v_cmpx_gt_i32_e64 s4, v0
	s_cbranch_execz .LBB89_11
.LBB89_28:
	v_lshrrev_b32_e32 v3, 24, v3
	v_add_nc_u32_e32 v4, s1, v0
	v_add_nc_u32_e32 v0, 0x100, v0
	global_store_b8 v4, v3, s[2:3]
	s_or_b32 exec_lo, exec_lo, s0
	s_delay_alu instid0(SALU_CYCLE_1)
	s_mov_b32 s0, exec_lo
	v_cmpx_gt_i32_e64 s4, v0
	s_cbranch_execz .LBB89_12
.LBB89_29:
	v_add_nc_u32_e32 v3, s1, v0
	v_add_nc_u32_e32 v0, 0x100, v0
	global_store_b8 v3, v2, s[2:3]
	s_or_b32 exec_lo, exec_lo, s0
	s_delay_alu instid0(SALU_CYCLE_1)
	s_mov_b32 s0, exec_lo
	v_cmpx_gt_i32_e64 s4, v0
	s_cbranch_execz .LBB89_13
.LBB89_30:
	v_lshrrev_b32_e32 v3, 8, v2
	v_add_nc_u32_e32 v4, s1, v0
	v_add_nc_u32_e32 v0, 0x100, v0
	global_store_b8 v4, v3, s[2:3]
	s_or_b32 exec_lo, exec_lo, s0
	s_delay_alu instid0(SALU_CYCLE_1)
	s_mov_b32 s0, exec_lo
	v_cmpx_gt_i32_e64 s4, v0
	s_cbranch_execz .LBB89_14
.LBB89_31:
	v_add_nc_u32_e32 v3, s1, v0
	v_add_nc_u32_e32 v0, 0x100, v0
	global_store_d16_hi_b8 v3, v2, s[2:3]
	s_or_b32 exec_lo, exec_lo, s0
	s_delay_alu instid0(SALU_CYCLE_1)
	s_mov_b32 s0, exec_lo
	v_cmpx_gt_i32_e64 s4, v0
	s_cbranch_execz .LBB89_15
.LBB89_32:
	v_lshrrev_b32_e32 v2, 24, v2
	v_add_nc_u32_e32 v3, s1, v0
	v_add_nc_u32_e32 v0, 0x100, v0
	global_store_b8 v3, v2, s[2:3]
	s_or_b32 exec_lo, exec_lo, s0
	s_delay_alu instid0(SALU_CYCLE_1)
	s_mov_b32 s0, exec_lo
	v_cmpx_gt_i32_e64 s4, v0
	s_cbranch_execz .LBB89_16
.LBB89_33:
	v_add_nc_u32_e32 v2, s1, v0
	v_add_nc_u32_e32 v0, 0x100, v0
	global_store_b8 v2, v1, s[2:3]
	s_or_b32 exec_lo, exec_lo, s0
	s_delay_alu instid0(SALU_CYCLE_1)
	s_mov_b32 s0, exec_lo
	v_cmpx_gt_i32_e64 s4, v0
	s_cbranch_execz .LBB89_17
.LBB89_34:
	v_lshrrev_b32_e32 v2, 8, v1
	v_add_nc_u32_e32 v3, s1, v0
	v_add_nc_u32_e32 v0, 0x100, v0
	global_store_b8 v3, v2, s[2:3]
	s_or_b32 exec_lo, exec_lo, s0
	s_delay_alu instid0(SALU_CYCLE_1)
	s_mov_b32 s0, exec_lo
	v_cmpx_gt_i32_e64 s4, v0
	s_cbranch_execz .LBB89_18
.LBB89_35:
	v_add_nc_u32_e32 v2, s1, v0
	v_add_nc_u32_e32 v0, 0x100, v0
	global_store_d16_hi_b8 v2, v1, s[2:3]
	s_or_b32 exec_lo, exec_lo, s0
	s_delay_alu instid0(SALU_CYCLE_1)
	s_mov_b32 s0, exec_lo
	v_cmpx_gt_i32_e64 s4, v0
	s_cbranch_execnz .LBB89_19
	s_branch .LBB89_20
	.section	.rodata,"a",@progbits
	.p2align	6, 0x0
	.amdhsa_kernel _ZN2at6native29vectorized_elementwise_kernelILi8ENS0_11FillFunctorIbEESt5arrayIPcLm1EEEEviT0_T1_
		.amdhsa_group_segment_fixed_size 0
		.amdhsa_private_segment_fixed_size 0
		.amdhsa_kernarg_size 16
		.amdhsa_user_sgpr_count 15
		.amdhsa_user_sgpr_dispatch_ptr 0
		.amdhsa_user_sgpr_queue_ptr 0
		.amdhsa_user_sgpr_kernarg_segment_ptr 1
		.amdhsa_user_sgpr_dispatch_id 0
		.amdhsa_user_sgpr_private_segment_size 0
		.amdhsa_wavefront_size32 1
		.amdhsa_uses_dynamic_stack 0
		.amdhsa_enable_private_segment 0
		.amdhsa_system_sgpr_workgroup_id_x 1
		.amdhsa_system_sgpr_workgroup_id_y 0
		.amdhsa_system_sgpr_workgroup_id_z 0
		.amdhsa_system_sgpr_workgroup_info 0
		.amdhsa_system_vgpr_workitem_id 0
		.amdhsa_next_free_vgpr 15
		.amdhsa_next_free_sgpr 16
		.amdhsa_reserve_vcc 1
		.amdhsa_float_round_mode_32 0
		.amdhsa_float_round_mode_16_64 0
		.amdhsa_float_denorm_mode_32 3
		.amdhsa_float_denorm_mode_16_64 3
		.amdhsa_dx10_clamp 1
		.amdhsa_ieee_mode 1
		.amdhsa_fp16_overflow 0
		.amdhsa_workgroup_processor_mode 1
		.amdhsa_memory_ordered 1
		.amdhsa_forward_progress 0
		.amdhsa_shared_vgpr_count 0
		.amdhsa_exception_fp_ieee_invalid_op 0
		.amdhsa_exception_fp_denorm_src 0
		.amdhsa_exception_fp_ieee_div_zero 0
		.amdhsa_exception_fp_ieee_overflow 0
		.amdhsa_exception_fp_ieee_underflow 0
		.amdhsa_exception_fp_ieee_inexact 0
		.amdhsa_exception_int_div_zero 0
	.end_amdhsa_kernel
	.section	.text._ZN2at6native29vectorized_elementwise_kernelILi8ENS0_11FillFunctorIbEESt5arrayIPcLm1EEEEviT0_T1_,"axG",@progbits,_ZN2at6native29vectorized_elementwise_kernelILi8ENS0_11FillFunctorIbEESt5arrayIPcLm1EEEEviT0_T1_,comdat
.Lfunc_end89:
	.size	_ZN2at6native29vectorized_elementwise_kernelILi8ENS0_11FillFunctorIbEESt5arrayIPcLm1EEEEviT0_T1_, .Lfunc_end89-_ZN2at6native29vectorized_elementwise_kernelILi8ENS0_11FillFunctorIbEESt5arrayIPcLm1EEEEviT0_T1_
                                        ; -- End function
	.section	.AMDGPU.csdata,"",@progbits
; Kernel info:
; codeLenInByte = 1872
; NumSgprs: 18
; NumVgprs: 15
; ScratchSize: 0
; MemoryBound: 0
; FloatMode: 240
; IeeeMode: 1
; LDSByteSize: 0 bytes/workgroup (compile time only)
; SGPRBlocks: 2
; VGPRBlocks: 1
; NumSGPRsForWavesPerEU: 18
; NumVGPRsForWavesPerEU: 15
; Occupancy: 16
; WaveLimiterHint : 1
; COMPUTE_PGM_RSRC2:SCRATCH_EN: 0
; COMPUTE_PGM_RSRC2:USER_SGPR: 15
; COMPUTE_PGM_RSRC2:TRAP_HANDLER: 0
; COMPUTE_PGM_RSRC2:TGID_X_EN: 1
; COMPUTE_PGM_RSRC2:TGID_Y_EN: 0
; COMPUTE_PGM_RSRC2:TGID_Z_EN: 0
; COMPUTE_PGM_RSRC2:TIDIG_COMP_CNT: 0
	.section	.text._ZN2at6native29vectorized_elementwise_kernelILi4ENS0_11FillFunctorIbEESt5arrayIPcLm1EEEEviT0_T1_,"axG",@progbits,_ZN2at6native29vectorized_elementwise_kernelILi4ENS0_11FillFunctorIbEESt5arrayIPcLm1EEEEviT0_T1_,comdat
	.protected	_ZN2at6native29vectorized_elementwise_kernelILi4ENS0_11FillFunctorIbEESt5arrayIPcLm1EEEEviT0_T1_ ; -- Begin function _ZN2at6native29vectorized_elementwise_kernelILi4ENS0_11FillFunctorIbEESt5arrayIPcLm1EEEEviT0_T1_
	.globl	_ZN2at6native29vectorized_elementwise_kernelILi4ENS0_11FillFunctorIbEESt5arrayIPcLm1EEEEviT0_T1_
	.p2align	8
	.type	_ZN2at6native29vectorized_elementwise_kernelILi4ENS0_11FillFunctorIbEESt5arrayIPcLm1EEEEviT0_T1_,@function
_ZN2at6native29vectorized_elementwise_kernelILi4ENS0_11FillFunctorIbEESt5arrayIPcLm1EEEEviT0_T1_: ; @_ZN2at6native29vectorized_elementwise_kernelILi4ENS0_11FillFunctorIbEESt5arrayIPcLm1EEEEviT0_T1_
; %bb.0:
	s_load_b128 s[0:3], s[0:1], 0x0
	s_waitcnt lgkmcnt(0)
	s_bitcmp1_b32 s1, 0
	s_cselect_b32 s5, -1, 0
	s_lshl_b32 s1, s15, 12
	v_cndmask_b32_e64 v1, 0, 1, s5
	s_sub_i32 s4, s0, s1
	s_mov_b32 s0, -1
	s_cmpk_gt_i32 s4, 0xfff
	s_cbranch_scc0 .LBB90_2
; %bb.1:
	s_ashr_i32 s0, s1, 31
	s_add_u32 s6, s2, s1
	s_addc_u32 s7, s3, s0
	s_and_b32 s0, s5, exec_lo
	s_cselect_b32 s0, 0x1010100, 0
	v_lshlrev_b32_e32 v2, 2, v0
	v_or_b32_e32 v3, s0, v1
	s_mov_b32 s0, 0
	s_clause 0x3
	global_store_b32 v2, v3, s[6:7]
	global_store_b32 v2, v3, s[6:7] offset:1024
	global_store_b32 v2, v3, s[6:7] offset:2048
	;; [unrolled: 1-line block ×3, first 2 shown]
.LBB90_2:
	s_and_not1_b32 vcc_lo, exec_lo, s0
	s_cbranch_vccnz .LBB90_20
; %bb.3:
	v_or_b32_e32 v2, 0x400, v0
	v_and_b32_e32 v3, 0xffff, v1
	v_or_b32_e32 v4, 0xc00, v0
	v_lshlrev_b16 v5, 8, v1
	v_or_b32_e32 v8, 0x500, v0
	v_cmp_gt_i32_e32 vcc_lo, s4, v2
	v_or_b32_e32 v9, 0xd00, v0
	v_or_b32_e32 v12, 0x900, v0
	v_or_b32_e32 v10, 0x200, v0
	v_cmp_gt_i32_e64 s0, s4, v8
	v_cndmask_b32_e32 v2, 0, v3, vcc_lo
	v_cmp_gt_i32_e32 vcc_lo, s4, v4
	v_or_b32_e32 v13, 0xa00, v0
	s_delay_alu instid0(VALU_DEP_3) | instskip(SKIP_1) | instid1(VALU_DEP_2)
	v_dual_cndmask_b32 v3, 0, v3 :: v_dual_and_b32 v4, 0xff, v2
	v_cmp_gt_i32_e32 vcc_lo, s4, v0
	v_or_b32_e32 v7, v4, v5
	s_delay_alu instid0(VALU_DEP_3) | instskip(SKIP_1) | instid1(VALU_DEP_3)
	v_and_b32_e32 v6, 0xff, v3
	v_or_b32_e32 v4, 0x100, v0
	v_and_b32_e32 v7, 0xffff, v7
	s_delay_alu instid0(VALU_DEP_3) | instskip(NEXT) | instid1(VALU_DEP_2)
	v_or_b32_e32 v6, v6, v5
	v_cndmask_b32_e64 v2, v2, v7, s0
	s_delay_alu instid0(VALU_DEP_2) | instskip(SKIP_4) | instid1(VALU_DEP_4)
	v_and_b32_e32 v6, 0xffff, v6
	v_cmp_gt_i32_e64 s0, s4, v9
	v_or_b32_e32 v7, v1, v5
	v_or_b32_e32 v9, 0x600, v0
	v_lshrrev_b32_e32 v8, 16, v2
	v_cndmask_b32_e64 v3, v3, v6, s0
	s_delay_alu instid0(VALU_DEP_4) | instskip(SKIP_4) | instid1(VALU_DEP_4)
	v_and_b32_e32 v7, 0xffff, v7
	v_cmp_gt_i32_e64 s0, s4, v4
	v_lshlrev_b32_e32 v6, 16, v1
	v_and_b32_e32 v8, 0xffffff00, v8
	v_lshrrev_b32_e32 v11, 16, v3
	v_cndmask_b32_e64 v14, v1, v7, s0
	v_cmp_gt_i32_e64 s0, s4, v12
	s_delay_alu instid0(VALU_DEP_4) | instskip(NEXT) | instid1(VALU_DEP_4)
	v_or_b32_e32 v8, v1, v8
	v_and_b32_e32 v11, 0xffffff00, v11
	s_delay_alu instid0(VALU_DEP_4) | instskip(NEXT) | instid1(VALU_DEP_4)
	v_or_b32_e32 v12, v14, v6
	v_cndmask_b32_e64 v7, v1, v7, s0
	v_cmp_gt_i32_e64 s0, s4, v10
	s_delay_alu instid0(VALU_DEP_4)
	v_or_b32_e32 v1, v1, v11
	v_lshlrev_b32_e32 v8, 16, v8
	v_or_b32_e32 v11, 0xe00, v0
	v_or_b32_e32 v6, v7, v6
	v_cndmask_b32_e64 v10, v14, v12, s0
	v_cmp_gt_i32_e64 s0, s4, v13
	v_lshlrev_b32_e32 v1, 16, v1
	v_and_or_b32 v8, 0xffff, v2, v8
	v_or_b32_e32 v13, 0xb00, v0
	v_or_b32_e32 v12, 0x700, v0
	v_cndmask_b32_e64 v6, v7, v6, s0
	v_cmp_gt_i32_e64 s0, s4, v9
	v_and_or_b32 v1, 0xffff, v3, v1
	v_lshrrev_b32_e32 v7, 16, v10
	s_delay_alu instid0(VALU_DEP_3) | instskip(SKIP_2) | instid1(VALU_DEP_4)
	v_cndmask_b32_e64 v8, v2, v8, s0
	v_cmp_gt_i32_e64 s0, s4, v11
	v_lshrrev_b32_e32 v2, 16, v6
	v_and_b32_e32 v7, 0xff, v7
	s_delay_alu instid0(VALU_DEP_4) | instskip(NEXT) | instid1(VALU_DEP_4)
	v_lshrrev_b32_e32 v9, 16, v8
	v_cndmask_b32_e64 v1, v3, v1, s0
	s_delay_alu instid0(VALU_DEP_4) | instskip(NEXT) | instid1(VALU_DEP_4)
	v_and_b32_e32 v2, 0xff, v2
	v_or_b32_e32 v7, v7, v5
	v_or_b32_e32 v3, 0x300, v0
	v_and_b32_e32 v9, 0xff, v9
	v_lshrrev_b32_e32 v11, 16, v1
	v_or_b32_e32 v2, v2, v5
	v_lshlrev_b32_e32 v7, 16, v7
	v_cmp_gt_i32_e64 s0, s4, v3
	v_or_b32_e32 v9, v9, v5
	v_and_b32_e32 v11, 0xff, v11
	v_lshlrev_b32_e32 v2, 16, v2
	v_and_or_b32 v7, 0xffff, v10, v7
	s_delay_alu instid0(VALU_DEP_4) | instskip(NEXT) | instid1(VALU_DEP_4)
	v_lshlrev_b32_e32 v9, 16, v9
	v_or_b32_e32 v5, v11, v5
	s_delay_alu instid0(VALU_DEP_4) | instskip(SKIP_1) | instid1(VALU_DEP_4)
	v_and_or_b32 v2, 0xffff, v6, v2
	v_or_b32_e32 v11, 0xf00, v0
	v_and_or_b32 v3, 0xffff, v8, v9
	s_delay_alu instid0(VALU_DEP_4) | instskip(SKIP_2) | instid1(VALU_DEP_3)
	v_lshlrev_b32_e32 v14, 16, v5
	v_cndmask_b32_e64 v5, v10, v7, s0
	v_cmp_gt_i32_e64 s0, s4, v13
	v_and_or_b32 v7, 0xffff, v1, v14
	s_delay_alu instid0(VALU_DEP_2) | instskip(SKIP_1) | instid1(VALU_DEP_1)
	v_cndmask_b32_e64 v2, v6, v2, s0
	v_cmp_gt_i32_e64 s0, s4, v12
	v_cndmask_b32_e64 v3, v8, v3, s0
	v_cmp_gt_i32_e64 s0, s4, v11
	s_delay_alu instid0(VALU_DEP_1)
	v_cndmask_b32_e64 v1, v1, v7, s0
	s_and_saveexec_b32 s0, vcc_lo
	s_cbranch_execnz .LBB90_21
; %bb.4:
	s_or_b32 exec_lo, exec_lo, s0
	s_delay_alu instid0(SALU_CYCLE_1)
	s_mov_b32 s0, exec_lo
	v_cmpx_gt_i32_e64 s4, v0
	s_cbranch_execnz .LBB90_22
.LBB90_5:
	s_or_b32 exec_lo, exec_lo, s0
	s_delay_alu instid0(SALU_CYCLE_1)
	s_mov_b32 s0, exec_lo
	v_cmpx_gt_i32_e64 s4, v0
	s_cbranch_execnz .LBB90_23
.LBB90_6:
	s_or_b32 exec_lo, exec_lo, s0
	s_delay_alu instid0(SALU_CYCLE_1)
	s_mov_b32 s0, exec_lo
	v_cmpx_gt_i32_e64 s4, v0
	s_cbranch_execnz .LBB90_24
.LBB90_7:
	s_or_b32 exec_lo, exec_lo, s0
	s_delay_alu instid0(SALU_CYCLE_1)
	s_mov_b32 s0, exec_lo
	v_cmpx_gt_i32_e64 s4, v0
	s_cbranch_execnz .LBB90_25
.LBB90_8:
	s_or_b32 exec_lo, exec_lo, s0
	s_delay_alu instid0(SALU_CYCLE_1)
	s_mov_b32 s0, exec_lo
	v_cmpx_gt_i32_e64 s4, v0
	s_cbranch_execnz .LBB90_26
.LBB90_9:
	s_or_b32 exec_lo, exec_lo, s0
	s_delay_alu instid0(SALU_CYCLE_1)
	s_mov_b32 s0, exec_lo
	v_cmpx_gt_i32_e64 s4, v0
	s_cbranch_execnz .LBB90_27
.LBB90_10:
	s_or_b32 exec_lo, exec_lo, s0
	s_delay_alu instid0(SALU_CYCLE_1)
	s_mov_b32 s0, exec_lo
	v_cmpx_gt_i32_e64 s4, v0
	s_cbranch_execnz .LBB90_28
.LBB90_11:
	s_or_b32 exec_lo, exec_lo, s0
	s_delay_alu instid0(SALU_CYCLE_1)
	s_mov_b32 s0, exec_lo
	v_cmpx_gt_i32_e64 s4, v0
	s_cbranch_execnz .LBB90_29
.LBB90_12:
	s_or_b32 exec_lo, exec_lo, s0
	s_delay_alu instid0(SALU_CYCLE_1)
	s_mov_b32 s0, exec_lo
	v_cmpx_gt_i32_e64 s4, v0
	s_cbranch_execnz .LBB90_30
.LBB90_13:
	s_or_b32 exec_lo, exec_lo, s0
	s_delay_alu instid0(SALU_CYCLE_1)
	s_mov_b32 s0, exec_lo
	v_cmpx_gt_i32_e64 s4, v0
	s_cbranch_execnz .LBB90_31
.LBB90_14:
	s_or_b32 exec_lo, exec_lo, s0
	s_delay_alu instid0(SALU_CYCLE_1)
	s_mov_b32 s0, exec_lo
	v_cmpx_gt_i32_e64 s4, v0
	s_cbranch_execnz .LBB90_32
.LBB90_15:
	s_or_b32 exec_lo, exec_lo, s0
	s_delay_alu instid0(SALU_CYCLE_1)
	s_mov_b32 s0, exec_lo
	v_cmpx_gt_i32_e64 s4, v0
	s_cbranch_execnz .LBB90_33
.LBB90_16:
	s_or_b32 exec_lo, exec_lo, s0
	s_delay_alu instid0(SALU_CYCLE_1)
	s_mov_b32 s0, exec_lo
	v_cmpx_gt_i32_e64 s4, v0
	s_cbranch_execnz .LBB90_34
.LBB90_17:
	s_or_b32 exec_lo, exec_lo, s0
	s_delay_alu instid0(SALU_CYCLE_1)
	s_mov_b32 s0, exec_lo
	v_cmpx_gt_i32_e64 s4, v0
	s_cbranch_execnz .LBB90_35
.LBB90_18:
	s_or_b32 exec_lo, exec_lo, s0
	s_delay_alu instid0(SALU_CYCLE_1)
	s_mov_b32 s0, exec_lo
	v_cmpx_gt_i32_e64 s4, v0
	s_cbranch_execz .LBB90_20
.LBB90_19:
	v_lshrrev_b32_e32 v1, 24, v1
	v_add_nc_u32_e32 v0, s1, v0
	global_store_b8 v0, v1, s[2:3]
.LBB90_20:
	s_nop 0
	s_sendmsg sendmsg(MSG_DEALLOC_VGPRS)
	s_endpgm
.LBB90_21:
	v_or_b32_e32 v6, s1, v0
	v_mov_b32_e32 v0, v4
	global_store_b8 v6, v5, s[2:3]
	s_or_b32 exec_lo, exec_lo, s0
	s_delay_alu instid0(SALU_CYCLE_1)
	s_mov_b32 s0, exec_lo
	v_cmpx_gt_i32_e64 s4, v0
	s_cbranch_execz .LBB90_5
.LBB90_22:
	v_lshrrev_b32_e32 v4, 8, v5
	v_add_nc_u32_e32 v6, s1, v0
	v_add_nc_u32_e32 v0, 0x100, v0
	global_store_b8 v6, v4, s[2:3]
	s_or_b32 exec_lo, exec_lo, s0
	s_delay_alu instid0(SALU_CYCLE_1)
	s_mov_b32 s0, exec_lo
	v_cmpx_gt_i32_e64 s4, v0
	s_cbranch_execz .LBB90_6
.LBB90_23:
	v_add_nc_u32_e32 v4, s1, v0
	v_add_nc_u32_e32 v0, 0x100, v0
	global_store_d16_hi_b8 v4, v5, s[2:3]
	s_or_b32 exec_lo, exec_lo, s0
	s_delay_alu instid0(SALU_CYCLE_1)
	s_mov_b32 s0, exec_lo
	v_cmpx_gt_i32_e64 s4, v0
	s_cbranch_execz .LBB90_7
.LBB90_24:
	v_lshrrev_b32_e32 v4, 24, v5
	v_add_nc_u32_e32 v5, s1, v0
	v_add_nc_u32_e32 v0, 0x100, v0
	global_store_b8 v5, v4, s[2:3]
	s_or_b32 exec_lo, exec_lo, s0
	s_delay_alu instid0(SALU_CYCLE_1)
	s_mov_b32 s0, exec_lo
	v_cmpx_gt_i32_e64 s4, v0
	s_cbranch_execz .LBB90_8
.LBB90_25:
	v_add_nc_u32_e32 v4, s1, v0
	v_add_nc_u32_e32 v0, 0x100, v0
	global_store_b8 v4, v3, s[2:3]
	s_or_b32 exec_lo, exec_lo, s0
	s_delay_alu instid0(SALU_CYCLE_1)
	s_mov_b32 s0, exec_lo
	v_cmpx_gt_i32_e64 s4, v0
	s_cbranch_execz .LBB90_9
.LBB90_26:
	v_lshrrev_b32_e32 v4, 8, v3
	v_add_nc_u32_e32 v5, s1, v0
	v_add_nc_u32_e32 v0, 0x100, v0
	global_store_b8 v5, v4, s[2:3]
	s_or_b32 exec_lo, exec_lo, s0
	s_delay_alu instid0(SALU_CYCLE_1)
	s_mov_b32 s0, exec_lo
	v_cmpx_gt_i32_e64 s4, v0
	s_cbranch_execz .LBB90_10
.LBB90_27:
	v_add_nc_u32_e32 v4, s1, v0
	v_add_nc_u32_e32 v0, 0x100, v0
	global_store_d16_hi_b8 v4, v3, s[2:3]
	s_or_b32 exec_lo, exec_lo, s0
	s_delay_alu instid0(SALU_CYCLE_1)
	s_mov_b32 s0, exec_lo
	v_cmpx_gt_i32_e64 s4, v0
	s_cbranch_execz .LBB90_11
.LBB90_28:
	v_lshrrev_b32_e32 v3, 24, v3
	v_add_nc_u32_e32 v4, s1, v0
	v_add_nc_u32_e32 v0, 0x100, v0
	global_store_b8 v4, v3, s[2:3]
	s_or_b32 exec_lo, exec_lo, s0
	s_delay_alu instid0(SALU_CYCLE_1)
	s_mov_b32 s0, exec_lo
	v_cmpx_gt_i32_e64 s4, v0
	s_cbranch_execz .LBB90_12
.LBB90_29:
	v_add_nc_u32_e32 v3, s1, v0
	v_add_nc_u32_e32 v0, 0x100, v0
	global_store_b8 v3, v2, s[2:3]
	s_or_b32 exec_lo, exec_lo, s0
	s_delay_alu instid0(SALU_CYCLE_1)
	s_mov_b32 s0, exec_lo
	v_cmpx_gt_i32_e64 s4, v0
	s_cbranch_execz .LBB90_13
.LBB90_30:
	v_lshrrev_b32_e32 v3, 8, v2
	v_add_nc_u32_e32 v4, s1, v0
	v_add_nc_u32_e32 v0, 0x100, v0
	global_store_b8 v4, v3, s[2:3]
	s_or_b32 exec_lo, exec_lo, s0
	s_delay_alu instid0(SALU_CYCLE_1)
	s_mov_b32 s0, exec_lo
	v_cmpx_gt_i32_e64 s4, v0
	s_cbranch_execz .LBB90_14
.LBB90_31:
	v_add_nc_u32_e32 v3, s1, v0
	v_add_nc_u32_e32 v0, 0x100, v0
	global_store_d16_hi_b8 v3, v2, s[2:3]
	s_or_b32 exec_lo, exec_lo, s0
	s_delay_alu instid0(SALU_CYCLE_1)
	s_mov_b32 s0, exec_lo
	v_cmpx_gt_i32_e64 s4, v0
	s_cbranch_execz .LBB90_15
.LBB90_32:
	v_lshrrev_b32_e32 v2, 24, v2
	v_add_nc_u32_e32 v3, s1, v0
	v_add_nc_u32_e32 v0, 0x100, v0
	global_store_b8 v3, v2, s[2:3]
	s_or_b32 exec_lo, exec_lo, s0
	s_delay_alu instid0(SALU_CYCLE_1)
	s_mov_b32 s0, exec_lo
	v_cmpx_gt_i32_e64 s4, v0
	s_cbranch_execz .LBB90_16
.LBB90_33:
	v_add_nc_u32_e32 v2, s1, v0
	v_add_nc_u32_e32 v0, 0x100, v0
	global_store_b8 v2, v1, s[2:3]
	s_or_b32 exec_lo, exec_lo, s0
	s_delay_alu instid0(SALU_CYCLE_1)
	s_mov_b32 s0, exec_lo
	v_cmpx_gt_i32_e64 s4, v0
	s_cbranch_execz .LBB90_17
.LBB90_34:
	v_lshrrev_b32_e32 v2, 8, v1
	v_add_nc_u32_e32 v3, s1, v0
	v_add_nc_u32_e32 v0, 0x100, v0
	global_store_b8 v3, v2, s[2:3]
	s_or_b32 exec_lo, exec_lo, s0
	s_delay_alu instid0(SALU_CYCLE_1)
	s_mov_b32 s0, exec_lo
	v_cmpx_gt_i32_e64 s4, v0
	s_cbranch_execz .LBB90_18
.LBB90_35:
	v_add_nc_u32_e32 v2, s1, v0
	v_add_nc_u32_e32 v0, 0x100, v0
	global_store_d16_hi_b8 v2, v1, s[2:3]
	s_or_b32 exec_lo, exec_lo, s0
	s_delay_alu instid0(SALU_CYCLE_1)
	s_mov_b32 s0, exec_lo
	v_cmpx_gt_i32_e64 s4, v0
	s_cbranch_execnz .LBB90_19
	s_branch .LBB90_20
	.section	.rodata,"a",@progbits
	.p2align	6, 0x0
	.amdhsa_kernel _ZN2at6native29vectorized_elementwise_kernelILi4ENS0_11FillFunctorIbEESt5arrayIPcLm1EEEEviT0_T1_
		.amdhsa_group_segment_fixed_size 0
		.amdhsa_private_segment_fixed_size 0
		.amdhsa_kernarg_size 16
		.amdhsa_user_sgpr_count 15
		.amdhsa_user_sgpr_dispatch_ptr 0
		.amdhsa_user_sgpr_queue_ptr 0
		.amdhsa_user_sgpr_kernarg_segment_ptr 1
		.amdhsa_user_sgpr_dispatch_id 0
		.amdhsa_user_sgpr_private_segment_size 0
		.amdhsa_wavefront_size32 1
		.amdhsa_uses_dynamic_stack 0
		.amdhsa_enable_private_segment 0
		.amdhsa_system_sgpr_workgroup_id_x 1
		.amdhsa_system_sgpr_workgroup_id_y 0
		.amdhsa_system_sgpr_workgroup_id_z 0
		.amdhsa_system_sgpr_workgroup_info 0
		.amdhsa_system_vgpr_workitem_id 0
		.amdhsa_next_free_vgpr 15
		.amdhsa_next_free_sgpr 16
		.amdhsa_reserve_vcc 1
		.amdhsa_float_round_mode_32 0
		.amdhsa_float_round_mode_16_64 0
		.amdhsa_float_denorm_mode_32 3
		.amdhsa_float_denorm_mode_16_64 3
		.amdhsa_dx10_clamp 1
		.amdhsa_ieee_mode 1
		.amdhsa_fp16_overflow 0
		.amdhsa_workgroup_processor_mode 1
		.amdhsa_memory_ordered 1
		.amdhsa_forward_progress 0
		.amdhsa_shared_vgpr_count 0
		.amdhsa_exception_fp_ieee_invalid_op 0
		.amdhsa_exception_fp_denorm_src 0
		.amdhsa_exception_fp_ieee_div_zero 0
		.amdhsa_exception_fp_ieee_overflow 0
		.amdhsa_exception_fp_ieee_underflow 0
		.amdhsa_exception_fp_ieee_inexact 0
		.amdhsa_exception_int_div_zero 0
	.end_amdhsa_kernel
	.section	.text._ZN2at6native29vectorized_elementwise_kernelILi4ENS0_11FillFunctorIbEESt5arrayIPcLm1EEEEviT0_T1_,"axG",@progbits,_ZN2at6native29vectorized_elementwise_kernelILi4ENS0_11FillFunctorIbEESt5arrayIPcLm1EEEEviT0_T1_,comdat
.Lfunc_end90:
	.size	_ZN2at6native29vectorized_elementwise_kernelILi4ENS0_11FillFunctorIbEESt5arrayIPcLm1EEEEviT0_T1_, .Lfunc_end90-_ZN2at6native29vectorized_elementwise_kernelILi4ENS0_11FillFunctorIbEESt5arrayIPcLm1EEEEviT0_T1_
                                        ; -- End function
	.section	.AMDGPU.csdata,"",@progbits
; Kernel info:
; codeLenInByte = 1872
; NumSgprs: 18
; NumVgprs: 15
; ScratchSize: 0
; MemoryBound: 0
; FloatMode: 240
; IeeeMode: 1
; LDSByteSize: 0 bytes/workgroup (compile time only)
; SGPRBlocks: 2
; VGPRBlocks: 1
; NumSGPRsForWavesPerEU: 18
; NumVGPRsForWavesPerEU: 15
; Occupancy: 16
; WaveLimiterHint : 1
; COMPUTE_PGM_RSRC2:SCRATCH_EN: 0
; COMPUTE_PGM_RSRC2:USER_SGPR: 15
; COMPUTE_PGM_RSRC2:TRAP_HANDLER: 0
; COMPUTE_PGM_RSRC2:TGID_X_EN: 1
; COMPUTE_PGM_RSRC2:TGID_Y_EN: 0
; COMPUTE_PGM_RSRC2:TGID_Z_EN: 0
; COMPUTE_PGM_RSRC2:TIDIG_COMP_CNT: 0
	.section	.text._ZN2at6native29vectorized_elementwise_kernelILi2ENS0_11FillFunctorIbEESt5arrayIPcLm1EEEEviT0_T1_,"axG",@progbits,_ZN2at6native29vectorized_elementwise_kernelILi2ENS0_11FillFunctorIbEESt5arrayIPcLm1EEEEviT0_T1_,comdat
	.protected	_ZN2at6native29vectorized_elementwise_kernelILi2ENS0_11FillFunctorIbEESt5arrayIPcLm1EEEEviT0_T1_ ; -- Begin function _ZN2at6native29vectorized_elementwise_kernelILi2ENS0_11FillFunctorIbEESt5arrayIPcLm1EEEEviT0_T1_
	.globl	_ZN2at6native29vectorized_elementwise_kernelILi2ENS0_11FillFunctorIbEESt5arrayIPcLm1EEEEviT0_T1_
	.p2align	8
	.type	_ZN2at6native29vectorized_elementwise_kernelILi2ENS0_11FillFunctorIbEESt5arrayIPcLm1EEEEviT0_T1_,@function
_ZN2at6native29vectorized_elementwise_kernelILi2ENS0_11FillFunctorIbEESt5arrayIPcLm1EEEEviT0_T1_: ; @_ZN2at6native29vectorized_elementwise_kernelILi2ENS0_11FillFunctorIbEESt5arrayIPcLm1EEEEviT0_T1_
; %bb.0:
	s_load_b128 s[0:3], s[0:1], 0x0
	s_waitcnt lgkmcnt(0)
	s_bitcmp1_b32 s1, 0
	s_cselect_b32 s5, -1, 0
	s_lshl_b32 s1, s15, 12
	v_cndmask_b32_e64 v1, 0, 1, s5
	s_sub_i32 s4, s0, s1
	s_mov_b32 s0, -1
	s_cmpk_gt_i32 s4, 0xfff
	s_cbranch_scc0 .LBB91_2
; %bb.1:
	s_ashr_i32 s0, s1, 31
	s_add_u32 s6, s2, s1
	s_addc_u32 s7, s3, s0
	s_and_b32 s0, s5, exec_lo
	s_cselect_b32 s0, 0x100, 0
	v_lshlrev_b32_e32 v2, 1, v0
	v_or_b32_e32 v3, s0, v1
	s_mov_b32 s0, 0
	s_clause 0x7
	global_store_b16 v2, v3, s[6:7]
	global_store_b16 v2, v3, s[6:7] offset:512
	global_store_b16 v2, v3, s[6:7] offset:1024
	;; [unrolled: 1-line block ×7, first 2 shown]
.LBB91_2:
	s_and_not1_b32 vcc_lo, exec_lo, s0
	s_cbranch_vccnz .LBB91_20
; %bb.3:
	v_or_b32_e32 v2, 0x400, v0
	v_and_b32_e32 v3, 0xffff, v1
	v_or_b32_e32 v4, 0xc00, v0
	v_lshlrev_b16 v5, 8, v1
	v_or_b32_e32 v8, 0x500, v0
	v_cmp_gt_i32_e32 vcc_lo, s4, v2
	v_or_b32_e32 v9, 0xd00, v0
	v_or_b32_e32 v12, 0x900, v0
	;; [unrolled: 1-line block ×3, first 2 shown]
	v_cmp_gt_i32_e64 s0, s4, v8
	v_cndmask_b32_e32 v2, 0, v3, vcc_lo
	v_cmp_gt_i32_e32 vcc_lo, s4, v4
	v_or_b32_e32 v13, 0xa00, v0
	s_delay_alu instid0(VALU_DEP_3) | instskip(SKIP_1) | instid1(VALU_DEP_2)
	v_dual_cndmask_b32 v3, 0, v3 :: v_dual_and_b32 v4, 0xff, v2
	v_cmp_gt_i32_e32 vcc_lo, s4, v0
	v_or_b32_e32 v7, v4, v5
	s_delay_alu instid0(VALU_DEP_3) | instskip(SKIP_1) | instid1(VALU_DEP_3)
	v_and_b32_e32 v6, 0xff, v3
	v_or_b32_e32 v4, 0x100, v0
	v_and_b32_e32 v7, 0xffff, v7
	s_delay_alu instid0(VALU_DEP_3) | instskip(NEXT) | instid1(VALU_DEP_2)
	v_or_b32_e32 v6, v6, v5
	v_cndmask_b32_e64 v2, v2, v7, s0
	s_delay_alu instid0(VALU_DEP_2) | instskip(SKIP_4) | instid1(VALU_DEP_4)
	v_and_b32_e32 v6, 0xffff, v6
	v_cmp_gt_i32_e64 s0, s4, v9
	v_or_b32_e32 v7, v1, v5
	v_or_b32_e32 v9, 0x600, v0
	v_lshrrev_b32_e32 v8, 16, v2
	v_cndmask_b32_e64 v3, v3, v6, s0
	s_delay_alu instid0(VALU_DEP_4) | instskip(SKIP_4) | instid1(VALU_DEP_4)
	v_and_b32_e32 v7, 0xffff, v7
	v_cmp_gt_i32_e64 s0, s4, v4
	v_lshlrev_b32_e32 v6, 16, v1
	v_and_b32_e32 v8, 0xffffff00, v8
	v_lshrrev_b32_e32 v11, 16, v3
	v_cndmask_b32_e64 v14, v1, v7, s0
	v_cmp_gt_i32_e64 s0, s4, v12
	s_delay_alu instid0(VALU_DEP_4) | instskip(NEXT) | instid1(VALU_DEP_4)
	v_or_b32_e32 v8, v1, v8
	v_and_b32_e32 v11, 0xffffff00, v11
	s_delay_alu instid0(VALU_DEP_4) | instskip(NEXT) | instid1(VALU_DEP_4)
	v_or_b32_e32 v12, v14, v6
	v_cndmask_b32_e64 v7, v1, v7, s0
	v_cmp_gt_i32_e64 s0, s4, v10
	s_delay_alu instid0(VALU_DEP_4)
	v_or_b32_e32 v1, v1, v11
	v_lshlrev_b32_e32 v8, 16, v8
	v_or_b32_e32 v11, 0xe00, v0
	v_or_b32_e32 v6, v7, v6
	v_cndmask_b32_e64 v10, v14, v12, s0
	v_cmp_gt_i32_e64 s0, s4, v13
	v_lshlrev_b32_e32 v1, 16, v1
	v_and_or_b32 v8, 0xffff, v2, v8
	v_or_b32_e32 v13, 0xb00, v0
	v_or_b32_e32 v12, 0x700, v0
	v_cndmask_b32_e64 v6, v7, v6, s0
	v_cmp_gt_i32_e64 s0, s4, v9
	v_and_or_b32 v1, 0xffff, v3, v1
	v_lshrrev_b32_e32 v7, 16, v10
	s_delay_alu instid0(VALU_DEP_3) | instskip(SKIP_2) | instid1(VALU_DEP_4)
	v_cndmask_b32_e64 v8, v2, v8, s0
	v_cmp_gt_i32_e64 s0, s4, v11
	v_lshrrev_b32_e32 v2, 16, v6
	v_and_b32_e32 v7, 0xff, v7
	s_delay_alu instid0(VALU_DEP_4) | instskip(NEXT) | instid1(VALU_DEP_4)
	v_lshrrev_b32_e32 v9, 16, v8
	v_cndmask_b32_e64 v1, v3, v1, s0
	s_delay_alu instid0(VALU_DEP_4) | instskip(NEXT) | instid1(VALU_DEP_4)
	v_and_b32_e32 v2, 0xff, v2
	v_or_b32_e32 v7, v7, v5
	v_or_b32_e32 v3, 0x300, v0
	v_and_b32_e32 v9, 0xff, v9
	v_lshrrev_b32_e32 v11, 16, v1
	v_or_b32_e32 v2, v2, v5
	v_lshlrev_b32_e32 v7, 16, v7
	v_cmp_gt_i32_e64 s0, s4, v3
	v_or_b32_e32 v9, v9, v5
	v_and_b32_e32 v11, 0xff, v11
	v_lshlrev_b32_e32 v2, 16, v2
	v_and_or_b32 v7, 0xffff, v10, v7
	s_delay_alu instid0(VALU_DEP_4) | instskip(NEXT) | instid1(VALU_DEP_4)
	v_lshlrev_b32_e32 v9, 16, v9
	v_or_b32_e32 v5, v11, v5
	s_delay_alu instid0(VALU_DEP_4) | instskip(SKIP_1) | instid1(VALU_DEP_4)
	v_and_or_b32 v2, 0xffff, v6, v2
	v_or_b32_e32 v11, 0xf00, v0
	v_and_or_b32 v3, 0xffff, v8, v9
	s_delay_alu instid0(VALU_DEP_4) | instskip(SKIP_2) | instid1(VALU_DEP_3)
	v_lshlrev_b32_e32 v14, 16, v5
	v_cndmask_b32_e64 v5, v10, v7, s0
	v_cmp_gt_i32_e64 s0, s4, v13
	v_and_or_b32 v7, 0xffff, v1, v14
	s_delay_alu instid0(VALU_DEP_2) | instskip(SKIP_1) | instid1(VALU_DEP_1)
	v_cndmask_b32_e64 v2, v6, v2, s0
	v_cmp_gt_i32_e64 s0, s4, v12
	v_cndmask_b32_e64 v3, v8, v3, s0
	v_cmp_gt_i32_e64 s0, s4, v11
	s_delay_alu instid0(VALU_DEP_1)
	v_cndmask_b32_e64 v1, v1, v7, s0
	s_and_saveexec_b32 s0, vcc_lo
	s_cbranch_execnz .LBB91_21
; %bb.4:
	s_or_b32 exec_lo, exec_lo, s0
	s_delay_alu instid0(SALU_CYCLE_1)
	s_mov_b32 s0, exec_lo
	v_cmpx_gt_i32_e64 s4, v0
	s_cbranch_execnz .LBB91_22
.LBB91_5:
	s_or_b32 exec_lo, exec_lo, s0
	s_delay_alu instid0(SALU_CYCLE_1)
	s_mov_b32 s0, exec_lo
	v_cmpx_gt_i32_e64 s4, v0
	s_cbranch_execnz .LBB91_23
.LBB91_6:
	s_or_b32 exec_lo, exec_lo, s0
	s_delay_alu instid0(SALU_CYCLE_1)
	s_mov_b32 s0, exec_lo
	v_cmpx_gt_i32_e64 s4, v0
	s_cbranch_execnz .LBB91_24
.LBB91_7:
	s_or_b32 exec_lo, exec_lo, s0
	s_delay_alu instid0(SALU_CYCLE_1)
	s_mov_b32 s0, exec_lo
	v_cmpx_gt_i32_e64 s4, v0
	s_cbranch_execnz .LBB91_25
.LBB91_8:
	s_or_b32 exec_lo, exec_lo, s0
	s_delay_alu instid0(SALU_CYCLE_1)
	s_mov_b32 s0, exec_lo
	v_cmpx_gt_i32_e64 s4, v0
	s_cbranch_execnz .LBB91_26
.LBB91_9:
	s_or_b32 exec_lo, exec_lo, s0
	s_delay_alu instid0(SALU_CYCLE_1)
	s_mov_b32 s0, exec_lo
	v_cmpx_gt_i32_e64 s4, v0
	s_cbranch_execnz .LBB91_27
.LBB91_10:
	s_or_b32 exec_lo, exec_lo, s0
	s_delay_alu instid0(SALU_CYCLE_1)
	s_mov_b32 s0, exec_lo
	v_cmpx_gt_i32_e64 s4, v0
	s_cbranch_execnz .LBB91_28
.LBB91_11:
	s_or_b32 exec_lo, exec_lo, s0
	s_delay_alu instid0(SALU_CYCLE_1)
	s_mov_b32 s0, exec_lo
	v_cmpx_gt_i32_e64 s4, v0
	s_cbranch_execnz .LBB91_29
.LBB91_12:
	s_or_b32 exec_lo, exec_lo, s0
	s_delay_alu instid0(SALU_CYCLE_1)
	s_mov_b32 s0, exec_lo
	v_cmpx_gt_i32_e64 s4, v0
	s_cbranch_execnz .LBB91_30
.LBB91_13:
	s_or_b32 exec_lo, exec_lo, s0
	s_delay_alu instid0(SALU_CYCLE_1)
	s_mov_b32 s0, exec_lo
	v_cmpx_gt_i32_e64 s4, v0
	s_cbranch_execnz .LBB91_31
.LBB91_14:
	s_or_b32 exec_lo, exec_lo, s0
	s_delay_alu instid0(SALU_CYCLE_1)
	s_mov_b32 s0, exec_lo
	v_cmpx_gt_i32_e64 s4, v0
	s_cbranch_execnz .LBB91_32
.LBB91_15:
	s_or_b32 exec_lo, exec_lo, s0
	s_delay_alu instid0(SALU_CYCLE_1)
	s_mov_b32 s0, exec_lo
	v_cmpx_gt_i32_e64 s4, v0
	s_cbranch_execnz .LBB91_33
.LBB91_16:
	s_or_b32 exec_lo, exec_lo, s0
	s_delay_alu instid0(SALU_CYCLE_1)
	s_mov_b32 s0, exec_lo
	v_cmpx_gt_i32_e64 s4, v0
	s_cbranch_execnz .LBB91_34
.LBB91_17:
	s_or_b32 exec_lo, exec_lo, s0
	s_delay_alu instid0(SALU_CYCLE_1)
	s_mov_b32 s0, exec_lo
	v_cmpx_gt_i32_e64 s4, v0
	s_cbranch_execnz .LBB91_35
.LBB91_18:
	s_or_b32 exec_lo, exec_lo, s0
	s_delay_alu instid0(SALU_CYCLE_1)
	s_mov_b32 s0, exec_lo
	v_cmpx_gt_i32_e64 s4, v0
	s_cbranch_execz .LBB91_20
.LBB91_19:
	v_lshrrev_b32_e32 v1, 24, v1
	v_add_nc_u32_e32 v0, s1, v0
	global_store_b8 v0, v1, s[2:3]
.LBB91_20:
	s_nop 0
	s_sendmsg sendmsg(MSG_DEALLOC_VGPRS)
	s_endpgm
.LBB91_21:
	v_or_b32_e32 v6, s1, v0
	v_mov_b32_e32 v0, v4
	global_store_b8 v6, v5, s[2:3]
	s_or_b32 exec_lo, exec_lo, s0
	s_delay_alu instid0(SALU_CYCLE_1)
	s_mov_b32 s0, exec_lo
	v_cmpx_gt_i32_e64 s4, v0
	s_cbranch_execz .LBB91_5
.LBB91_22:
	v_lshrrev_b32_e32 v4, 8, v5
	v_add_nc_u32_e32 v6, s1, v0
	v_add_nc_u32_e32 v0, 0x100, v0
	global_store_b8 v6, v4, s[2:3]
	s_or_b32 exec_lo, exec_lo, s0
	s_delay_alu instid0(SALU_CYCLE_1)
	s_mov_b32 s0, exec_lo
	v_cmpx_gt_i32_e64 s4, v0
	s_cbranch_execz .LBB91_6
.LBB91_23:
	v_add_nc_u32_e32 v4, s1, v0
	v_add_nc_u32_e32 v0, 0x100, v0
	global_store_d16_hi_b8 v4, v5, s[2:3]
	s_or_b32 exec_lo, exec_lo, s0
	s_delay_alu instid0(SALU_CYCLE_1)
	s_mov_b32 s0, exec_lo
	v_cmpx_gt_i32_e64 s4, v0
	s_cbranch_execz .LBB91_7
.LBB91_24:
	v_lshrrev_b32_e32 v4, 24, v5
	v_add_nc_u32_e32 v5, s1, v0
	v_add_nc_u32_e32 v0, 0x100, v0
	global_store_b8 v5, v4, s[2:3]
	s_or_b32 exec_lo, exec_lo, s0
	s_delay_alu instid0(SALU_CYCLE_1)
	s_mov_b32 s0, exec_lo
	v_cmpx_gt_i32_e64 s4, v0
	s_cbranch_execz .LBB91_8
.LBB91_25:
	v_add_nc_u32_e32 v4, s1, v0
	v_add_nc_u32_e32 v0, 0x100, v0
	global_store_b8 v4, v3, s[2:3]
	s_or_b32 exec_lo, exec_lo, s0
	s_delay_alu instid0(SALU_CYCLE_1)
	s_mov_b32 s0, exec_lo
	v_cmpx_gt_i32_e64 s4, v0
	s_cbranch_execz .LBB91_9
.LBB91_26:
	v_lshrrev_b32_e32 v4, 8, v3
	v_add_nc_u32_e32 v5, s1, v0
	v_add_nc_u32_e32 v0, 0x100, v0
	global_store_b8 v5, v4, s[2:3]
	s_or_b32 exec_lo, exec_lo, s0
	s_delay_alu instid0(SALU_CYCLE_1)
	s_mov_b32 s0, exec_lo
	v_cmpx_gt_i32_e64 s4, v0
	s_cbranch_execz .LBB91_10
.LBB91_27:
	v_add_nc_u32_e32 v4, s1, v0
	v_add_nc_u32_e32 v0, 0x100, v0
	global_store_d16_hi_b8 v4, v3, s[2:3]
	s_or_b32 exec_lo, exec_lo, s0
	s_delay_alu instid0(SALU_CYCLE_1)
	s_mov_b32 s0, exec_lo
	v_cmpx_gt_i32_e64 s4, v0
	s_cbranch_execz .LBB91_11
.LBB91_28:
	v_lshrrev_b32_e32 v3, 24, v3
	v_add_nc_u32_e32 v4, s1, v0
	v_add_nc_u32_e32 v0, 0x100, v0
	global_store_b8 v4, v3, s[2:3]
	s_or_b32 exec_lo, exec_lo, s0
	s_delay_alu instid0(SALU_CYCLE_1)
	s_mov_b32 s0, exec_lo
	v_cmpx_gt_i32_e64 s4, v0
	s_cbranch_execz .LBB91_12
.LBB91_29:
	v_add_nc_u32_e32 v3, s1, v0
	v_add_nc_u32_e32 v0, 0x100, v0
	global_store_b8 v3, v2, s[2:3]
	s_or_b32 exec_lo, exec_lo, s0
	s_delay_alu instid0(SALU_CYCLE_1)
	s_mov_b32 s0, exec_lo
	v_cmpx_gt_i32_e64 s4, v0
	s_cbranch_execz .LBB91_13
.LBB91_30:
	v_lshrrev_b32_e32 v3, 8, v2
	v_add_nc_u32_e32 v4, s1, v0
	v_add_nc_u32_e32 v0, 0x100, v0
	global_store_b8 v4, v3, s[2:3]
	s_or_b32 exec_lo, exec_lo, s0
	s_delay_alu instid0(SALU_CYCLE_1)
	s_mov_b32 s0, exec_lo
	v_cmpx_gt_i32_e64 s4, v0
	s_cbranch_execz .LBB91_14
.LBB91_31:
	v_add_nc_u32_e32 v3, s1, v0
	v_add_nc_u32_e32 v0, 0x100, v0
	global_store_d16_hi_b8 v3, v2, s[2:3]
	s_or_b32 exec_lo, exec_lo, s0
	s_delay_alu instid0(SALU_CYCLE_1)
	s_mov_b32 s0, exec_lo
	v_cmpx_gt_i32_e64 s4, v0
	s_cbranch_execz .LBB91_15
.LBB91_32:
	v_lshrrev_b32_e32 v2, 24, v2
	v_add_nc_u32_e32 v3, s1, v0
	v_add_nc_u32_e32 v0, 0x100, v0
	global_store_b8 v3, v2, s[2:3]
	s_or_b32 exec_lo, exec_lo, s0
	s_delay_alu instid0(SALU_CYCLE_1)
	s_mov_b32 s0, exec_lo
	v_cmpx_gt_i32_e64 s4, v0
	s_cbranch_execz .LBB91_16
.LBB91_33:
	v_add_nc_u32_e32 v2, s1, v0
	v_add_nc_u32_e32 v0, 0x100, v0
	global_store_b8 v2, v1, s[2:3]
	s_or_b32 exec_lo, exec_lo, s0
	s_delay_alu instid0(SALU_CYCLE_1)
	s_mov_b32 s0, exec_lo
	v_cmpx_gt_i32_e64 s4, v0
	s_cbranch_execz .LBB91_17
.LBB91_34:
	v_lshrrev_b32_e32 v2, 8, v1
	v_add_nc_u32_e32 v3, s1, v0
	v_add_nc_u32_e32 v0, 0x100, v0
	global_store_b8 v3, v2, s[2:3]
	s_or_b32 exec_lo, exec_lo, s0
	s_delay_alu instid0(SALU_CYCLE_1)
	s_mov_b32 s0, exec_lo
	v_cmpx_gt_i32_e64 s4, v0
	s_cbranch_execz .LBB91_18
.LBB91_35:
	v_add_nc_u32_e32 v2, s1, v0
	v_add_nc_u32_e32 v0, 0x100, v0
	global_store_d16_hi_b8 v2, v1, s[2:3]
	s_or_b32 exec_lo, exec_lo, s0
	s_delay_alu instid0(SALU_CYCLE_1)
	s_mov_b32 s0, exec_lo
	v_cmpx_gt_i32_e64 s4, v0
	s_cbranch_execnz .LBB91_19
	s_branch .LBB91_20
	.section	.rodata,"a",@progbits
	.p2align	6, 0x0
	.amdhsa_kernel _ZN2at6native29vectorized_elementwise_kernelILi2ENS0_11FillFunctorIbEESt5arrayIPcLm1EEEEviT0_T1_
		.amdhsa_group_segment_fixed_size 0
		.amdhsa_private_segment_fixed_size 0
		.amdhsa_kernarg_size 16
		.amdhsa_user_sgpr_count 15
		.amdhsa_user_sgpr_dispatch_ptr 0
		.amdhsa_user_sgpr_queue_ptr 0
		.amdhsa_user_sgpr_kernarg_segment_ptr 1
		.amdhsa_user_sgpr_dispatch_id 0
		.amdhsa_user_sgpr_private_segment_size 0
		.amdhsa_wavefront_size32 1
		.amdhsa_uses_dynamic_stack 0
		.amdhsa_enable_private_segment 0
		.amdhsa_system_sgpr_workgroup_id_x 1
		.amdhsa_system_sgpr_workgroup_id_y 0
		.amdhsa_system_sgpr_workgroup_id_z 0
		.amdhsa_system_sgpr_workgroup_info 0
		.amdhsa_system_vgpr_workitem_id 0
		.amdhsa_next_free_vgpr 15
		.amdhsa_next_free_sgpr 16
		.amdhsa_reserve_vcc 1
		.amdhsa_float_round_mode_32 0
		.amdhsa_float_round_mode_16_64 0
		.amdhsa_float_denorm_mode_32 3
		.amdhsa_float_denorm_mode_16_64 3
		.amdhsa_dx10_clamp 1
		.amdhsa_ieee_mode 1
		.amdhsa_fp16_overflow 0
		.amdhsa_workgroup_processor_mode 1
		.amdhsa_memory_ordered 1
		.amdhsa_forward_progress 0
		.amdhsa_shared_vgpr_count 0
		.amdhsa_exception_fp_ieee_invalid_op 0
		.amdhsa_exception_fp_denorm_src 0
		.amdhsa_exception_fp_ieee_div_zero 0
		.amdhsa_exception_fp_ieee_overflow 0
		.amdhsa_exception_fp_ieee_underflow 0
		.amdhsa_exception_fp_ieee_inexact 0
		.amdhsa_exception_int_div_zero 0
	.end_amdhsa_kernel
	.section	.text._ZN2at6native29vectorized_elementwise_kernelILi2ENS0_11FillFunctorIbEESt5arrayIPcLm1EEEEviT0_T1_,"axG",@progbits,_ZN2at6native29vectorized_elementwise_kernelILi2ENS0_11FillFunctorIbEESt5arrayIPcLm1EEEEviT0_T1_,comdat
.Lfunc_end91:
	.size	_ZN2at6native29vectorized_elementwise_kernelILi2ENS0_11FillFunctorIbEESt5arrayIPcLm1EEEEviT0_T1_, .Lfunc_end91-_ZN2at6native29vectorized_elementwise_kernelILi2ENS0_11FillFunctorIbEESt5arrayIPcLm1EEEEviT0_T1_
                                        ; -- End function
	.section	.AMDGPU.csdata,"",@progbits
; Kernel info:
; codeLenInByte = 1904
; NumSgprs: 18
; NumVgprs: 15
; ScratchSize: 0
; MemoryBound: 0
; FloatMode: 240
; IeeeMode: 1
; LDSByteSize: 0 bytes/workgroup (compile time only)
; SGPRBlocks: 2
; VGPRBlocks: 1
; NumSGPRsForWavesPerEU: 18
; NumVGPRsForWavesPerEU: 15
; Occupancy: 16
; WaveLimiterHint : 1
; COMPUTE_PGM_RSRC2:SCRATCH_EN: 0
; COMPUTE_PGM_RSRC2:USER_SGPR: 15
; COMPUTE_PGM_RSRC2:TRAP_HANDLER: 0
; COMPUTE_PGM_RSRC2:TGID_X_EN: 1
; COMPUTE_PGM_RSRC2:TGID_Y_EN: 0
; COMPUTE_PGM_RSRC2:TGID_Z_EN: 0
; COMPUTE_PGM_RSRC2:TIDIG_COMP_CNT: 0
	.section	.text._ZN2at6native27unrolled_elementwise_kernelINS0_11FillFunctorIbEESt5arrayIPcLm1EELi4E23TrivialOffsetCalculatorILi0EjES7_ILi1EjENS0_6memory15LoadWithoutCastENSA_16StoreWithoutCastEEEviT_T0_T2_T3_T4_T5_,"axG",@progbits,_ZN2at6native27unrolled_elementwise_kernelINS0_11FillFunctorIbEESt5arrayIPcLm1EELi4E23TrivialOffsetCalculatorILi0EjES7_ILi1EjENS0_6memory15LoadWithoutCastENSA_16StoreWithoutCastEEEviT_T0_T2_T3_T4_T5_,comdat
	.protected	_ZN2at6native27unrolled_elementwise_kernelINS0_11FillFunctorIbEESt5arrayIPcLm1EELi4E23TrivialOffsetCalculatorILi0EjES7_ILi1EjENS0_6memory15LoadWithoutCastENSA_16StoreWithoutCastEEEviT_T0_T2_T3_T4_T5_ ; -- Begin function _ZN2at6native27unrolled_elementwise_kernelINS0_11FillFunctorIbEESt5arrayIPcLm1EELi4E23TrivialOffsetCalculatorILi0EjES7_ILi1EjENS0_6memory15LoadWithoutCastENSA_16StoreWithoutCastEEEviT_T0_T2_T3_T4_T5_
	.globl	_ZN2at6native27unrolled_elementwise_kernelINS0_11FillFunctorIbEESt5arrayIPcLm1EELi4E23TrivialOffsetCalculatorILi0EjES7_ILi1EjENS0_6memory15LoadWithoutCastENSA_16StoreWithoutCastEEEviT_T0_T2_T3_T4_T5_
	.p2align	8
	.type	_ZN2at6native27unrolled_elementwise_kernelINS0_11FillFunctorIbEESt5arrayIPcLm1EELi4E23TrivialOffsetCalculatorILi0EjES7_ILi1EjENS0_6memory15LoadWithoutCastENSA_16StoreWithoutCastEEEviT_T0_T2_T3_T4_T5_,@function
_ZN2at6native27unrolled_elementwise_kernelINS0_11FillFunctorIbEESt5arrayIPcLm1EELi4E23TrivialOffsetCalculatorILi0EjES7_ILi1EjENS0_6memory15LoadWithoutCastENSA_16StoreWithoutCastEEEviT_T0_T2_T3_T4_T5_: ; @_ZN2at6native27unrolled_elementwise_kernelINS0_11FillFunctorIbEESt5arrayIPcLm1EELi4E23TrivialOffsetCalculatorILi0EjES7_ILi1EjENS0_6memory15LoadWithoutCastENSA_16StoreWithoutCastEEEviT_T0_T2_T3_T4_T5_
; %bb.0:
	s_load_b128 s[0:3], s[0:1], 0x0
	v_or_b32_e32 v2, 0x100, v0
	s_lshl_b32 s4, s15, 10
	v_or_b32_e32 v4, 0x200, v0
	s_waitcnt lgkmcnt(0)
	v_and_b32_e64 v1, s1, 1
	s_sub_i32 s5, s0, s4
	s_and_b32 s0, s1, 1
	v_cmp_gt_i32_e32 vcc_lo, s5, v2
	s_delay_alu instid0(VALU_DEP_2) | instskip(NEXT) | instid1(VALU_DEP_1)
	v_lshlrev_b16 v3, 8, v1
	v_or_b32_e32 v1, v1, v3
	s_delay_alu instid0(VALU_DEP_1) | instskip(NEXT) | instid1(VALU_DEP_1)
	v_and_b32_e32 v1, 0xffff, v1
	v_cndmask_b32_e32 v1, s0, v1, vcc_lo
	v_cmp_gt_i32_e32 vcc_lo, s5, v4
	s_delay_alu instid0(VALU_DEP_2) | instskip(NEXT) | instid1(VALU_DEP_1)
	v_lshl_or_b32 v5, s0, 16, v1
	v_cndmask_b32_e32 v1, v1, v5, vcc_lo
	s_delay_alu instid0(VALU_DEP_1) | instskip(NEXT) | instid1(VALU_DEP_1)
	v_lshrrev_b32_e32 v4, 16, v1
	v_or_b32_e32 v3, v4, v3
	v_or_b32_e32 v4, 0x300, v0
	s_delay_alu instid0(VALU_DEP_2) | instskip(NEXT) | instid1(VALU_DEP_2)
	v_lshlrev_b32_e32 v3, 16, v3
	v_cmp_gt_i32_e64 s0, s5, v4
	s_delay_alu instid0(VALU_DEP_2) | instskip(NEXT) | instid1(VALU_DEP_1)
	v_and_or_b32 v3, 0xff01, v1, v3
	v_cndmask_b32_e64 v1, v1, v3, s0
	s_mov_b32 s0, exec_lo
	v_cmpx_gt_i32_e64 s5, v0
	s_cbranch_execnz .LBB92_5
; %bb.1:
	s_or_b32 exec_lo, exec_lo, s0
	s_delay_alu instid0(SALU_CYCLE_1)
	s_mov_b32 s0, exec_lo
	v_cmpx_gt_i32_e64 s5, v0
	s_cbranch_execnz .LBB92_6
.LBB92_2:
	s_or_b32 exec_lo, exec_lo, s0
	s_delay_alu instid0(SALU_CYCLE_1)
	s_mov_b32 s0, exec_lo
	v_cmpx_gt_i32_e64 s5, v0
	s_cbranch_execnz .LBB92_7
.LBB92_3:
	s_or_b32 exec_lo, exec_lo, s0
	s_delay_alu instid0(SALU_CYCLE_1)
	s_mov_b32 s0, exec_lo
	v_cmpx_gt_i32_e64 s5, v0
	s_cbranch_execnz .LBB92_8
.LBB92_4:
	s_nop 0
	s_sendmsg sendmsg(MSG_DEALLOC_VGPRS)
	s_endpgm
.LBB92_5:
	v_or_b32_e32 v3, s4, v0
	v_mov_b32_e32 v0, v2
	global_store_b8 v3, v1, s[2:3]
	s_or_b32 exec_lo, exec_lo, s0
	s_delay_alu instid0(SALU_CYCLE_1)
	s_mov_b32 s0, exec_lo
	v_cmpx_gt_i32_e64 s5, v0
	s_cbranch_execz .LBB92_2
.LBB92_6:
	v_add_nc_u32_e32 v2, 0x100, v0
	v_add_nc_u32_e32 v3, s4, v0
	v_lshrrev_b32_e32 v4, 8, v1
	s_delay_alu instid0(VALU_DEP_3) | instskip(SKIP_2) | instid1(SALU_CYCLE_1)
	v_mov_b32_e32 v0, v2
	global_store_b8 v3, v4, s[2:3]
	s_or_b32 exec_lo, exec_lo, s0
	s_mov_b32 s0, exec_lo
	v_cmpx_gt_i32_e64 s5, v0
	s_cbranch_execz .LBB92_3
.LBB92_7:
	v_add_nc_u32_e32 v2, 0x100, v0
	s_delay_alu instid0(VALU_DEP_1) | instskip(SKIP_2) | instid1(SALU_CYCLE_1)
	v_dual_mov_b32 v0, v2 :: v_dual_add_nc_u32 v3, s4, v0
	global_store_d16_hi_b8 v3, v1, s[2:3]
	s_or_b32 exec_lo, exec_lo, s0
	s_mov_b32 s0, exec_lo
	v_cmpx_gt_i32_e64 s5, v0
	s_cbranch_execz .LBB92_4
.LBB92_8:
	v_add_nc_u32_e32 v0, s4, v0
	v_lshrrev_b32_e32 v1, 24, v1
	global_store_b8 v0, v1, s[2:3]
	s_nop 0
	s_sendmsg sendmsg(MSG_DEALLOC_VGPRS)
	s_endpgm
	.section	.rodata,"a",@progbits
	.p2align	6, 0x0
	.amdhsa_kernel _ZN2at6native27unrolled_elementwise_kernelINS0_11FillFunctorIbEESt5arrayIPcLm1EELi4E23TrivialOffsetCalculatorILi0EjES7_ILi1EjENS0_6memory15LoadWithoutCastENSA_16StoreWithoutCastEEEviT_T0_T2_T3_T4_T5_
		.amdhsa_group_segment_fixed_size 0
		.amdhsa_private_segment_fixed_size 0
		.amdhsa_kernarg_size 20
		.amdhsa_user_sgpr_count 15
		.amdhsa_user_sgpr_dispatch_ptr 0
		.amdhsa_user_sgpr_queue_ptr 0
		.amdhsa_user_sgpr_kernarg_segment_ptr 1
		.amdhsa_user_sgpr_dispatch_id 0
		.amdhsa_user_sgpr_private_segment_size 0
		.amdhsa_wavefront_size32 1
		.amdhsa_uses_dynamic_stack 0
		.amdhsa_enable_private_segment 0
		.amdhsa_system_sgpr_workgroup_id_x 1
		.amdhsa_system_sgpr_workgroup_id_y 0
		.amdhsa_system_sgpr_workgroup_id_z 0
		.amdhsa_system_sgpr_workgroup_info 0
		.amdhsa_system_vgpr_workitem_id 0
		.amdhsa_next_free_vgpr 6
		.amdhsa_next_free_sgpr 16
		.amdhsa_reserve_vcc 1
		.amdhsa_float_round_mode_32 0
		.amdhsa_float_round_mode_16_64 0
		.amdhsa_float_denorm_mode_32 3
		.amdhsa_float_denorm_mode_16_64 3
		.amdhsa_dx10_clamp 1
		.amdhsa_ieee_mode 1
		.amdhsa_fp16_overflow 0
		.amdhsa_workgroup_processor_mode 1
		.amdhsa_memory_ordered 1
		.amdhsa_forward_progress 0
		.amdhsa_shared_vgpr_count 0
		.amdhsa_exception_fp_ieee_invalid_op 0
		.amdhsa_exception_fp_denorm_src 0
		.amdhsa_exception_fp_ieee_div_zero 0
		.amdhsa_exception_fp_ieee_overflow 0
		.amdhsa_exception_fp_ieee_underflow 0
		.amdhsa_exception_fp_ieee_inexact 0
		.amdhsa_exception_int_div_zero 0
	.end_amdhsa_kernel
	.section	.text._ZN2at6native27unrolled_elementwise_kernelINS0_11FillFunctorIbEESt5arrayIPcLm1EELi4E23TrivialOffsetCalculatorILi0EjES7_ILi1EjENS0_6memory15LoadWithoutCastENSA_16StoreWithoutCastEEEviT_T0_T2_T3_T4_T5_,"axG",@progbits,_ZN2at6native27unrolled_elementwise_kernelINS0_11FillFunctorIbEESt5arrayIPcLm1EELi4E23TrivialOffsetCalculatorILi0EjES7_ILi1EjENS0_6memory15LoadWithoutCastENSA_16StoreWithoutCastEEEviT_T0_T2_T3_T4_T5_,comdat
.Lfunc_end92:
	.size	_ZN2at6native27unrolled_elementwise_kernelINS0_11FillFunctorIbEESt5arrayIPcLm1EELi4E23TrivialOffsetCalculatorILi0EjES7_ILi1EjENS0_6memory15LoadWithoutCastENSA_16StoreWithoutCastEEEviT_T0_T2_T3_T4_T5_, .Lfunc_end92-_ZN2at6native27unrolled_elementwise_kernelINS0_11FillFunctorIbEESt5arrayIPcLm1EELi4E23TrivialOffsetCalculatorILi0EjES7_ILi1EjENS0_6memory15LoadWithoutCastENSA_16StoreWithoutCastEEEviT_T0_T2_T3_T4_T5_
                                        ; -- End function
	.section	.AMDGPU.csdata,"",@progbits
; Kernel info:
; codeLenInByte = 432
; NumSgprs: 18
; NumVgprs: 6
; ScratchSize: 0
; MemoryBound: 0
; FloatMode: 240
; IeeeMode: 1
; LDSByteSize: 0 bytes/workgroup (compile time only)
; SGPRBlocks: 2
; VGPRBlocks: 0
; NumSGPRsForWavesPerEU: 18
; NumVGPRsForWavesPerEU: 6
; Occupancy: 16
; WaveLimiterHint : 0
; COMPUTE_PGM_RSRC2:SCRATCH_EN: 0
; COMPUTE_PGM_RSRC2:USER_SGPR: 15
; COMPUTE_PGM_RSRC2:TRAP_HANDLER: 0
; COMPUTE_PGM_RSRC2:TGID_X_EN: 1
; COMPUTE_PGM_RSRC2:TGID_Y_EN: 0
; COMPUTE_PGM_RSRC2:TGID_Z_EN: 0
; COMPUTE_PGM_RSRC2:TIDIG_COMP_CNT: 0
	.section	.text._ZN2at6native32elementwise_kernel_manual_unrollILi128ELi8EZNS0_22gpu_kernel_impl_nocastINS0_11FillFunctorIbEEEEvRNS_18TensorIteratorBaseERKT_EUlibE_EEviT1_,"axG",@progbits,_ZN2at6native32elementwise_kernel_manual_unrollILi128ELi8EZNS0_22gpu_kernel_impl_nocastINS0_11FillFunctorIbEEEEvRNS_18TensorIteratorBaseERKT_EUlibE_EEviT1_,comdat
	.protected	_ZN2at6native32elementwise_kernel_manual_unrollILi128ELi8EZNS0_22gpu_kernel_impl_nocastINS0_11FillFunctorIbEEEEvRNS_18TensorIteratorBaseERKT_EUlibE_EEviT1_ ; -- Begin function _ZN2at6native32elementwise_kernel_manual_unrollILi128ELi8EZNS0_22gpu_kernel_impl_nocastINS0_11FillFunctorIbEEEEvRNS_18TensorIteratorBaseERKT_EUlibE_EEviT1_
	.globl	_ZN2at6native32elementwise_kernel_manual_unrollILi128ELi8EZNS0_22gpu_kernel_impl_nocastINS0_11FillFunctorIbEEEEvRNS_18TensorIteratorBaseERKT_EUlibE_EEviT1_
	.p2align	8
	.type	_ZN2at6native32elementwise_kernel_manual_unrollILi128ELi8EZNS0_22gpu_kernel_impl_nocastINS0_11FillFunctorIbEEEEvRNS_18TensorIteratorBaseERKT_EUlibE_EEviT1_,@function
_ZN2at6native32elementwise_kernel_manual_unrollILi128ELi8EZNS0_22gpu_kernel_impl_nocastINS0_11FillFunctorIbEEEEvRNS_18TensorIteratorBaseERKT_EUlibE_EEviT1_: ; @_ZN2at6native32elementwise_kernel_manual_unrollILi128ELi8EZNS0_22gpu_kernel_impl_nocastINS0_11FillFunctorIbEEEEvRNS_18TensorIteratorBaseERKT_EUlibE_EEviT1_
; %bb.0:
	s_clause 0x1
	s_load_b32 s18, s[0:1], 0x8
	s_load_b32 s24, s[0:1], 0x0
	v_lshl_or_b32 v6, s15, 10, v0
	s_or_b32 s0, s0, 8
	s_mov_b32 s2, exec_lo
	s_delay_alu instid0(VALU_DEP_1) | instskip(SKIP_2) | instid1(SALU_CYCLE_1)
	v_or_b32_e32 v8, 0x380, v6
	s_waitcnt lgkmcnt(0)
	s_add_i32 s19, s18, -1
	s_cmp_gt_u32 s19, 1
	s_cselect_b32 s20, -1, 0
	v_cmpx_le_i32_e64 s24, v8
	s_xor_b32 s21, exec_lo, s2
	s_cbranch_execz .LBB93_7
; %bb.1:
	s_clause 0x4
	s_load_b128 s[4:7], s[0:1], 0x4
	s_load_b64 s[10:11], s[0:1], 0x14
	s_load_b64 s[8:9], s[0:1], 0xc4
	;; [unrolled: 1-line block ×3, first 2 shown]
	s_load_b32 s22, s[0:1], 0x110
	s_cmp_lg_u32 s18, 0
	s_mov_b32 s27, exec_lo
	s_cselect_b32 s26, -1, 0
	s_add_u32 s12, s0, 0xc4
	s_addc_u32 s13, s1, 0
	s_min_u32 s25, s19, 15
	s_cmp_gt_u32 s18, 1
	s_cselect_b32 s23, -1, 0
	v_cmpx_gt_i32_e64 s24, v6
	s_cbranch_execz .LBB93_14
; %bb.2:
	s_and_not1_b32 vcc_lo, exec_lo, s20
	s_cbranch_vccnz .LBB93_21
; %bb.3:
	v_mov_b32_e32 v0, 0
	s_and_not1_b32 vcc_lo, exec_lo, s26
	s_cbranch_vccnz .LBB93_125
; %bb.4:
	s_add_i32 s29, s25, 1
	s_cmp_eq_u32 s19, 2
	s_mov_b32 s28, 0
	s_cbranch_scc1 .LBB93_121
; %bb.5:
	v_dual_mov_b32 v0, 0 :: v_dual_mov_b32 v1, v6
	s_and_b32 s28, s29, 28
	s_mov_b32 s30, 0
	s_mov_b64 s[14:15], s[0:1]
	s_mov_b64 s[16:17], s[12:13]
.LBB93_6:                               ; =>This Inner Loop Header: Depth=1
	s_clause 0x1
	s_load_b256 s[36:43], s[14:15], 0x4
	s_load_b128 s[44:47], s[14:15], 0x24
	s_load_b128 s[48:51], s[16:17], 0x0
	s_add_u32 s14, s14, 48
	s_addc_u32 s15, s15, 0
	s_add_i32 s30, s30, 4
	s_add_u32 s16, s16, 16
	s_addc_u32 s17, s17, 0
	s_cmp_lg_u32 s28, s30
	s_waitcnt lgkmcnt(0)
	v_mul_hi_u32 v2, s37, v1
	s_delay_alu instid0(VALU_DEP_1) | instskip(NEXT) | instid1(VALU_DEP_1)
	v_add_nc_u32_e32 v2, v1, v2
	v_lshrrev_b32_e32 v2, s38, v2
	s_delay_alu instid0(VALU_DEP_1) | instskip(SKIP_1) | instid1(VALU_DEP_2)
	v_mul_hi_u32 v3, s40, v2
	v_mul_lo_u32 v7, v2, s36
	v_add_nc_u32_e32 v3, v2, v3
	s_delay_alu instid0(VALU_DEP_2) | instskip(NEXT) | instid1(VALU_DEP_2)
	v_sub_nc_u32_e32 v7, v1, v7
	v_lshrrev_b32_e32 v3, s41, v3
	s_delay_alu instid0(VALU_DEP_2) | instskip(NEXT) | instid1(VALU_DEP_2)
	v_mul_lo_u32 v7, v7, s48
	v_mul_hi_u32 v4, s43, v3
	v_mul_lo_u32 v8, v3, s39
	s_delay_alu instid0(VALU_DEP_2) | instskip(NEXT) | instid1(VALU_DEP_2)
	v_add_nc_u32_e32 v4, v3, v4
	v_sub_nc_u32_e32 v2, v2, v8
	s_delay_alu instid0(VALU_DEP_2) | instskip(NEXT) | instid1(VALU_DEP_2)
	v_lshrrev_b32_e32 v4, s44, v4
	v_mul_lo_u32 v2, v2, s49
	s_delay_alu instid0(VALU_DEP_2) | instskip(NEXT) | instid1(VALU_DEP_2)
	v_mul_hi_u32 v5, s46, v4
	v_add3_u32 v0, v7, v0, v2
	s_delay_alu instid0(VALU_DEP_2) | instskip(NEXT) | instid1(VALU_DEP_1)
	v_add_nc_u32_e32 v5, v4, v5
	v_lshrrev_b32_e32 v1, s47, v5
	v_mul_lo_u32 v5, v4, s42
	s_delay_alu instid0(VALU_DEP_2) | instskip(NEXT) | instid1(VALU_DEP_2)
	v_mul_lo_u32 v9, v1, s45
	v_sub_nc_u32_e32 v3, v3, v5
	s_delay_alu instid0(VALU_DEP_2) | instskip(NEXT) | instid1(VALU_DEP_2)
	v_sub_nc_u32_e32 v4, v4, v9
	v_mul_lo_u32 v3, v3, s50
	s_delay_alu instid0(VALU_DEP_2) | instskip(NEXT) | instid1(VALU_DEP_1)
	v_mul_lo_u32 v4, v4, s51
	v_add3_u32 v0, v3, v0, v4
	s_cbranch_scc1 .LBB93_6
	s_branch .LBB93_122
.LBB93_7:
	s_and_not1_saveexec_b32 s2, s21
	s_cbranch_execz .LBB93_206
.LBB93_8:
	v_cndmask_b32_e64 v7, 0, 1, s20
	s_and_not1_b32 vcc_lo, exec_lo, s20
	s_cbranch_vccnz .LBB93_20
; %bb.9:
	v_mov_b32_e32 v0, 0
	s_cmp_eq_u32 s18, 0
	s_mov_b32 s6, 0
	s_cbranch_scc1 .LBB93_26
; %bb.10:
	s_min_u32 s7, s19, 15
	v_mov_b32_e32 v0, 0
	s_add_i32 s7, s7, 1
	s_cmp_eq_u32 s19, 2
	s_mov_b32 s8, 0
	s_cbranch_scc1 .LBB93_23
; %bb.11:
	v_dual_mov_b32 v0, 0 :: v_dual_mov_b32 v1, v6
	s_add_u32 s2, s0, 0xc4
	s_addc_u32 s3, s1, 0
	s_and_b32 s8, s7, 28
	s_mov_b32 s9, 0
	s_mov_b64 s[4:5], s[0:1]
.LBB93_12:                              ; =>This Inner Loop Header: Depth=1
	s_clause 0x1
	s_load_b256 s[20:27], s[4:5], 0x4
	s_load_b128 s[12:15], s[4:5], 0x24
	s_load_b128 s[28:31], s[2:3], 0x0
	s_add_u32 s4, s4, 48
	s_addc_u32 s5, s5, 0
	s_add_i32 s9, s9, 4
	s_add_u32 s2, s2, 16
	s_addc_u32 s3, s3, 0
	s_cmp_lg_u32 s8, s9
	s_waitcnt lgkmcnt(0)
	v_mul_hi_u32 v2, s21, v1
	s_delay_alu instid0(VALU_DEP_1) | instskip(NEXT) | instid1(VALU_DEP_1)
	v_add_nc_u32_e32 v2, v1, v2
	v_lshrrev_b32_e32 v2, s22, v2
	s_delay_alu instid0(VALU_DEP_1) | instskip(SKIP_1) | instid1(VALU_DEP_2)
	v_mul_hi_u32 v3, s24, v2
	v_mul_lo_u32 v9, v2, s20
	v_add_nc_u32_e32 v3, v2, v3
	s_delay_alu instid0(VALU_DEP_2) | instskip(NEXT) | instid1(VALU_DEP_2)
	v_sub_nc_u32_e32 v9, v1, v9
	v_lshrrev_b32_e32 v3, s25, v3
	s_delay_alu instid0(VALU_DEP_2) | instskip(NEXT) | instid1(VALU_DEP_2)
	v_mul_lo_u32 v9, v9, s28
	v_mul_hi_u32 v4, s27, v3
	v_mul_lo_u32 v10, v3, s23
	s_delay_alu instid0(VALU_DEP_2) | instskip(NEXT) | instid1(VALU_DEP_2)
	v_add_nc_u32_e32 v4, v3, v4
	v_sub_nc_u32_e32 v2, v2, v10
	s_delay_alu instid0(VALU_DEP_2) | instskip(NEXT) | instid1(VALU_DEP_2)
	v_lshrrev_b32_e32 v4, s12, v4
	v_mul_lo_u32 v2, v2, s29
	s_delay_alu instid0(VALU_DEP_2) | instskip(NEXT) | instid1(VALU_DEP_2)
	v_mul_hi_u32 v5, s14, v4
	v_add3_u32 v0, v9, v0, v2
	s_delay_alu instid0(VALU_DEP_2) | instskip(NEXT) | instid1(VALU_DEP_1)
	v_add_nc_u32_e32 v5, v4, v5
	v_lshrrev_b32_e32 v1, s15, v5
	v_mul_lo_u32 v5, v4, s26
	s_delay_alu instid0(VALU_DEP_2) | instskip(NEXT) | instid1(VALU_DEP_2)
	v_mul_lo_u32 v11, v1, s13
	v_sub_nc_u32_e32 v3, v3, v5
	s_delay_alu instid0(VALU_DEP_2) | instskip(NEXT) | instid1(VALU_DEP_2)
	v_sub_nc_u32_e32 v4, v4, v11
	v_mul_lo_u32 v3, v3, s30
	s_delay_alu instid0(VALU_DEP_2) | instskip(NEXT) | instid1(VALU_DEP_1)
	v_mul_lo_u32 v4, v4, s31
	v_add3_u32 v0, v3, v0, v4
	s_cbranch_scc1 .LBB93_12
; %bb.13:
	s_and_b32 s7, s7, 3
	s_delay_alu instid0(SALU_CYCLE_1)
	s_cmp_eq_u32 s7, 0
	s_cbranch_scc0 .LBB93_24
	s_branch .LBB93_26
.LBB93_14:
	s_or_b32 exec_lo, exec_lo, s27
	s_delay_alu instid0(SALU_CYCLE_1)
	s_mov_b32 s27, exec_lo
	v_cmpx_gt_i32_e64 s24, v6
	s_cbranch_execz .LBB93_129
.LBB93_15:
	s_and_not1_b32 vcc_lo, exec_lo, s20
	s_cbranch_vccnz .LBB93_22
; %bb.16:
	v_mov_b32_e32 v0, 0
	s_and_not1_b32 vcc_lo, exec_lo, s26
	s_cbranch_vccnz .LBB93_140
; %bb.17:
	s_add_i32 s29, s25, 1
	s_cmp_eq_u32 s19, 2
	s_mov_b32 s28, 0
	s_cbranch_scc1 .LBB93_136
; %bb.18:
	v_dual_mov_b32 v0, 0 :: v_dual_mov_b32 v1, v6
	s_and_b32 s28, s29, 28
	s_mov_b32 s30, 0
	s_mov_b64 s[14:15], s[0:1]
	s_mov_b64 s[16:17], s[12:13]
.LBB93_19:                              ; =>This Inner Loop Header: Depth=1
	s_clause 0x1
	s_load_b256 s[36:43], s[14:15], 0x4
	s_load_b128 s[44:47], s[14:15], 0x24
	s_load_b128 s[48:51], s[16:17], 0x0
	s_add_u32 s14, s14, 48
	s_addc_u32 s15, s15, 0
	s_add_i32 s30, s30, 4
	s_add_u32 s16, s16, 16
	s_addc_u32 s17, s17, 0
	s_cmp_eq_u32 s28, s30
	s_waitcnt lgkmcnt(0)
	v_mul_hi_u32 v2, s37, v1
	s_delay_alu instid0(VALU_DEP_1) | instskip(NEXT) | instid1(VALU_DEP_1)
	v_add_nc_u32_e32 v2, v1, v2
	v_lshrrev_b32_e32 v2, s38, v2
	s_delay_alu instid0(VALU_DEP_1) | instskip(SKIP_1) | instid1(VALU_DEP_2)
	v_mul_hi_u32 v3, s40, v2
	v_mul_lo_u32 v7, v2, s36
	v_add_nc_u32_e32 v3, v2, v3
	s_delay_alu instid0(VALU_DEP_2) | instskip(NEXT) | instid1(VALU_DEP_2)
	v_sub_nc_u32_e32 v7, v1, v7
	v_lshrrev_b32_e32 v3, s41, v3
	s_delay_alu instid0(VALU_DEP_2) | instskip(NEXT) | instid1(VALU_DEP_2)
	v_mul_lo_u32 v7, v7, s48
	v_mul_hi_u32 v4, s43, v3
	v_mul_lo_u32 v8, v3, s39
	s_delay_alu instid0(VALU_DEP_2) | instskip(NEXT) | instid1(VALU_DEP_2)
	v_add_nc_u32_e32 v4, v3, v4
	v_sub_nc_u32_e32 v2, v2, v8
	s_delay_alu instid0(VALU_DEP_2) | instskip(NEXT) | instid1(VALU_DEP_2)
	v_lshrrev_b32_e32 v4, s44, v4
	v_mul_lo_u32 v2, v2, s49
	s_delay_alu instid0(VALU_DEP_2) | instskip(NEXT) | instid1(VALU_DEP_2)
	v_mul_hi_u32 v5, s46, v4
	v_add3_u32 v0, v7, v0, v2
	s_delay_alu instid0(VALU_DEP_2) | instskip(NEXT) | instid1(VALU_DEP_1)
	v_add_nc_u32_e32 v5, v4, v5
	v_lshrrev_b32_e32 v1, s47, v5
	v_mul_lo_u32 v5, v4, s42
	s_delay_alu instid0(VALU_DEP_2) | instskip(NEXT) | instid1(VALU_DEP_2)
	v_mul_lo_u32 v9, v1, s45
	v_sub_nc_u32_e32 v3, v3, v5
	s_delay_alu instid0(VALU_DEP_2) | instskip(NEXT) | instid1(VALU_DEP_2)
	v_sub_nc_u32_e32 v4, v4, v9
	v_mul_lo_u32 v3, v3, s50
	s_delay_alu instid0(VALU_DEP_2) | instskip(NEXT) | instid1(VALU_DEP_1)
	v_mul_lo_u32 v4, v4, s51
	v_add3_u32 v0, v3, v0, v4
	s_cbranch_scc0 .LBB93_19
	s_branch .LBB93_137
.LBB93_20:
	s_mov_b32 s6, -1
                                        ; implicit-def: $vgpr0
	s_branch .LBB93_26
.LBB93_21:
                                        ; implicit-def: $vgpr0
	s_branch .LBB93_126
.LBB93_22:
                                        ; implicit-def: $vgpr0
	s_branch .LBB93_141
.LBB93_23:
	v_mov_b32_e32 v1, v6
	s_and_b32 s7, s7, 3
	s_delay_alu instid0(SALU_CYCLE_1)
	s_cmp_eq_u32 s7, 0
	s_cbranch_scc1 .LBB93_26
.LBB93_24:
	s_lshl_b32 s2, s8, 2
	s_mul_i32 s4, s8, 12
	s_add_u32 s2, s2, s0
	s_addc_u32 s3, 0, s1
	s_add_u32 s2, s2, 0xc4
	s_addc_u32 s3, s3, 0
	;; [unrolled: 2-line block ×3, first 2 shown]
	.p2align	6
.LBB93_25:                              ; =>This Inner Loop Header: Depth=1
	s_clause 0x1
	s_load_b64 s[8:9], s[4:5], 0x4
	s_load_b32 s10, s[4:5], 0xc
	s_add_u32 s4, s4, 12
	s_addc_u32 s5, s5, 0
	s_waitcnt lgkmcnt(0)
	v_mul_hi_u32 v2, s9, v1
	s_load_b32 s9, s[2:3], 0x0
	s_add_u32 s2, s2, 4
	s_addc_u32 s3, s3, 0
	s_add_i32 s7, s7, -1
	s_delay_alu instid0(SALU_CYCLE_1) | instskip(NEXT) | instid1(VALU_DEP_1)
	s_cmp_lg_u32 s7, 0
	v_add_nc_u32_e32 v2, v1, v2
	s_delay_alu instid0(VALU_DEP_1) | instskip(NEXT) | instid1(VALU_DEP_1)
	v_lshrrev_b32_e32 v4, s10, v2
	v_mul_lo_u32 v2, v4, s8
	s_delay_alu instid0(VALU_DEP_1) | instskip(SKIP_1) | instid1(VALU_DEP_1)
	v_sub_nc_u32_e32 v1, v1, v2
	s_waitcnt lgkmcnt(0)
	v_mad_u64_u32 v[2:3], null, v1, s9, v[0:1]
	s_delay_alu instid0(VALU_DEP_1)
	v_dual_mov_b32 v1, v4 :: v_dual_mov_b32 v0, v2
	s_cbranch_scc1 .LBB93_25
.LBB93_26:
	s_and_not1_b32 vcc_lo, exec_lo, s6
	s_cbranch_vccnz .LBB93_29
; %bb.27:
	s_clause 0x1
	s_load_b128 s[4:7], s[0:1], 0x4
	s_load_b32 s2, s[0:1], 0xc4
	s_cmp_lt_u32 s18, 2
	s_waitcnt lgkmcnt(0)
	v_mul_hi_u32 v0, s5, v6
	s_delay_alu instid0(VALU_DEP_1) | instskip(NEXT) | instid1(VALU_DEP_1)
	v_add_nc_u32_e32 v0, v6, v0
	v_lshrrev_b32_e32 v1, s6, v0
	s_delay_alu instid0(VALU_DEP_1) | instskip(NEXT) | instid1(VALU_DEP_1)
	v_mul_lo_u32 v0, v1, s4
	v_sub_nc_u32_e32 v0, v6, v0
	s_delay_alu instid0(VALU_DEP_1)
	v_mul_lo_u32 v0, v0, s2
	s_cbranch_scc1 .LBB93_29
; %bb.28:
	s_clause 0x1
	s_load_b128 s[4:7], s[0:1], 0x10
	s_load_b32 s2, s[0:1], 0xc8
	s_waitcnt lgkmcnt(0)
	v_mul_hi_u32 v2, s5, v1
	s_delay_alu instid0(VALU_DEP_1) | instskip(NEXT) | instid1(VALU_DEP_1)
	v_add_nc_u32_e32 v2, v1, v2
	v_lshrrev_b32_e32 v2, s6, v2
	s_delay_alu instid0(VALU_DEP_1) | instskip(NEXT) | instid1(VALU_DEP_1)
	v_mul_lo_u32 v2, v2, s4
	v_sub_nc_u32_e32 v3, v1, v2
	s_delay_alu instid0(VALU_DEP_1) | instskip(NEXT) | instid1(VALU_DEP_1)
	v_mad_u64_u32 v[1:2], null, v3, s2, v[0:1]
	v_mov_b32_e32 v0, v1
.LBB93_29:
	v_cmp_ne_u32_e32 vcc_lo, 1, v7
	v_add_nc_u32_e32 v2, 0x80, v6
	s_cbranch_vccnz .LBB93_35
; %bb.30:
	v_mov_b32_e32 v1, 0
	s_cmp_eq_u32 s18, 0
	s_mov_b32 s6, 0
	s_cbranch_scc1 .LBB93_39
; %bb.31:
	s_min_u32 s7, s19, 15
	v_mov_b32_e32 v1, 0
	s_add_i32 s7, s7, 1
	s_cmp_eq_u32 s19, 2
	s_mov_b32 s8, 0
	s_cbranch_scc1 .LBB93_36
; %bb.32:
	v_mov_b32_e32 v1, 0
	v_mov_b32_e32 v3, v2
	s_add_u32 s2, s0, 0xc4
	s_addc_u32 s3, s1, 0
	s_and_b32 s8, s7, 28
	s_mov_b32 s9, 0
	s_mov_b64 s[4:5], s[0:1]
.LBB93_33:                              ; =>This Inner Loop Header: Depth=1
	s_clause 0x1
	s_load_b256 s[20:27], s[4:5], 0x4
	s_load_b128 s[12:15], s[4:5], 0x24
	s_load_b128 s[28:31], s[2:3], 0x0
	s_add_u32 s4, s4, 48
	s_addc_u32 s5, s5, 0
	s_add_i32 s9, s9, 4
	s_add_u32 s2, s2, 16
	s_addc_u32 s3, s3, 0
	s_cmp_lg_u32 s8, s9
	s_waitcnt lgkmcnt(0)
	v_mul_hi_u32 v4, s21, v3
	s_delay_alu instid0(VALU_DEP_1) | instskip(NEXT) | instid1(VALU_DEP_1)
	v_add_nc_u32_e32 v4, v3, v4
	v_lshrrev_b32_e32 v4, s22, v4
	s_delay_alu instid0(VALU_DEP_1) | instskip(SKIP_1) | instid1(VALU_DEP_2)
	v_mul_hi_u32 v5, s24, v4
	v_mul_lo_u32 v11, v4, s20
	v_add_nc_u32_e32 v5, v4, v5
	s_delay_alu instid0(VALU_DEP_2) | instskip(NEXT) | instid1(VALU_DEP_2)
	v_sub_nc_u32_e32 v11, v3, v11
	v_lshrrev_b32_e32 v5, s25, v5
	s_delay_alu instid0(VALU_DEP_2) | instskip(NEXT) | instid1(VALU_DEP_2)
	v_mul_lo_u32 v11, v11, s28
	v_mul_hi_u32 v9, s27, v5
	v_mul_lo_u32 v12, v5, s23
	s_delay_alu instid0(VALU_DEP_2) | instskip(NEXT) | instid1(VALU_DEP_2)
	v_add_nc_u32_e32 v9, v5, v9
	v_sub_nc_u32_e32 v4, v4, v12
	s_delay_alu instid0(VALU_DEP_2) | instskip(NEXT) | instid1(VALU_DEP_2)
	v_lshrrev_b32_e32 v9, s12, v9
	v_mul_lo_u32 v4, v4, s29
	s_delay_alu instid0(VALU_DEP_2) | instskip(NEXT) | instid1(VALU_DEP_2)
	v_mul_hi_u32 v10, s14, v9
	v_add3_u32 v1, v11, v1, v4
	s_delay_alu instid0(VALU_DEP_2) | instskip(NEXT) | instid1(VALU_DEP_1)
	v_add_nc_u32_e32 v10, v9, v10
	v_lshrrev_b32_e32 v3, s15, v10
	v_mul_lo_u32 v10, v9, s26
	s_delay_alu instid0(VALU_DEP_2) | instskip(NEXT) | instid1(VALU_DEP_2)
	v_mul_lo_u32 v13, v3, s13
	v_sub_nc_u32_e32 v5, v5, v10
	s_delay_alu instid0(VALU_DEP_2) | instskip(NEXT) | instid1(VALU_DEP_2)
	v_sub_nc_u32_e32 v9, v9, v13
	v_mul_lo_u32 v5, v5, s30
	s_delay_alu instid0(VALU_DEP_2) | instskip(NEXT) | instid1(VALU_DEP_1)
	v_mul_lo_u32 v9, v9, s31
	v_add3_u32 v1, v5, v1, v9
	s_cbranch_scc1 .LBB93_33
; %bb.34:
	s_and_b32 s7, s7, 3
	s_delay_alu instid0(SALU_CYCLE_1)
	s_cmp_eq_u32 s7, 0
	s_cbranch_scc0 .LBB93_37
	s_branch .LBB93_39
.LBB93_35:
	s_mov_b32 s6, -1
                                        ; implicit-def: $vgpr1
	s_branch .LBB93_39
.LBB93_36:
	v_mov_b32_e32 v3, v2
	s_and_b32 s7, s7, 3
	s_delay_alu instid0(SALU_CYCLE_1)
	s_cmp_eq_u32 s7, 0
	s_cbranch_scc1 .LBB93_39
.LBB93_37:
	s_lshl_b32 s2, s8, 2
	s_mul_i32 s4, s8, 12
	s_add_u32 s2, s2, s0
	s_addc_u32 s3, 0, s1
	s_add_u32 s2, s2, 0xc4
	s_addc_u32 s3, s3, 0
	;; [unrolled: 2-line block ×3, first 2 shown]
	.p2align	6
.LBB93_38:                              ; =>This Inner Loop Header: Depth=1
	s_clause 0x1
	s_load_b64 s[8:9], s[4:5], 0x4
	s_load_b32 s10, s[4:5], 0xc
	s_add_u32 s4, s4, 12
	s_addc_u32 s5, s5, 0
	s_waitcnt lgkmcnt(0)
	v_mul_hi_u32 v4, s9, v3
	s_load_b32 s9, s[2:3], 0x0
	s_add_u32 s2, s2, 4
	s_addc_u32 s3, s3, 0
	s_add_i32 s7, s7, -1
	s_delay_alu instid0(SALU_CYCLE_1) | instskip(NEXT) | instid1(VALU_DEP_1)
	s_cmp_lg_u32 s7, 0
	v_add_nc_u32_e32 v4, v3, v4
	s_delay_alu instid0(VALU_DEP_1) | instskip(NEXT) | instid1(VALU_DEP_1)
	v_lshrrev_b32_e32 v9, s10, v4
	v_mul_lo_u32 v4, v9, s8
	s_delay_alu instid0(VALU_DEP_1) | instskip(SKIP_1) | instid1(VALU_DEP_1)
	v_sub_nc_u32_e32 v3, v3, v4
	s_waitcnt lgkmcnt(0)
	v_mad_u64_u32 v[4:5], null, v3, s9, v[1:2]
	v_mov_b32_e32 v3, v9
	s_delay_alu instid0(VALU_DEP_2)
	v_mov_b32_e32 v1, v4
	s_cbranch_scc1 .LBB93_38
.LBB93_39:
	s_and_not1_b32 vcc_lo, exec_lo, s6
	s_cbranch_vccnz .LBB93_42
; %bb.40:
	s_clause 0x1
	s_load_b128 s[4:7], s[0:1], 0x4
	s_load_b32 s2, s[0:1], 0xc4
	s_cmp_lt_u32 s18, 2
	s_waitcnt lgkmcnt(0)
	v_mul_hi_u32 v1, s5, v2
	s_delay_alu instid0(VALU_DEP_1) | instskip(NEXT) | instid1(VALU_DEP_1)
	v_add_nc_u32_e32 v1, v2, v1
	v_lshrrev_b32_e32 v3, s6, v1
	s_delay_alu instid0(VALU_DEP_1) | instskip(NEXT) | instid1(VALU_DEP_1)
	v_mul_lo_u32 v1, v3, s4
	v_sub_nc_u32_e32 v1, v2, v1
	s_delay_alu instid0(VALU_DEP_1)
	v_mul_lo_u32 v1, v1, s2
	s_cbranch_scc1 .LBB93_42
; %bb.41:
	s_clause 0x1
	s_load_b128 s[4:7], s[0:1], 0x10
	s_load_b32 s2, s[0:1], 0xc8
	s_waitcnt lgkmcnt(0)
	v_mul_hi_u32 v2, s5, v3
	s_delay_alu instid0(VALU_DEP_1) | instskip(NEXT) | instid1(VALU_DEP_1)
	v_add_nc_u32_e32 v2, v3, v2
	v_lshrrev_b32_e32 v2, s6, v2
	s_delay_alu instid0(VALU_DEP_1) | instskip(NEXT) | instid1(VALU_DEP_1)
	v_mul_lo_u32 v2, v2, s4
	v_sub_nc_u32_e32 v4, v3, v2
	s_delay_alu instid0(VALU_DEP_1) | instskip(NEXT) | instid1(VALU_DEP_1)
	v_mad_u64_u32 v[2:3], null, v4, s2, v[1:2]
	v_mov_b32_e32 v1, v2
.LBB93_42:
	v_cmp_ne_u32_e32 vcc_lo, 1, v7
	v_add_nc_u32_e32 v3, 0x100, v6
	s_cbranch_vccnz .LBB93_48
; %bb.43:
	v_mov_b32_e32 v2, 0
	s_cmp_eq_u32 s18, 0
	s_mov_b32 s6, 0
	s_cbranch_scc1 .LBB93_52
; %bb.44:
	s_min_u32 s7, s19, 15
	v_mov_b32_e32 v2, 0
	s_add_i32 s7, s7, 1
	s_cmp_eq_u32 s19, 2
	s_mov_b32 s8, 0
	s_cbranch_scc1 .LBB93_49
; %bb.45:
	v_mov_b32_e32 v2, 0
	v_mov_b32_e32 v4, v3
	s_add_u32 s2, s0, 0xc4
	s_addc_u32 s3, s1, 0
	s_and_b32 s8, s7, 28
	s_mov_b32 s9, 0
	s_mov_b64 s[4:5], s[0:1]
.LBB93_46:                              ; =>This Inner Loop Header: Depth=1
	s_clause 0x1
	s_load_b256 s[20:27], s[4:5], 0x4
	s_load_b128 s[12:15], s[4:5], 0x24
	s_load_b128 s[28:31], s[2:3], 0x0
	s_add_u32 s4, s4, 48
	s_addc_u32 s5, s5, 0
	s_add_i32 s9, s9, 4
	s_add_u32 s2, s2, 16
	s_addc_u32 s3, s3, 0
	s_cmp_lg_u32 s8, s9
	s_waitcnt lgkmcnt(0)
	v_mul_hi_u32 v5, s21, v4
	s_delay_alu instid0(VALU_DEP_1) | instskip(NEXT) | instid1(VALU_DEP_1)
	v_add_nc_u32_e32 v5, v4, v5
	v_lshrrev_b32_e32 v5, s22, v5
	s_delay_alu instid0(VALU_DEP_1) | instskip(SKIP_1) | instid1(VALU_DEP_2)
	v_mul_hi_u32 v9, s24, v5
	v_mul_lo_u32 v12, v5, s20
	v_add_nc_u32_e32 v9, v5, v9
	s_delay_alu instid0(VALU_DEP_2) | instskip(NEXT) | instid1(VALU_DEP_2)
	v_sub_nc_u32_e32 v12, v4, v12
	v_lshrrev_b32_e32 v9, s25, v9
	s_delay_alu instid0(VALU_DEP_2) | instskip(NEXT) | instid1(VALU_DEP_2)
	v_mul_lo_u32 v12, v12, s28
	v_mul_hi_u32 v10, s27, v9
	v_mul_lo_u32 v13, v9, s23
	s_delay_alu instid0(VALU_DEP_2) | instskip(NEXT) | instid1(VALU_DEP_2)
	v_add_nc_u32_e32 v10, v9, v10
	v_sub_nc_u32_e32 v5, v5, v13
	s_delay_alu instid0(VALU_DEP_2) | instskip(NEXT) | instid1(VALU_DEP_2)
	v_lshrrev_b32_e32 v10, s12, v10
	v_mul_lo_u32 v5, v5, s29
	s_delay_alu instid0(VALU_DEP_2) | instskip(NEXT) | instid1(VALU_DEP_2)
	v_mul_hi_u32 v11, s14, v10
	v_add3_u32 v2, v12, v2, v5
	s_delay_alu instid0(VALU_DEP_2) | instskip(NEXT) | instid1(VALU_DEP_1)
	v_add_nc_u32_e32 v11, v10, v11
	v_lshrrev_b32_e32 v4, s15, v11
	v_mul_lo_u32 v11, v10, s26
	s_delay_alu instid0(VALU_DEP_2) | instskip(NEXT) | instid1(VALU_DEP_2)
	v_mul_lo_u32 v14, v4, s13
	v_sub_nc_u32_e32 v9, v9, v11
	s_delay_alu instid0(VALU_DEP_2) | instskip(NEXT) | instid1(VALU_DEP_2)
	v_sub_nc_u32_e32 v10, v10, v14
	v_mul_lo_u32 v9, v9, s30
	s_delay_alu instid0(VALU_DEP_2) | instskip(NEXT) | instid1(VALU_DEP_1)
	v_mul_lo_u32 v10, v10, s31
	v_add3_u32 v2, v9, v2, v10
	s_cbranch_scc1 .LBB93_46
; %bb.47:
	s_and_b32 s7, s7, 3
	s_delay_alu instid0(SALU_CYCLE_1)
	s_cmp_eq_u32 s7, 0
	s_cbranch_scc0 .LBB93_50
	s_branch .LBB93_52
.LBB93_48:
	s_mov_b32 s6, -1
                                        ; implicit-def: $vgpr2
	s_branch .LBB93_52
.LBB93_49:
	v_mov_b32_e32 v4, v3
	s_and_b32 s7, s7, 3
	s_delay_alu instid0(SALU_CYCLE_1)
	s_cmp_eq_u32 s7, 0
	s_cbranch_scc1 .LBB93_52
.LBB93_50:
	s_lshl_b32 s2, s8, 2
	s_mul_i32 s4, s8, 12
	s_add_u32 s2, s2, s0
	s_addc_u32 s3, 0, s1
	s_add_u32 s2, s2, 0xc4
	s_addc_u32 s3, s3, 0
	;; [unrolled: 2-line block ×3, first 2 shown]
	.p2align	6
.LBB93_51:                              ; =>This Inner Loop Header: Depth=1
	s_clause 0x1
	s_load_b64 s[8:9], s[4:5], 0x4
	s_load_b32 s10, s[4:5], 0xc
	s_add_u32 s4, s4, 12
	s_addc_u32 s5, s5, 0
	s_waitcnt lgkmcnt(0)
	v_mul_hi_u32 v5, s9, v4
	s_load_b32 s9, s[2:3], 0x0
	s_add_u32 s2, s2, 4
	s_addc_u32 s3, s3, 0
	s_add_i32 s7, s7, -1
	s_delay_alu instid0(SALU_CYCLE_1) | instskip(NEXT) | instid1(VALU_DEP_1)
	s_cmp_lg_u32 s7, 0
	v_add_nc_u32_e32 v5, v4, v5
	s_delay_alu instid0(VALU_DEP_1) | instskip(NEXT) | instid1(VALU_DEP_1)
	v_lshrrev_b32_e32 v5, s10, v5
	v_mul_lo_u32 v9, v5, s8
	s_delay_alu instid0(VALU_DEP_1) | instskip(SKIP_1) | instid1(VALU_DEP_1)
	v_sub_nc_u32_e32 v4, v4, v9
	s_waitcnt lgkmcnt(0)
	v_mad_u64_u32 v[9:10], null, v4, s9, v[2:3]
	v_mov_b32_e32 v4, v5
	s_delay_alu instid0(VALU_DEP_2)
	v_mov_b32_e32 v2, v9
	s_cbranch_scc1 .LBB93_51
.LBB93_52:
	s_and_not1_b32 vcc_lo, exec_lo, s6
	s_cbranch_vccnz .LBB93_55
; %bb.53:
	s_clause 0x1
	s_load_b128 s[4:7], s[0:1], 0x4
	s_load_b32 s2, s[0:1], 0xc4
	s_cmp_lt_u32 s18, 2
	s_waitcnt lgkmcnt(0)
	v_mul_hi_u32 v2, s5, v3
	s_delay_alu instid0(VALU_DEP_1) | instskip(NEXT) | instid1(VALU_DEP_1)
	v_add_nc_u32_e32 v2, v3, v2
	v_lshrrev_b32_e32 v4, s6, v2
	s_delay_alu instid0(VALU_DEP_1) | instskip(NEXT) | instid1(VALU_DEP_1)
	v_mul_lo_u32 v2, v4, s4
	v_sub_nc_u32_e32 v2, v3, v2
	s_delay_alu instid0(VALU_DEP_1)
	v_mul_lo_u32 v2, v2, s2
	s_cbranch_scc1 .LBB93_55
; %bb.54:
	s_clause 0x1
	s_load_b128 s[4:7], s[0:1], 0x10
	s_load_b32 s2, s[0:1], 0xc8
	s_waitcnt lgkmcnt(0)
	v_mul_hi_u32 v3, s5, v4
	s_delay_alu instid0(VALU_DEP_1) | instskip(NEXT) | instid1(VALU_DEP_1)
	v_add_nc_u32_e32 v3, v4, v3
	v_lshrrev_b32_e32 v3, s6, v3
	s_delay_alu instid0(VALU_DEP_1) | instskip(NEXT) | instid1(VALU_DEP_1)
	v_mul_lo_u32 v3, v3, s4
	v_sub_nc_u32_e32 v5, v4, v3
	s_delay_alu instid0(VALU_DEP_1) | instskip(NEXT) | instid1(VALU_DEP_1)
	v_mad_u64_u32 v[3:4], null, v5, s2, v[2:3]
	v_mov_b32_e32 v2, v3
.LBB93_55:
	v_cmp_ne_u32_e32 vcc_lo, 1, v7
	v_add_nc_u32_e32 v4, 0x180, v6
	s_cbranch_vccnz .LBB93_61
; %bb.56:
	v_mov_b32_e32 v3, 0
	s_cmp_eq_u32 s18, 0
	s_mov_b32 s6, 0
	s_cbranch_scc1 .LBB93_65
; %bb.57:
	s_min_u32 s7, s19, 15
	v_mov_b32_e32 v3, 0
	s_add_i32 s7, s7, 1
	s_cmp_eq_u32 s19, 2
	s_mov_b32 s8, 0
	s_cbranch_scc1 .LBB93_62
; %bb.58:
	v_mov_b32_e32 v3, 0
	v_mov_b32_e32 v5, v4
	s_add_u32 s2, s0, 0xc4
	s_addc_u32 s3, s1, 0
	s_and_b32 s8, s7, 28
	s_mov_b32 s9, 0
	s_mov_b64 s[4:5], s[0:1]
.LBB93_59:                              ; =>This Inner Loop Header: Depth=1
	s_clause 0x1
	s_load_b256 s[20:27], s[4:5], 0x4
	s_load_b128 s[12:15], s[4:5], 0x24
	s_load_b128 s[28:31], s[2:3], 0x0
	s_add_u32 s4, s4, 48
	s_addc_u32 s5, s5, 0
	s_add_i32 s9, s9, 4
	s_add_u32 s2, s2, 16
	s_addc_u32 s3, s3, 0
	s_cmp_lg_u32 s8, s9
	s_waitcnt lgkmcnt(0)
	v_mul_hi_u32 v9, s21, v5
	s_delay_alu instid0(VALU_DEP_1) | instskip(NEXT) | instid1(VALU_DEP_1)
	v_add_nc_u32_e32 v9, v5, v9
	v_lshrrev_b32_e32 v9, s22, v9
	s_delay_alu instid0(VALU_DEP_1) | instskip(SKIP_1) | instid1(VALU_DEP_2)
	v_mul_hi_u32 v10, s24, v9
	v_mul_lo_u32 v13, v9, s20
	v_add_nc_u32_e32 v10, v9, v10
	s_delay_alu instid0(VALU_DEP_2) | instskip(NEXT) | instid1(VALU_DEP_2)
	v_sub_nc_u32_e32 v13, v5, v13
	v_lshrrev_b32_e32 v10, s25, v10
	s_delay_alu instid0(VALU_DEP_2) | instskip(NEXT) | instid1(VALU_DEP_2)
	v_mul_lo_u32 v13, v13, s28
	v_mul_hi_u32 v11, s27, v10
	v_mul_lo_u32 v14, v10, s23
	s_delay_alu instid0(VALU_DEP_2) | instskip(NEXT) | instid1(VALU_DEP_2)
	v_add_nc_u32_e32 v11, v10, v11
	v_sub_nc_u32_e32 v9, v9, v14
	s_delay_alu instid0(VALU_DEP_2) | instskip(NEXT) | instid1(VALU_DEP_2)
	v_lshrrev_b32_e32 v11, s12, v11
	v_mul_lo_u32 v9, v9, s29
	s_delay_alu instid0(VALU_DEP_2) | instskip(NEXT) | instid1(VALU_DEP_2)
	v_mul_hi_u32 v12, s14, v11
	v_add3_u32 v3, v13, v3, v9
	s_delay_alu instid0(VALU_DEP_2) | instskip(NEXT) | instid1(VALU_DEP_1)
	v_add_nc_u32_e32 v12, v11, v12
	v_lshrrev_b32_e32 v5, s15, v12
	v_mul_lo_u32 v12, v11, s26
	s_delay_alu instid0(VALU_DEP_2) | instskip(NEXT) | instid1(VALU_DEP_2)
	v_mul_lo_u32 v15, v5, s13
	v_sub_nc_u32_e32 v10, v10, v12
	s_delay_alu instid0(VALU_DEP_2) | instskip(NEXT) | instid1(VALU_DEP_2)
	v_sub_nc_u32_e32 v11, v11, v15
	v_mul_lo_u32 v10, v10, s30
	s_delay_alu instid0(VALU_DEP_2) | instskip(NEXT) | instid1(VALU_DEP_1)
	v_mul_lo_u32 v11, v11, s31
	v_add3_u32 v3, v10, v3, v11
	s_cbranch_scc1 .LBB93_59
; %bb.60:
	s_and_b32 s7, s7, 3
	s_delay_alu instid0(SALU_CYCLE_1)
	s_cmp_eq_u32 s7, 0
	s_cbranch_scc0 .LBB93_63
	s_branch .LBB93_65
.LBB93_61:
	s_mov_b32 s6, -1
                                        ; implicit-def: $vgpr3
	s_branch .LBB93_65
.LBB93_62:
	v_mov_b32_e32 v5, v4
	s_and_b32 s7, s7, 3
	s_delay_alu instid0(SALU_CYCLE_1)
	s_cmp_eq_u32 s7, 0
	s_cbranch_scc1 .LBB93_65
.LBB93_63:
	s_lshl_b32 s2, s8, 2
	s_mul_i32 s4, s8, 12
	s_add_u32 s2, s2, s0
	s_addc_u32 s3, 0, s1
	s_add_u32 s2, s2, 0xc4
	s_addc_u32 s3, s3, 0
	;; [unrolled: 2-line block ×3, first 2 shown]
	.p2align	6
.LBB93_64:                              ; =>This Inner Loop Header: Depth=1
	s_clause 0x1
	s_load_b64 s[8:9], s[4:5], 0x4
	s_load_b32 s10, s[4:5], 0xc
	s_add_u32 s4, s4, 12
	s_addc_u32 s5, s5, 0
	s_waitcnt lgkmcnt(0)
	v_mul_hi_u32 v9, s9, v5
	s_load_b32 s9, s[2:3], 0x0
	s_add_u32 s2, s2, 4
	s_addc_u32 s3, s3, 0
	s_add_i32 s7, s7, -1
	s_delay_alu instid0(SALU_CYCLE_1) | instskip(NEXT) | instid1(VALU_DEP_1)
	s_cmp_lg_u32 s7, 0
	v_add_nc_u32_e32 v9, v5, v9
	s_delay_alu instid0(VALU_DEP_1) | instskip(NEXT) | instid1(VALU_DEP_1)
	v_lshrrev_b32_e32 v11, s10, v9
	v_mul_lo_u32 v9, v11, s8
	s_delay_alu instid0(VALU_DEP_1) | instskip(SKIP_1) | instid1(VALU_DEP_1)
	v_sub_nc_u32_e32 v5, v5, v9
	s_waitcnt lgkmcnt(0)
	v_mad_u64_u32 v[9:10], null, v5, s9, v[3:4]
	v_mov_b32_e32 v5, v11
	s_delay_alu instid0(VALU_DEP_2)
	v_mov_b32_e32 v3, v9
	s_cbranch_scc1 .LBB93_64
.LBB93_65:
	s_and_not1_b32 vcc_lo, exec_lo, s6
	s_cbranch_vccnz .LBB93_68
; %bb.66:
	s_clause 0x1
	s_load_b128 s[4:7], s[0:1], 0x4
	s_load_b32 s2, s[0:1], 0xc4
	s_cmp_lt_u32 s18, 2
	s_waitcnt lgkmcnt(0)
	v_mul_hi_u32 v3, s5, v4
	s_delay_alu instid0(VALU_DEP_1) | instskip(NEXT) | instid1(VALU_DEP_1)
	v_add_nc_u32_e32 v3, v4, v3
	v_lshrrev_b32_e32 v5, s6, v3
	s_delay_alu instid0(VALU_DEP_1) | instskip(NEXT) | instid1(VALU_DEP_1)
	v_mul_lo_u32 v3, v5, s4
	v_sub_nc_u32_e32 v3, v4, v3
	s_delay_alu instid0(VALU_DEP_1)
	v_mul_lo_u32 v3, v3, s2
	s_cbranch_scc1 .LBB93_68
; %bb.67:
	s_clause 0x1
	s_load_b128 s[4:7], s[0:1], 0x10
	s_load_b32 s2, s[0:1], 0xc8
	s_waitcnt lgkmcnt(0)
	v_mul_hi_u32 v4, s5, v5
	s_delay_alu instid0(VALU_DEP_1) | instskip(NEXT) | instid1(VALU_DEP_1)
	v_add_nc_u32_e32 v4, v5, v4
	v_lshrrev_b32_e32 v4, s6, v4
	s_delay_alu instid0(VALU_DEP_1) | instskip(NEXT) | instid1(VALU_DEP_1)
	v_mul_lo_u32 v4, v4, s4
	v_sub_nc_u32_e32 v9, v5, v4
	s_delay_alu instid0(VALU_DEP_1) | instskip(NEXT) | instid1(VALU_DEP_1)
	v_mad_u64_u32 v[4:5], null, v9, s2, v[3:4]
	v_mov_b32_e32 v3, v4
.LBB93_68:
	v_cmp_ne_u32_e32 vcc_lo, 1, v7
	v_add_nc_u32_e32 v5, 0x200, v6
	s_cbranch_vccnz .LBB93_74
; %bb.69:
	v_mov_b32_e32 v4, 0
	s_cmp_eq_u32 s18, 0
	s_mov_b32 s6, 0
	s_cbranch_scc1 .LBB93_78
; %bb.70:
	s_min_u32 s7, s19, 15
	v_mov_b32_e32 v4, 0
	s_add_i32 s7, s7, 1
	s_cmp_eq_u32 s19, 2
	s_mov_b32 s8, 0
	s_cbranch_scc1 .LBB93_75
; %bb.71:
	v_dual_mov_b32 v4, 0 :: v_dual_mov_b32 v9, v5
	s_add_u32 s2, s0, 0xc4
	s_addc_u32 s3, s1, 0
	s_and_b32 s8, s7, 28
	s_mov_b32 s9, 0
	s_mov_b64 s[4:5], s[0:1]
.LBB93_72:                              ; =>This Inner Loop Header: Depth=1
	s_clause 0x1
	s_load_b256 s[20:27], s[4:5], 0x4
	s_load_b128 s[12:15], s[4:5], 0x24
	s_load_b128 s[28:31], s[2:3], 0x0
	s_add_u32 s4, s4, 48
	s_addc_u32 s5, s5, 0
	s_add_i32 s9, s9, 4
	s_add_u32 s2, s2, 16
	s_addc_u32 s3, s3, 0
	s_cmp_lg_u32 s8, s9
	s_waitcnt lgkmcnt(0)
	v_mul_hi_u32 v10, s21, v9
	s_delay_alu instid0(VALU_DEP_1) | instskip(NEXT) | instid1(VALU_DEP_1)
	v_add_nc_u32_e32 v10, v9, v10
	v_lshrrev_b32_e32 v10, s22, v10
	s_delay_alu instid0(VALU_DEP_1) | instskip(SKIP_1) | instid1(VALU_DEP_2)
	v_mul_hi_u32 v11, s24, v10
	v_mul_lo_u32 v14, v10, s20
	v_add_nc_u32_e32 v11, v10, v11
	s_delay_alu instid0(VALU_DEP_2) | instskip(NEXT) | instid1(VALU_DEP_2)
	v_sub_nc_u32_e32 v14, v9, v14
	v_lshrrev_b32_e32 v11, s25, v11
	s_delay_alu instid0(VALU_DEP_2) | instskip(NEXT) | instid1(VALU_DEP_2)
	v_mul_lo_u32 v14, v14, s28
	v_mul_hi_u32 v12, s27, v11
	v_mul_lo_u32 v15, v11, s23
	s_delay_alu instid0(VALU_DEP_2) | instskip(NEXT) | instid1(VALU_DEP_2)
	v_add_nc_u32_e32 v12, v11, v12
	v_sub_nc_u32_e32 v10, v10, v15
	s_delay_alu instid0(VALU_DEP_2) | instskip(NEXT) | instid1(VALU_DEP_2)
	v_lshrrev_b32_e32 v12, s12, v12
	v_mul_lo_u32 v10, v10, s29
	s_delay_alu instid0(VALU_DEP_2) | instskip(NEXT) | instid1(VALU_DEP_2)
	v_mul_hi_u32 v13, s14, v12
	v_add3_u32 v4, v14, v4, v10
	s_delay_alu instid0(VALU_DEP_2) | instskip(NEXT) | instid1(VALU_DEP_1)
	v_add_nc_u32_e32 v13, v12, v13
	v_lshrrev_b32_e32 v9, s15, v13
	v_mul_lo_u32 v13, v12, s26
	s_delay_alu instid0(VALU_DEP_2) | instskip(NEXT) | instid1(VALU_DEP_2)
	v_mul_lo_u32 v16, v9, s13
	v_sub_nc_u32_e32 v11, v11, v13
	s_delay_alu instid0(VALU_DEP_2) | instskip(NEXT) | instid1(VALU_DEP_2)
	v_sub_nc_u32_e32 v12, v12, v16
	v_mul_lo_u32 v11, v11, s30
	s_delay_alu instid0(VALU_DEP_2) | instskip(NEXT) | instid1(VALU_DEP_1)
	v_mul_lo_u32 v12, v12, s31
	v_add3_u32 v4, v11, v4, v12
	s_cbranch_scc1 .LBB93_72
; %bb.73:
	s_and_b32 s7, s7, 3
	s_delay_alu instid0(SALU_CYCLE_1)
	s_cmp_eq_u32 s7, 0
	s_cbranch_scc0 .LBB93_76
	s_branch .LBB93_78
.LBB93_74:
	s_mov_b32 s6, -1
                                        ; implicit-def: $vgpr4
	s_branch .LBB93_78
.LBB93_75:
	v_mov_b32_e32 v9, v5
	s_and_b32 s7, s7, 3
	s_delay_alu instid0(SALU_CYCLE_1)
	s_cmp_eq_u32 s7, 0
	s_cbranch_scc1 .LBB93_78
.LBB93_76:
	s_lshl_b32 s2, s8, 2
	s_mul_i32 s4, s8, 12
	s_add_u32 s2, s2, s0
	s_addc_u32 s3, 0, s1
	s_add_u32 s2, s2, 0xc4
	s_addc_u32 s3, s3, 0
	;; [unrolled: 2-line block ×3, first 2 shown]
	.p2align	6
.LBB93_77:                              ; =>This Inner Loop Header: Depth=1
	s_clause 0x1
	s_load_b64 s[8:9], s[4:5], 0x4
	s_load_b32 s10, s[4:5], 0xc
	s_add_u32 s4, s4, 12
	s_addc_u32 s5, s5, 0
	s_waitcnt lgkmcnt(0)
	v_mul_hi_u32 v10, s9, v9
	s_load_b32 s9, s[2:3], 0x0
	s_add_u32 s2, s2, 4
	s_addc_u32 s3, s3, 0
	s_add_i32 s7, s7, -1
	s_delay_alu instid0(SALU_CYCLE_1) | instskip(NEXT) | instid1(VALU_DEP_1)
	s_cmp_lg_u32 s7, 0
	v_add_nc_u32_e32 v10, v9, v10
	s_delay_alu instid0(VALU_DEP_1) | instskip(NEXT) | instid1(VALU_DEP_1)
	v_lshrrev_b32_e32 v12, s10, v10
	v_mul_lo_u32 v10, v12, s8
	s_delay_alu instid0(VALU_DEP_1) | instskip(SKIP_1) | instid1(VALU_DEP_1)
	v_sub_nc_u32_e32 v9, v9, v10
	s_waitcnt lgkmcnt(0)
	v_mad_u64_u32 v[10:11], null, v9, s9, v[4:5]
	s_delay_alu instid0(VALU_DEP_1)
	v_dual_mov_b32 v9, v12 :: v_dual_mov_b32 v4, v10
	s_cbranch_scc1 .LBB93_77
.LBB93_78:
	s_and_not1_b32 vcc_lo, exec_lo, s6
	s_cbranch_vccnz .LBB93_81
; %bb.79:
	s_clause 0x1
	s_load_b128 s[4:7], s[0:1], 0x4
	s_load_b32 s2, s[0:1], 0xc4
	s_cmp_lt_u32 s18, 2
	s_waitcnt lgkmcnt(0)
	v_mul_hi_u32 v4, s5, v5
	s_delay_alu instid0(VALU_DEP_1) | instskip(NEXT) | instid1(VALU_DEP_1)
	v_add_nc_u32_e32 v4, v5, v4
	v_lshrrev_b32_e32 v9, s6, v4
	s_delay_alu instid0(VALU_DEP_1) | instskip(NEXT) | instid1(VALU_DEP_1)
	v_mul_lo_u32 v4, v9, s4
	v_sub_nc_u32_e32 v4, v5, v4
	s_delay_alu instid0(VALU_DEP_1)
	v_mul_lo_u32 v4, v4, s2
	s_cbranch_scc1 .LBB93_81
; %bb.80:
	s_clause 0x1
	s_load_b128 s[4:7], s[0:1], 0x10
	s_load_b32 s2, s[0:1], 0xc8
	s_waitcnt lgkmcnt(0)
	v_mul_hi_u32 v5, s5, v9
	s_delay_alu instid0(VALU_DEP_1) | instskip(NEXT) | instid1(VALU_DEP_1)
	v_add_nc_u32_e32 v5, v9, v5
	v_lshrrev_b32_e32 v5, s6, v5
	s_delay_alu instid0(VALU_DEP_1) | instskip(NEXT) | instid1(VALU_DEP_1)
	v_mul_lo_u32 v5, v5, s4
	v_sub_nc_u32_e32 v5, v9, v5
	s_delay_alu instid0(VALU_DEP_1) | instskip(NEXT) | instid1(VALU_DEP_1)
	v_mad_u64_u32 v[9:10], null, v5, s2, v[4:5]
	v_mov_b32_e32 v4, v9
.LBB93_81:
	v_cmp_ne_u32_e32 vcc_lo, 1, v7
	v_add_nc_u32_e32 v9, 0x280, v6
	s_cbranch_vccnz .LBB93_87
; %bb.82:
	v_mov_b32_e32 v5, 0
	s_cmp_eq_u32 s18, 0
	s_mov_b32 s6, 0
	s_cbranch_scc1 .LBB93_91
; %bb.83:
	s_min_u32 s7, s19, 15
	v_mov_b32_e32 v5, 0
	s_add_i32 s7, s7, 1
	s_cmp_eq_u32 s19, 2
	s_mov_b32 s8, 0
	s_cbranch_scc1 .LBB93_88
; %bb.84:
	v_dual_mov_b32 v5, 0 :: v_dual_mov_b32 v10, v9
	s_add_u32 s2, s0, 0xc4
	s_addc_u32 s3, s1, 0
	s_and_b32 s8, s7, 28
	s_mov_b32 s9, 0
	s_mov_b64 s[4:5], s[0:1]
.LBB93_85:                              ; =>This Inner Loop Header: Depth=1
	s_clause 0x1
	s_load_b256 s[20:27], s[4:5], 0x4
	s_load_b128 s[12:15], s[4:5], 0x24
	s_load_b128 s[28:31], s[2:3], 0x0
	s_add_u32 s4, s4, 48
	s_addc_u32 s5, s5, 0
	s_add_i32 s9, s9, 4
	s_add_u32 s2, s2, 16
	s_addc_u32 s3, s3, 0
	s_cmp_lg_u32 s8, s9
	s_waitcnt lgkmcnt(0)
	v_mul_hi_u32 v11, s21, v10
	s_delay_alu instid0(VALU_DEP_1) | instskip(NEXT) | instid1(VALU_DEP_1)
	v_add_nc_u32_e32 v11, v10, v11
	v_lshrrev_b32_e32 v11, s22, v11
	s_delay_alu instid0(VALU_DEP_1) | instskip(SKIP_1) | instid1(VALU_DEP_2)
	v_mul_hi_u32 v12, s24, v11
	v_mul_lo_u32 v15, v11, s20
	v_add_nc_u32_e32 v12, v11, v12
	s_delay_alu instid0(VALU_DEP_2) | instskip(NEXT) | instid1(VALU_DEP_2)
	v_sub_nc_u32_e32 v15, v10, v15
	v_lshrrev_b32_e32 v12, s25, v12
	s_delay_alu instid0(VALU_DEP_2) | instskip(NEXT) | instid1(VALU_DEP_2)
	v_mul_lo_u32 v15, v15, s28
	v_mul_hi_u32 v13, s27, v12
	v_mul_lo_u32 v16, v12, s23
	s_delay_alu instid0(VALU_DEP_2) | instskip(NEXT) | instid1(VALU_DEP_2)
	v_add_nc_u32_e32 v13, v12, v13
	v_sub_nc_u32_e32 v11, v11, v16
	s_delay_alu instid0(VALU_DEP_2) | instskip(NEXT) | instid1(VALU_DEP_2)
	v_lshrrev_b32_e32 v13, s12, v13
	v_mul_lo_u32 v11, v11, s29
	s_delay_alu instid0(VALU_DEP_2) | instskip(NEXT) | instid1(VALU_DEP_2)
	v_mul_hi_u32 v14, s14, v13
	v_add3_u32 v5, v15, v5, v11
	s_delay_alu instid0(VALU_DEP_2) | instskip(NEXT) | instid1(VALU_DEP_1)
	v_add_nc_u32_e32 v14, v13, v14
	v_lshrrev_b32_e32 v10, s15, v14
	v_mul_lo_u32 v14, v13, s26
	s_delay_alu instid0(VALU_DEP_2) | instskip(NEXT) | instid1(VALU_DEP_2)
	v_mul_lo_u32 v17, v10, s13
	v_sub_nc_u32_e32 v12, v12, v14
	s_delay_alu instid0(VALU_DEP_2) | instskip(NEXT) | instid1(VALU_DEP_2)
	v_sub_nc_u32_e32 v13, v13, v17
	v_mul_lo_u32 v12, v12, s30
	s_delay_alu instid0(VALU_DEP_2) | instskip(NEXT) | instid1(VALU_DEP_1)
	v_mul_lo_u32 v13, v13, s31
	v_add3_u32 v5, v12, v5, v13
	s_cbranch_scc1 .LBB93_85
; %bb.86:
	s_and_b32 s7, s7, 3
	s_delay_alu instid0(SALU_CYCLE_1)
	s_cmp_eq_u32 s7, 0
	s_cbranch_scc0 .LBB93_89
	s_branch .LBB93_91
.LBB93_87:
	s_mov_b32 s6, -1
                                        ; implicit-def: $vgpr5
	s_branch .LBB93_91
.LBB93_88:
	v_mov_b32_e32 v10, v9
	s_and_b32 s7, s7, 3
	s_delay_alu instid0(SALU_CYCLE_1)
	s_cmp_eq_u32 s7, 0
	s_cbranch_scc1 .LBB93_91
.LBB93_89:
	s_lshl_b32 s2, s8, 2
	s_mul_i32 s4, s8, 12
	s_add_u32 s2, s2, s0
	s_addc_u32 s3, 0, s1
	s_add_u32 s2, s2, 0xc4
	s_addc_u32 s3, s3, 0
	;; [unrolled: 2-line block ×3, first 2 shown]
	.p2align	6
.LBB93_90:                              ; =>This Inner Loop Header: Depth=1
	s_clause 0x1
	s_load_b64 s[8:9], s[4:5], 0x4
	s_load_b32 s10, s[4:5], 0xc
	s_add_u32 s4, s4, 12
	s_addc_u32 s5, s5, 0
	s_waitcnt lgkmcnt(0)
	v_mul_hi_u32 v11, s9, v10
	s_load_b32 s9, s[2:3], 0x0
	s_add_u32 s2, s2, 4
	s_addc_u32 s3, s3, 0
	s_add_i32 s7, s7, -1
	s_delay_alu instid0(SALU_CYCLE_1) | instskip(NEXT) | instid1(VALU_DEP_1)
	s_cmp_lg_u32 s7, 0
	v_add_nc_u32_e32 v11, v10, v11
	s_delay_alu instid0(VALU_DEP_1) | instskip(NEXT) | instid1(VALU_DEP_1)
	v_lshrrev_b32_e32 v13, s10, v11
	v_mul_lo_u32 v11, v13, s8
	s_delay_alu instid0(VALU_DEP_1) | instskip(SKIP_1) | instid1(VALU_DEP_1)
	v_sub_nc_u32_e32 v10, v10, v11
	s_waitcnt lgkmcnt(0)
	v_mad_u64_u32 v[11:12], null, v10, s9, v[5:6]
	s_delay_alu instid0(VALU_DEP_1)
	v_dual_mov_b32 v10, v13 :: v_dual_mov_b32 v5, v11
	s_cbranch_scc1 .LBB93_90
.LBB93_91:
	s_and_not1_b32 vcc_lo, exec_lo, s6
	s_cbranch_vccnz .LBB93_94
; %bb.92:
	s_clause 0x1
	s_load_b128 s[4:7], s[0:1], 0x4
	s_load_b32 s2, s[0:1], 0xc4
	s_cmp_lt_u32 s18, 2
	s_waitcnt lgkmcnt(0)
	v_mul_hi_u32 v5, s5, v9
	s_delay_alu instid0(VALU_DEP_1) | instskip(NEXT) | instid1(VALU_DEP_1)
	v_add_nc_u32_e32 v5, v9, v5
	v_lshrrev_b32_e32 v10, s6, v5
	s_delay_alu instid0(VALU_DEP_1) | instskip(NEXT) | instid1(VALU_DEP_1)
	v_mul_lo_u32 v5, v10, s4
	v_sub_nc_u32_e32 v5, v9, v5
	s_delay_alu instid0(VALU_DEP_1)
	v_mul_lo_u32 v5, v5, s2
	s_cbranch_scc1 .LBB93_94
; %bb.93:
	s_clause 0x1
	s_load_b128 s[4:7], s[0:1], 0x10
	s_load_b32 s2, s[0:1], 0xc8
	s_waitcnt lgkmcnt(0)
	v_mul_hi_u32 v9, s5, v10
	s_delay_alu instid0(VALU_DEP_1) | instskip(NEXT) | instid1(VALU_DEP_1)
	v_add_nc_u32_e32 v9, v10, v9
	v_lshrrev_b32_e32 v9, s6, v9
	s_delay_alu instid0(VALU_DEP_1) | instskip(NEXT) | instid1(VALU_DEP_1)
	v_mul_lo_u32 v9, v9, s4
	v_sub_nc_u32_e32 v11, v10, v9
	s_delay_alu instid0(VALU_DEP_1) | instskip(NEXT) | instid1(VALU_DEP_1)
	v_mad_u64_u32 v[9:10], null, v11, s2, v[5:6]
	v_mov_b32_e32 v5, v9
.LBB93_94:
	v_cmp_ne_u32_e32 vcc_lo, 1, v7
	v_add_nc_u32_e32 v9, 0x300, v6
	s_cbranch_vccnz .LBB93_100
; %bb.95:
	v_mov_b32_e32 v6, 0
	s_cmp_eq_u32 s18, 0
	s_mov_b32 s6, 0
	s_cbranch_scc1 .LBB93_104
; %bb.96:
	s_min_u32 s7, s19, 15
	v_mov_b32_e32 v6, 0
	s_add_i32 s7, s7, 1
	s_cmp_eq_u32 s19, 2
	s_mov_b32 s8, 0
	s_cbranch_scc1 .LBB93_101
; %bb.97:
	v_mov_b32_e32 v6, 0
	v_mov_b32_e32 v10, v9
	s_add_u32 s2, s0, 0xc4
	s_addc_u32 s3, s1, 0
	s_and_b32 s8, s7, 28
	s_mov_b32 s9, 0
	s_mov_b64 s[4:5], s[0:1]
.LBB93_98:                              ; =>This Inner Loop Header: Depth=1
	s_clause 0x1
	s_load_b256 s[20:27], s[4:5], 0x4
	s_load_b128 s[12:15], s[4:5], 0x24
	s_load_b128 s[28:31], s[2:3], 0x0
	s_add_u32 s4, s4, 48
	s_addc_u32 s5, s5, 0
	s_add_i32 s9, s9, 4
	s_add_u32 s2, s2, 16
	s_addc_u32 s3, s3, 0
	s_cmp_lg_u32 s8, s9
	s_waitcnt lgkmcnt(0)
	v_mul_hi_u32 v11, s21, v10
	s_delay_alu instid0(VALU_DEP_1) | instskip(NEXT) | instid1(VALU_DEP_1)
	v_add_nc_u32_e32 v11, v10, v11
	v_lshrrev_b32_e32 v11, s22, v11
	s_delay_alu instid0(VALU_DEP_1) | instskip(SKIP_1) | instid1(VALU_DEP_2)
	v_mul_hi_u32 v12, s24, v11
	v_mul_lo_u32 v15, v11, s20
	v_add_nc_u32_e32 v12, v11, v12
	s_delay_alu instid0(VALU_DEP_2) | instskip(NEXT) | instid1(VALU_DEP_2)
	v_sub_nc_u32_e32 v15, v10, v15
	v_lshrrev_b32_e32 v12, s25, v12
	s_delay_alu instid0(VALU_DEP_2) | instskip(NEXT) | instid1(VALU_DEP_2)
	v_mul_lo_u32 v15, v15, s28
	v_mul_hi_u32 v13, s27, v12
	v_mul_lo_u32 v16, v12, s23
	s_delay_alu instid0(VALU_DEP_2) | instskip(NEXT) | instid1(VALU_DEP_2)
	v_add_nc_u32_e32 v13, v12, v13
	v_sub_nc_u32_e32 v11, v11, v16
	s_delay_alu instid0(VALU_DEP_2) | instskip(NEXT) | instid1(VALU_DEP_2)
	v_lshrrev_b32_e32 v13, s12, v13
	v_mul_lo_u32 v11, v11, s29
	s_delay_alu instid0(VALU_DEP_2) | instskip(NEXT) | instid1(VALU_DEP_2)
	v_mul_hi_u32 v14, s14, v13
	v_add3_u32 v6, v15, v6, v11
	s_delay_alu instid0(VALU_DEP_2) | instskip(NEXT) | instid1(VALU_DEP_1)
	v_add_nc_u32_e32 v14, v13, v14
	v_lshrrev_b32_e32 v10, s15, v14
	v_mul_lo_u32 v14, v13, s26
	s_delay_alu instid0(VALU_DEP_2) | instskip(NEXT) | instid1(VALU_DEP_2)
	v_mul_lo_u32 v17, v10, s13
	v_sub_nc_u32_e32 v12, v12, v14
	s_delay_alu instid0(VALU_DEP_2) | instskip(NEXT) | instid1(VALU_DEP_2)
	v_sub_nc_u32_e32 v13, v13, v17
	v_mul_lo_u32 v12, v12, s30
	s_delay_alu instid0(VALU_DEP_2) | instskip(NEXT) | instid1(VALU_DEP_1)
	v_mul_lo_u32 v13, v13, s31
	v_add3_u32 v6, v12, v6, v13
	s_cbranch_scc1 .LBB93_98
; %bb.99:
	s_and_b32 s7, s7, 3
	s_delay_alu instid0(SALU_CYCLE_1)
	s_cmp_eq_u32 s7, 0
	s_cbranch_scc0 .LBB93_102
	s_branch .LBB93_104
.LBB93_100:
	s_mov_b32 s6, -1
                                        ; implicit-def: $vgpr6
	s_branch .LBB93_104
.LBB93_101:
	v_mov_b32_e32 v10, v9
	s_and_b32 s7, s7, 3
	s_delay_alu instid0(SALU_CYCLE_1)
	s_cmp_eq_u32 s7, 0
	s_cbranch_scc1 .LBB93_104
.LBB93_102:
	s_lshl_b32 s2, s8, 2
	s_mul_i32 s4, s8, 12
	s_add_u32 s2, s2, s0
	s_addc_u32 s3, 0, s1
	s_add_u32 s2, s2, 0xc4
	s_addc_u32 s3, s3, 0
	;; [unrolled: 2-line block ×3, first 2 shown]
	.p2align	6
.LBB93_103:                             ; =>This Inner Loop Header: Depth=1
	s_clause 0x1
	s_load_b64 s[8:9], s[4:5], 0x4
	s_load_b32 s10, s[4:5], 0xc
	s_add_u32 s4, s4, 12
	s_addc_u32 s5, s5, 0
	s_waitcnt lgkmcnt(0)
	v_mul_hi_u32 v11, s9, v10
	s_load_b32 s9, s[2:3], 0x0
	s_add_u32 s2, s2, 4
	s_addc_u32 s3, s3, 0
	s_add_i32 s7, s7, -1
	s_delay_alu instid0(SALU_CYCLE_1) | instskip(NEXT) | instid1(VALU_DEP_1)
	s_cmp_lg_u32 s7, 0
	v_add_nc_u32_e32 v11, v10, v11
	s_delay_alu instid0(VALU_DEP_1) | instskip(NEXT) | instid1(VALU_DEP_1)
	v_lshrrev_b32_e32 v13, s10, v11
	v_mul_lo_u32 v11, v13, s8
	s_delay_alu instid0(VALU_DEP_1) | instskip(SKIP_1) | instid1(VALU_DEP_1)
	v_sub_nc_u32_e32 v10, v10, v11
	s_waitcnt lgkmcnt(0)
	v_mad_u64_u32 v[11:12], null, v10, s9, v[6:7]
	v_mov_b32_e32 v10, v13
	s_delay_alu instid0(VALU_DEP_2)
	v_mov_b32_e32 v6, v11
	s_cbranch_scc1 .LBB93_103
.LBB93_104:
	s_and_not1_b32 vcc_lo, exec_lo, s6
	s_cbranch_vccnz .LBB93_107
; %bb.105:
	s_clause 0x1
	s_load_b128 s[4:7], s[0:1], 0x4
	s_load_b32 s2, s[0:1], 0xc4
	s_cmp_lt_u32 s18, 2
	s_waitcnt lgkmcnt(0)
	v_mul_hi_u32 v6, s5, v9
	s_delay_alu instid0(VALU_DEP_1) | instskip(NEXT) | instid1(VALU_DEP_1)
	v_add_nc_u32_e32 v6, v9, v6
	v_lshrrev_b32_e32 v10, s6, v6
	s_delay_alu instid0(VALU_DEP_1) | instskip(NEXT) | instid1(VALU_DEP_1)
	v_mul_lo_u32 v6, v10, s4
	v_sub_nc_u32_e32 v6, v9, v6
	s_delay_alu instid0(VALU_DEP_1)
	v_mul_lo_u32 v6, v6, s2
	s_cbranch_scc1 .LBB93_107
; %bb.106:
	s_clause 0x1
	s_load_b128 s[4:7], s[0:1], 0x10
	s_load_b32 s2, s[0:1], 0xc8
	s_waitcnt lgkmcnt(0)
	v_mul_hi_u32 v9, s5, v10
	s_delay_alu instid0(VALU_DEP_1) | instskip(NEXT) | instid1(VALU_DEP_1)
	v_add_nc_u32_e32 v9, v10, v9
	v_lshrrev_b32_e32 v9, s6, v9
	s_delay_alu instid0(VALU_DEP_1) | instskip(NEXT) | instid1(VALU_DEP_1)
	v_mul_lo_u32 v9, v9, s4
	v_sub_nc_u32_e32 v11, v10, v9
	s_delay_alu instid0(VALU_DEP_1) | instskip(NEXT) | instid1(VALU_DEP_1)
	v_mad_u64_u32 v[9:10], null, v11, s2, v[6:7]
	v_mov_b32_e32 v6, v9
.LBB93_107:
	v_cmp_ne_u32_e32 vcc_lo, 1, v7
	s_cbranch_vccnz .LBB93_113
; %bb.108:
	v_mov_b32_e32 v7, 0
	s_cmp_eq_u32 s18, 0
	s_mov_b32 s6, 0
	s_cbranch_scc1 .LBB93_117
; %bb.109:
	s_min_u32 s7, s19, 15
	v_mov_b32_e32 v7, 0
	s_add_i32 s7, s7, 1
	s_cmp_eq_u32 s19, 2
	s_mov_b32 s8, 0
	s_cbranch_scc1 .LBB93_114
; %bb.110:
	v_mov_b32_e32 v7, 0
	v_mov_b32_e32 v9, v8
	s_add_u32 s2, s0, 0xc4
	s_addc_u32 s3, s1, 0
	s_and_b32 s8, s7, 28
	s_mov_b32 s9, 0
	s_mov_b64 s[4:5], s[0:1]
.LBB93_111:                             ; =>This Inner Loop Header: Depth=1
	s_clause 0x1
	s_load_b256 s[20:27], s[4:5], 0x4
	s_load_b128 s[12:15], s[4:5], 0x24
	s_load_b128 s[28:31], s[2:3], 0x0
	s_add_u32 s4, s4, 48
	s_addc_u32 s5, s5, 0
	s_add_i32 s9, s9, 4
	s_add_u32 s2, s2, 16
	s_addc_u32 s3, s3, 0
	s_cmp_lg_u32 s8, s9
	s_waitcnt lgkmcnt(0)
	v_mul_hi_u32 v10, s21, v9
	s_delay_alu instid0(VALU_DEP_1) | instskip(NEXT) | instid1(VALU_DEP_1)
	v_add_nc_u32_e32 v10, v9, v10
	v_lshrrev_b32_e32 v10, s22, v10
	s_delay_alu instid0(VALU_DEP_1) | instskip(SKIP_1) | instid1(VALU_DEP_2)
	v_mul_hi_u32 v11, s24, v10
	v_mul_lo_u32 v14, v10, s20
	v_add_nc_u32_e32 v11, v10, v11
	s_delay_alu instid0(VALU_DEP_2) | instskip(NEXT) | instid1(VALU_DEP_2)
	v_sub_nc_u32_e32 v14, v9, v14
	v_lshrrev_b32_e32 v11, s25, v11
	s_delay_alu instid0(VALU_DEP_2) | instskip(NEXT) | instid1(VALU_DEP_2)
	v_mul_lo_u32 v14, v14, s28
	v_mul_hi_u32 v12, s27, v11
	v_mul_lo_u32 v15, v11, s23
	s_delay_alu instid0(VALU_DEP_2) | instskip(NEXT) | instid1(VALU_DEP_2)
	v_add_nc_u32_e32 v12, v11, v12
	v_sub_nc_u32_e32 v10, v10, v15
	s_delay_alu instid0(VALU_DEP_2) | instskip(NEXT) | instid1(VALU_DEP_2)
	v_lshrrev_b32_e32 v12, s12, v12
	v_mul_lo_u32 v10, v10, s29
	s_delay_alu instid0(VALU_DEP_2) | instskip(NEXT) | instid1(VALU_DEP_2)
	v_mul_hi_u32 v13, s14, v12
	v_add3_u32 v7, v14, v7, v10
	s_delay_alu instid0(VALU_DEP_2) | instskip(NEXT) | instid1(VALU_DEP_1)
	v_add_nc_u32_e32 v13, v12, v13
	v_lshrrev_b32_e32 v9, s15, v13
	v_mul_lo_u32 v13, v12, s26
	s_delay_alu instid0(VALU_DEP_2) | instskip(NEXT) | instid1(VALU_DEP_2)
	v_mul_lo_u32 v16, v9, s13
	v_sub_nc_u32_e32 v11, v11, v13
	s_delay_alu instid0(VALU_DEP_2) | instskip(NEXT) | instid1(VALU_DEP_2)
	v_sub_nc_u32_e32 v12, v12, v16
	v_mul_lo_u32 v11, v11, s30
	s_delay_alu instid0(VALU_DEP_2) | instskip(NEXT) | instid1(VALU_DEP_1)
	v_mul_lo_u32 v12, v12, s31
	v_add3_u32 v7, v11, v7, v12
	s_cbranch_scc1 .LBB93_111
; %bb.112:
	s_and_b32 s7, s7, 3
	s_delay_alu instid0(SALU_CYCLE_1)
	s_cmp_eq_u32 s7, 0
	s_cbranch_scc0 .LBB93_115
	s_branch .LBB93_117
.LBB93_113:
	s_mov_b32 s6, -1
                                        ; implicit-def: $vgpr7
	s_branch .LBB93_117
.LBB93_114:
	v_mov_b32_e32 v9, v8
	s_and_b32 s7, s7, 3
	s_delay_alu instid0(SALU_CYCLE_1)
	s_cmp_eq_u32 s7, 0
	s_cbranch_scc1 .LBB93_117
.LBB93_115:
	s_lshl_b32 s2, s8, 2
	s_mul_i32 s4, s8, 12
	s_add_u32 s2, s2, s0
	s_addc_u32 s3, 0, s1
	s_add_u32 s2, s2, 0xc4
	s_addc_u32 s3, s3, 0
	;; [unrolled: 2-line block ×3, first 2 shown]
	.p2align	6
.LBB93_116:                             ; =>This Inner Loop Header: Depth=1
	s_clause 0x1
	s_load_b64 s[8:9], s[4:5], 0x4
	s_load_b32 s10, s[4:5], 0xc
	s_add_u32 s4, s4, 12
	s_addc_u32 s5, s5, 0
	s_waitcnt lgkmcnt(0)
	v_mul_hi_u32 v10, s9, v9
	s_load_b32 s9, s[2:3], 0x0
	s_add_u32 s2, s2, 4
	s_addc_u32 s3, s3, 0
	s_add_i32 s7, s7, -1
	s_delay_alu instid0(SALU_CYCLE_1) | instskip(NEXT) | instid1(VALU_DEP_1)
	s_cmp_lg_u32 s7, 0
	v_add_nc_u32_e32 v10, v9, v10
	s_delay_alu instid0(VALU_DEP_1) | instskip(NEXT) | instid1(VALU_DEP_1)
	v_lshrrev_b32_e32 v12, s10, v10
	v_mul_lo_u32 v10, v12, s8
	s_delay_alu instid0(VALU_DEP_1) | instskip(SKIP_1) | instid1(VALU_DEP_1)
	v_sub_nc_u32_e32 v9, v9, v10
	s_waitcnt lgkmcnt(0)
	v_mad_u64_u32 v[10:11], null, v9, s9, v[7:8]
	v_mov_b32_e32 v9, v12
	s_delay_alu instid0(VALU_DEP_2)
	v_mov_b32_e32 v7, v10
	s_cbranch_scc1 .LBB93_116
.LBB93_117:
	s_and_not1_b32 vcc_lo, exec_lo, s6
	s_cbranch_vccnz .LBB93_120
; %bb.118:
	s_clause 0x1
	s_load_b128 s[4:7], s[0:1], 0x4
	s_load_b32 s2, s[0:1], 0xc4
	s_cmp_lt_u32 s18, 2
	s_waitcnt lgkmcnt(0)
	v_mul_hi_u32 v7, s5, v8
	s_delay_alu instid0(VALU_DEP_1) | instskip(NEXT) | instid1(VALU_DEP_1)
	v_add_nc_u32_e32 v7, v8, v7
	v_lshrrev_b32_e32 v9, s6, v7
	s_delay_alu instid0(VALU_DEP_1) | instskip(NEXT) | instid1(VALU_DEP_1)
	v_mul_lo_u32 v7, v9, s4
	v_sub_nc_u32_e32 v7, v8, v7
	s_delay_alu instid0(VALU_DEP_1)
	v_mul_lo_u32 v7, v7, s2
	s_cbranch_scc1 .LBB93_120
; %bb.119:
	s_clause 0x1
	s_load_b128 s[4:7], s[0:1], 0x10
	s_load_b32 s2, s[0:1], 0xc8
	s_waitcnt lgkmcnt(0)
	v_mul_hi_u32 v8, s5, v9
	s_delay_alu instid0(VALU_DEP_1) | instskip(NEXT) | instid1(VALU_DEP_1)
	v_add_nc_u32_e32 v8, v9, v8
	v_lshrrev_b32_e32 v8, s6, v8
	s_delay_alu instid0(VALU_DEP_1) | instskip(NEXT) | instid1(VALU_DEP_1)
	v_mul_lo_u32 v8, v8, s4
	v_sub_nc_u32_e32 v10, v9, v8
	s_delay_alu instid0(VALU_DEP_1) | instskip(NEXT) | instid1(VALU_DEP_1)
	v_mad_u64_u32 v[8:9], null, v10, s2, v[7:8]
	v_mov_b32_e32 v7, v8
.LBB93_120:
	s_clause 0x1
	s_load_b32 s2, s[0:1], 0x110
	s_load_b64 s[0:1], s[0:1], 0x108
	s_waitcnt lgkmcnt(0)
	v_mov_b32_e32 v8, s2
	s_clause 0x7
	global_store_b8 v0, v8, s[0:1]
	global_store_b8 v1, v8, s[0:1]
	;; [unrolled: 1-line block ×8, first 2 shown]
	s_nop 0
	s_sendmsg sendmsg(MSG_DEALLOC_VGPRS)
	s_endpgm
.LBB93_121:
	v_mov_b32_e32 v1, v6
.LBB93_122:
	s_and_b32 s29, s29, 3
	s_delay_alu instid0(SALU_CYCLE_1)
	s_cmp_eq_u32 s29, 0
	s_cbranch_scc1 .LBB93_125
; %bb.123:
	s_lshl_b32 s14, s28, 2
	s_mul_i32 s16, s28, 12
	s_add_u32 s14, s14, s0
	s_addc_u32 s15, s1, 0
	s_add_u32 s14, s14, 0xc4
	s_addc_u32 s15, s15, 0
	;; [unrolled: 2-line block ×3, first 2 shown]
	.p2align	6
.LBB93_124:                             ; =>This Inner Loop Header: Depth=1
	s_clause 0x1
	s_load_b64 s[30:31], s[16:17], 0x4
	s_load_b32 s28, s[16:17], 0xc
	s_add_u32 s16, s16, 12
	s_addc_u32 s17, s17, 0
	s_waitcnt lgkmcnt(0)
	v_mul_hi_u32 v2, s31, v1
	s_load_b32 s31, s[14:15], 0x0
	s_add_u32 s14, s14, 4
	s_addc_u32 s15, s15, 0
	s_add_i32 s29, s29, -1
	s_delay_alu instid0(SALU_CYCLE_1) | instskip(NEXT) | instid1(VALU_DEP_1)
	s_cmp_lg_u32 s29, 0
	v_add_nc_u32_e32 v2, v1, v2
	s_delay_alu instid0(VALU_DEP_1) | instskip(NEXT) | instid1(VALU_DEP_1)
	v_lshrrev_b32_e32 v4, s28, v2
	v_mul_lo_u32 v2, v4, s30
	s_delay_alu instid0(VALU_DEP_1) | instskip(SKIP_1) | instid1(VALU_DEP_1)
	v_sub_nc_u32_e32 v1, v1, v2
	s_waitcnt lgkmcnt(0)
	v_mad_u64_u32 v[2:3], null, v1, s31, v[0:1]
	s_delay_alu instid0(VALU_DEP_1)
	v_dual_mov_b32 v1, v4 :: v_dual_mov_b32 v0, v2
	s_cbranch_scc1 .LBB93_124
.LBB93_125:
	s_cbranch_execnz .LBB93_128
.LBB93_126:
	s_waitcnt lgkmcnt(0)
	v_mul_hi_u32 v0, s5, v6
	s_and_not1_b32 vcc_lo, exec_lo, s23
	s_delay_alu instid0(VALU_DEP_1) | instskip(NEXT) | instid1(VALU_DEP_1)
	v_add_nc_u32_e32 v0, v6, v0
	v_lshrrev_b32_e32 v1, s6, v0
	s_delay_alu instid0(VALU_DEP_1) | instskip(NEXT) | instid1(VALU_DEP_1)
	v_mul_lo_u32 v0, v1, s4
	v_sub_nc_u32_e32 v0, v6, v0
	s_delay_alu instid0(VALU_DEP_1)
	v_mul_lo_u32 v0, v0, s8
	s_cbranch_vccnz .LBB93_128
; %bb.127:
	v_mul_hi_u32 v2, s10, v1
	s_delay_alu instid0(VALU_DEP_1) | instskip(NEXT) | instid1(VALU_DEP_1)
	v_add_nc_u32_e32 v2, v1, v2
	v_lshrrev_b32_e32 v2, s11, v2
	s_delay_alu instid0(VALU_DEP_1) | instskip(NEXT) | instid1(VALU_DEP_1)
	v_mul_lo_u32 v2, v2, s7
	v_sub_nc_u32_e32 v3, v1, v2
	s_delay_alu instid0(VALU_DEP_1) | instskip(NEXT) | instid1(VALU_DEP_1)
	v_mad_u64_u32 v[1:2], null, v3, s9, v[0:1]
	v_mov_b32_e32 v0, v1
.LBB93_128:
	s_waitcnt lgkmcnt(0)
	v_dual_mov_b32 v1, s22 :: v_dual_add_nc_u32 v6, 0x80, v6
	global_store_b8 v0, v1, s[2:3]
	s_or_b32 exec_lo, exec_lo, s27
	s_delay_alu instid0(SALU_CYCLE_1)
	s_mov_b32 s27, exec_lo
	v_cmpx_gt_i32_e64 s24, v6
	s_cbranch_execnz .LBB93_15
.LBB93_129:
	s_or_b32 exec_lo, exec_lo, s27
	s_delay_alu instid0(SALU_CYCLE_1)
	s_mov_b32 s27, exec_lo
	v_cmpx_gt_i32_e64 s24, v6
	s_cbranch_execz .LBB93_144
.LBB93_130:
	s_and_not1_b32 vcc_lo, exec_lo, s20
	s_cbranch_vccnz .LBB93_135
; %bb.131:
	v_mov_b32_e32 v0, 0
	s_and_not1_b32 vcc_lo, exec_lo, s26
	s_cbranch_vccnz .LBB93_155
; %bb.132:
	s_add_i32 s29, s25, 1
	s_cmp_eq_u32 s19, 2
	s_mov_b32 s28, 0
	s_cbranch_scc1 .LBB93_151
; %bb.133:
	v_dual_mov_b32 v0, 0 :: v_dual_mov_b32 v1, v6
	s_and_b32 s28, s29, 28
	s_mov_b32 s30, 0
	s_mov_b64 s[14:15], s[0:1]
	s_mov_b64 s[16:17], s[12:13]
.LBB93_134:                             ; =>This Inner Loop Header: Depth=1
	s_clause 0x1
	s_load_b256 s[36:43], s[14:15], 0x4
	s_load_b128 s[44:47], s[14:15], 0x24
	s_load_b128 s[48:51], s[16:17], 0x0
	s_add_u32 s14, s14, 48
	s_addc_u32 s15, s15, 0
	s_add_i32 s30, s30, 4
	s_add_u32 s16, s16, 16
	s_addc_u32 s17, s17, 0
	s_cmp_eq_u32 s28, s30
	s_waitcnt lgkmcnt(0)
	v_mul_hi_u32 v2, s37, v1
	s_delay_alu instid0(VALU_DEP_1) | instskip(NEXT) | instid1(VALU_DEP_1)
	v_add_nc_u32_e32 v2, v1, v2
	v_lshrrev_b32_e32 v2, s38, v2
	s_delay_alu instid0(VALU_DEP_1) | instskip(SKIP_1) | instid1(VALU_DEP_2)
	v_mul_hi_u32 v3, s40, v2
	v_mul_lo_u32 v7, v2, s36
	v_add_nc_u32_e32 v3, v2, v3
	s_delay_alu instid0(VALU_DEP_2) | instskip(NEXT) | instid1(VALU_DEP_2)
	v_sub_nc_u32_e32 v7, v1, v7
	v_lshrrev_b32_e32 v3, s41, v3
	s_delay_alu instid0(VALU_DEP_2) | instskip(NEXT) | instid1(VALU_DEP_2)
	v_mul_lo_u32 v7, v7, s48
	v_mul_hi_u32 v4, s43, v3
	v_mul_lo_u32 v8, v3, s39
	s_delay_alu instid0(VALU_DEP_2) | instskip(NEXT) | instid1(VALU_DEP_2)
	v_add_nc_u32_e32 v4, v3, v4
	v_sub_nc_u32_e32 v2, v2, v8
	s_delay_alu instid0(VALU_DEP_2) | instskip(NEXT) | instid1(VALU_DEP_2)
	v_lshrrev_b32_e32 v4, s44, v4
	v_mul_lo_u32 v2, v2, s49
	s_delay_alu instid0(VALU_DEP_2) | instskip(NEXT) | instid1(VALU_DEP_2)
	v_mul_hi_u32 v5, s46, v4
	v_add3_u32 v0, v7, v0, v2
	s_delay_alu instid0(VALU_DEP_2) | instskip(NEXT) | instid1(VALU_DEP_1)
	v_add_nc_u32_e32 v5, v4, v5
	v_lshrrev_b32_e32 v1, s47, v5
	v_mul_lo_u32 v5, v4, s42
	s_delay_alu instid0(VALU_DEP_2) | instskip(NEXT) | instid1(VALU_DEP_2)
	v_mul_lo_u32 v9, v1, s45
	v_sub_nc_u32_e32 v3, v3, v5
	s_delay_alu instid0(VALU_DEP_2) | instskip(NEXT) | instid1(VALU_DEP_2)
	v_sub_nc_u32_e32 v4, v4, v9
	v_mul_lo_u32 v3, v3, s50
	s_delay_alu instid0(VALU_DEP_2) | instskip(NEXT) | instid1(VALU_DEP_1)
	v_mul_lo_u32 v4, v4, s51
	v_add3_u32 v0, v3, v0, v4
	s_cbranch_scc0 .LBB93_134
	s_branch .LBB93_152
.LBB93_135:
                                        ; implicit-def: $vgpr0
	s_branch .LBB93_156
.LBB93_136:
	v_mov_b32_e32 v1, v6
.LBB93_137:
	s_and_b32 s29, s29, 3
	s_delay_alu instid0(SALU_CYCLE_1)
	s_cmp_eq_u32 s29, 0
	s_cbranch_scc1 .LBB93_140
; %bb.138:
	s_lshl_b32 s14, s28, 2
	s_mul_i32 s16, s28, 12
	s_add_u32 s14, s14, s0
	s_addc_u32 s15, s1, 0
	s_add_u32 s14, s14, 0xc4
	s_addc_u32 s15, s15, 0
	;; [unrolled: 2-line block ×3, first 2 shown]
	.p2align	6
.LBB93_139:                             ; =>This Inner Loop Header: Depth=1
	s_clause 0x1
	s_load_b64 s[30:31], s[16:17], 0x4
	s_load_b32 s28, s[16:17], 0xc
	s_add_u32 s16, s16, 12
	s_addc_u32 s17, s17, 0
	s_waitcnt lgkmcnt(0)
	v_mul_hi_u32 v2, s31, v1
	s_load_b32 s31, s[14:15], 0x0
	s_add_u32 s14, s14, 4
	s_addc_u32 s15, s15, 0
	s_add_i32 s29, s29, -1
	s_delay_alu instid0(SALU_CYCLE_1) | instskip(NEXT) | instid1(VALU_DEP_1)
	s_cmp_lg_u32 s29, 0
	v_add_nc_u32_e32 v2, v1, v2
	s_delay_alu instid0(VALU_DEP_1) | instskip(NEXT) | instid1(VALU_DEP_1)
	v_lshrrev_b32_e32 v4, s28, v2
	v_mul_lo_u32 v2, v4, s30
	s_delay_alu instid0(VALU_DEP_1) | instskip(SKIP_1) | instid1(VALU_DEP_1)
	v_sub_nc_u32_e32 v1, v1, v2
	s_waitcnt lgkmcnt(0)
	v_mad_u64_u32 v[2:3], null, v1, s31, v[0:1]
	s_delay_alu instid0(VALU_DEP_1)
	v_dual_mov_b32 v1, v4 :: v_dual_mov_b32 v0, v2
	s_cbranch_scc1 .LBB93_139
.LBB93_140:
	s_cbranch_execnz .LBB93_143
.LBB93_141:
	s_waitcnt lgkmcnt(0)
	v_mul_hi_u32 v0, s5, v6
	s_and_not1_b32 vcc_lo, exec_lo, s23
	s_delay_alu instid0(VALU_DEP_1) | instskip(NEXT) | instid1(VALU_DEP_1)
	v_add_nc_u32_e32 v0, v6, v0
	v_lshrrev_b32_e32 v1, s6, v0
	s_delay_alu instid0(VALU_DEP_1) | instskip(NEXT) | instid1(VALU_DEP_1)
	v_mul_lo_u32 v0, v1, s4
	v_sub_nc_u32_e32 v0, v6, v0
	s_delay_alu instid0(VALU_DEP_1)
	v_mul_lo_u32 v0, v0, s8
	s_cbranch_vccnz .LBB93_143
; %bb.142:
	v_mul_hi_u32 v2, s10, v1
	s_delay_alu instid0(VALU_DEP_1) | instskip(NEXT) | instid1(VALU_DEP_1)
	v_add_nc_u32_e32 v2, v1, v2
	v_lshrrev_b32_e32 v2, s11, v2
	s_delay_alu instid0(VALU_DEP_1) | instskip(NEXT) | instid1(VALU_DEP_1)
	v_mul_lo_u32 v2, v2, s7
	v_sub_nc_u32_e32 v3, v1, v2
	s_delay_alu instid0(VALU_DEP_1) | instskip(NEXT) | instid1(VALU_DEP_1)
	v_mad_u64_u32 v[1:2], null, v3, s9, v[0:1]
	v_mov_b32_e32 v0, v1
.LBB93_143:
	s_waitcnt lgkmcnt(0)
	v_dual_mov_b32 v1, s22 :: v_dual_add_nc_u32 v6, 0x80, v6
	global_store_b8 v0, v1, s[2:3]
	s_or_b32 exec_lo, exec_lo, s27
	s_delay_alu instid0(SALU_CYCLE_1)
	s_mov_b32 s27, exec_lo
	v_cmpx_gt_i32_e64 s24, v6
	s_cbranch_execnz .LBB93_130
.LBB93_144:
	s_or_b32 exec_lo, exec_lo, s27
	s_delay_alu instid0(SALU_CYCLE_1)
	s_mov_b32 s27, exec_lo
	v_cmpx_gt_i32_e64 s24, v6
	s_cbranch_execz .LBB93_159
.LBB93_145:
	s_and_not1_b32 vcc_lo, exec_lo, s20
	s_cbranch_vccnz .LBB93_150
; %bb.146:
	v_mov_b32_e32 v0, 0
	s_and_not1_b32 vcc_lo, exec_lo, s26
	s_cbranch_vccnz .LBB93_170
; %bb.147:
	s_add_i32 s29, s25, 1
	s_cmp_eq_u32 s19, 2
	s_mov_b32 s28, 0
	s_cbranch_scc1 .LBB93_166
; %bb.148:
	v_dual_mov_b32 v0, 0 :: v_dual_mov_b32 v1, v6
	s_and_b32 s28, s29, 28
	s_mov_b32 s30, 0
	s_mov_b64 s[14:15], s[0:1]
	s_mov_b64 s[16:17], s[12:13]
.LBB93_149:                             ; =>This Inner Loop Header: Depth=1
	s_clause 0x1
	s_load_b256 s[36:43], s[14:15], 0x4
	s_load_b128 s[44:47], s[14:15], 0x24
	s_load_b128 s[48:51], s[16:17], 0x0
	s_add_u32 s14, s14, 48
	s_addc_u32 s15, s15, 0
	s_add_i32 s30, s30, 4
	s_add_u32 s16, s16, 16
	s_addc_u32 s17, s17, 0
	s_cmp_eq_u32 s28, s30
	s_waitcnt lgkmcnt(0)
	v_mul_hi_u32 v2, s37, v1
	s_delay_alu instid0(VALU_DEP_1) | instskip(NEXT) | instid1(VALU_DEP_1)
	v_add_nc_u32_e32 v2, v1, v2
	v_lshrrev_b32_e32 v2, s38, v2
	s_delay_alu instid0(VALU_DEP_1) | instskip(SKIP_1) | instid1(VALU_DEP_2)
	v_mul_hi_u32 v3, s40, v2
	v_mul_lo_u32 v7, v2, s36
	v_add_nc_u32_e32 v3, v2, v3
	s_delay_alu instid0(VALU_DEP_2) | instskip(NEXT) | instid1(VALU_DEP_2)
	v_sub_nc_u32_e32 v7, v1, v7
	v_lshrrev_b32_e32 v3, s41, v3
	s_delay_alu instid0(VALU_DEP_2) | instskip(NEXT) | instid1(VALU_DEP_2)
	v_mul_lo_u32 v7, v7, s48
	v_mul_hi_u32 v4, s43, v3
	v_mul_lo_u32 v8, v3, s39
	s_delay_alu instid0(VALU_DEP_2) | instskip(NEXT) | instid1(VALU_DEP_2)
	v_add_nc_u32_e32 v4, v3, v4
	v_sub_nc_u32_e32 v2, v2, v8
	s_delay_alu instid0(VALU_DEP_2) | instskip(NEXT) | instid1(VALU_DEP_2)
	v_lshrrev_b32_e32 v4, s44, v4
	v_mul_lo_u32 v2, v2, s49
	s_delay_alu instid0(VALU_DEP_2) | instskip(NEXT) | instid1(VALU_DEP_2)
	v_mul_hi_u32 v5, s46, v4
	v_add3_u32 v0, v7, v0, v2
	s_delay_alu instid0(VALU_DEP_2) | instskip(NEXT) | instid1(VALU_DEP_1)
	v_add_nc_u32_e32 v5, v4, v5
	v_lshrrev_b32_e32 v1, s47, v5
	v_mul_lo_u32 v5, v4, s42
	s_delay_alu instid0(VALU_DEP_2) | instskip(NEXT) | instid1(VALU_DEP_2)
	v_mul_lo_u32 v9, v1, s45
	v_sub_nc_u32_e32 v3, v3, v5
	s_delay_alu instid0(VALU_DEP_2) | instskip(NEXT) | instid1(VALU_DEP_2)
	v_sub_nc_u32_e32 v4, v4, v9
	v_mul_lo_u32 v3, v3, s50
	s_delay_alu instid0(VALU_DEP_2) | instskip(NEXT) | instid1(VALU_DEP_1)
	v_mul_lo_u32 v4, v4, s51
	v_add3_u32 v0, v3, v0, v4
	s_cbranch_scc0 .LBB93_149
	s_branch .LBB93_167
.LBB93_150:
                                        ; implicit-def: $vgpr0
	s_branch .LBB93_171
.LBB93_151:
	v_mov_b32_e32 v1, v6
.LBB93_152:
	s_and_b32 s29, s29, 3
	s_delay_alu instid0(SALU_CYCLE_1)
	s_cmp_eq_u32 s29, 0
	s_cbranch_scc1 .LBB93_155
; %bb.153:
	s_lshl_b32 s14, s28, 2
	s_mul_i32 s16, s28, 12
	s_add_u32 s14, s14, s0
	s_addc_u32 s15, s1, 0
	s_add_u32 s14, s14, 0xc4
	s_addc_u32 s15, s15, 0
	s_add_u32 s16, s0, s16
	s_addc_u32 s17, s1, 0
	.p2align	6
.LBB93_154:                             ; =>This Inner Loop Header: Depth=1
	s_clause 0x1
	s_load_b64 s[30:31], s[16:17], 0x4
	s_load_b32 s28, s[16:17], 0xc
	s_add_u32 s16, s16, 12
	s_addc_u32 s17, s17, 0
	s_waitcnt lgkmcnt(0)
	v_mul_hi_u32 v2, s31, v1
	s_load_b32 s31, s[14:15], 0x0
	s_add_u32 s14, s14, 4
	s_addc_u32 s15, s15, 0
	s_add_i32 s29, s29, -1
	s_delay_alu instid0(SALU_CYCLE_1) | instskip(NEXT) | instid1(VALU_DEP_1)
	s_cmp_lg_u32 s29, 0
	v_add_nc_u32_e32 v2, v1, v2
	s_delay_alu instid0(VALU_DEP_1) | instskip(NEXT) | instid1(VALU_DEP_1)
	v_lshrrev_b32_e32 v4, s28, v2
	v_mul_lo_u32 v2, v4, s30
	s_delay_alu instid0(VALU_DEP_1) | instskip(SKIP_1) | instid1(VALU_DEP_1)
	v_sub_nc_u32_e32 v1, v1, v2
	s_waitcnt lgkmcnt(0)
	v_mad_u64_u32 v[2:3], null, v1, s31, v[0:1]
	s_delay_alu instid0(VALU_DEP_1)
	v_dual_mov_b32 v1, v4 :: v_dual_mov_b32 v0, v2
	s_cbranch_scc1 .LBB93_154
.LBB93_155:
	s_cbranch_execnz .LBB93_158
.LBB93_156:
	s_waitcnt lgkmcnt(0)
	v_mul_hi_u32 v0, s5, v6
	s_and_not1_b32 vcc_lo, exec_lo, s23
	s_delay_alu instid0(VALU_DEP_1) | instskip(NEXT) | instid1(VALU_DEP_1)
	v_add_nc_u32_e32 v0, v6, v0
	v_lshrrev_b32_e32 v1, s6, v0
	s_delay_alu instid0(VALU_DEP_1) | instskip(NEXT) | instid1(VALU_DEP_1)
	v_mul_lo_u32 v0, v1, s4
	v_sub_nc_u32_e32 v0, v6, v0
	s_delay_alu instid0(VALU_DEP_1)
	v_mul_lo_u32 v0, v0, s8
	s_cbranch_vccnz .LBB93_158
; %bb.157:
	v_mul_hi_u32 v2, s10, v1
	s_delay_alu instid0(VALU_DEP_1) | instskip(NEXT) | instid1(VALU_DEP_1)
	v_add_nc_u32_e32 v2, v1, v2
	v_lshrrev_b32_e32 v2, s11, v2
	s_delay_alu instid0(VALU_DEP_1) | instskip(NEXT) | instid1(VALU_DEP_1)
	v_mul_lo_u32 v2, v2, s7
	v_sub_nc_u32_e32 v3, v1, v2
	s_delay_alu instid0(VALU_DEP_1) | instskip(NEXT) | instid1(VALU_DEP_1)
	v_mad_u64_u32 v[1:2], null, v3, s9, v[0:1]
	v_mov_b32_e32 v0, v1
.LBB93_158:
	s_waitcnt lgkmcnt(0)
	v_dual_mov_b32 v1, s22 :: v_dual_add_nc_u32 v6, 0x80, v6
	global_store_b8 v0, v1, s[2:3]
	s_or_b32 exec_lo, exec_lo, s27
	s_delay_alu instid0(SALU_CYCLE_1)
	s_mov_b32 s27, exec_lo
	v_cmpx_gt_i32_e64 s24, v6
	s_cbranch_execnz .LBB93_145
.LBB93_159:
	s_or_b32 exec_lo, exec_lo, s27
	s_delay_alu instid0(SALU_CYCLE_1)
	s_mov_b32 s27, exec_lo
	v_cmpx_gt_i32_e64 s24, v6
	s_cbranch_execz .LBB93_174
.LBB93_160:
	s_and_not1_b32 vcc_lo, exec_lo, s20
	s_cbranch_vccnz .LBB93_165
; %bb.161:
	v_mov_b32_e32 v0, 0
	s_and_not1_b32 vcc_lo, exec_lo, s26
	s_cbranch_vccnz .LBB93_185
; %bb.162:
	s_add_i32 s29, s25, 1
	s_cmp_eq_u32 s19, 2
	s_mov_b32 s28, 0
	s_cbranch_scc1 .LBB93_181
; %bb.163:
	v_dual_mov_b32 v0, 0 :: v_dual_mov_b32 v1, v6
	s_and_b32 s28, s29, 28
	s_mov_b32 s30, 0
	s_mov_b64 s[14:15], s[0:1]
	s_mov_b64 s[16:17], s[12:13]
.LBB93_164:                             ; =>This Inner Loop Header: Depth=1
	s_clause 0x1
	s_load_b256 s[36:43], s[14:15], 0x4
	s_load_b128 s[44:47], s[14:15], 0x24
	s_load_b128 s[48:51], s[16:17], 0x0
	s_add_u32 s14, s14, 48
	s_addc_u32 s15, s15, 0
	s_add_i32 s30, s30, 4
	s_add_u32 s16, s16, 16
	s_addc_u32 s17, s17, 0
	s_cmp_eq_u32 s28, s30
	s_waitcnt lgkmcnt(0)
	v_mul_hi_u32 v2, s37, v1
	s_delay_alu instid0(VALU_DEP_1) | instskip(NEXT) | instid1(VALU_DEP_1)
	v_add_nc_u32_e32 v2, v1, v2
	v_lshrrev_b32_e32 v2, s38, v2
	s_delay_alu instid0(VALU_DEP_1) | instskip(SKIP_1) | instid1(VALU_DEP_2)
	v_mul_hi_u32 v3, s40, v2
	v_mul_lo_u32 v7, v2, s36
	v_add_nc_u32_e32 v3, v2, v3
	s_delay_alu instid0(VALU_DEP_2) | instskip(NEXT) | instid1(VALU_DEP_2)
	v_sub_nc_u32_e32 v7, v1, v7
	v_lshrrev_b32_e32 v3, s41, v3
	s_delay_alu instid0(VALU_DEP_2) | instskip(NEXT) | instid1(VALU_DEP_2)
	v_mul_lo_u32 v7, v7, s48
	v_mul_hi_u32 v4, s43, v3
	v_mul_lo_u32 v8, v3, s39
	s_delay_alu instid0(VALU_DEP_2) | instskip(NEXT) | instid1(VALU_DEP_2)
	v_add_nc_u32_e32 v4, v3, v4
	v_sub_nc_u32_e32 v2, v2, v8
	s_delay_alu instid0(VALU_DEP_2) | instskip(NEXT) | instid1(VALU_DEP_2)
	v_lshrrev_b32_e32 v4, s44, v4
	v_mul_lo_u32 v2, v2, s49
	s_delay_alu instid0(VALU_DEP_2) | instskip(NEXT) | instid1(VALU_DEP_2)
	v_mul_hi_u32 v5, s46, v4
	v_add3_u32 v0, v7, v0, v2
	s_delay_alu instid0(VALU_DEP_2) | instskip(NEXT) | instid1(VALU_DEP_1)
	v_add_nc_u32_e32 v5, v4, v5
	v_lshrrev_b32_e32 v1, s47, v5
	v_mul_lo_u32 v5, v4, s42
	s_delay_alu instid0(VALU_DEP_2) | instskip(NEXT) | instid1(VALU_DEP_2)
	v_mul_lo_u32 v9, v1, s45
	v_sub_nc_u32_e32 v3, v3, v5
	s_delay_alu instid0(VALU_DEP_2) | instskip(NEXT) | instid1(VALU_DEP_2)
	v_sub_nc_u32_e32 v4, v4, v9
	v_mul_lo_u32 v3, v3, s50
	s_delay_alu instid0(VALU_DEP_2) | instskip(NEXT) | instid1(VALU_DEP_1)
	v_mul_lo_u32 v4, v4, s51
	v_add3_u32 v0, v3, v0, v4
	s_cbranch_scc0 .LBB93_164
	s_branch .LBB93_182
.LBB93_165:
                                        ; implicit-def: $vgpr0
	s_branch .LBB93_186
.LBB93_166:
	v_mov_b32_e32 v1, v6
.LBB93_167:
	s_and_b32 s29, s29, 3
	s_delay_alu instid0(SALU_CYCLE_1)
	s_cmp_eq_u32 s29, 0
	s_cbranch_scc1 .LBB93_170
; %bb.168:
	s_lshl_b32 s14, s28, 2
	s_mul_i32 s16, s28, 12
	s_add_u32 s14, s14, s0
	s_addc_u32 s15, s1, 0
	s_add_u32 s14, s14, 0xc4
	s_addc_u32 s15, s15, 0
	;; [unrolled: 2-line block ×3, first 2 shown]
	.p2align	6
.LBB93_169:                             ; =>This Inner Loop Header: Depth=1
	s_clause 0x1
	s_load_b64 s[30:31], s[16:17], 0x4
	s_load_b32 s28, s[16:17], 0xc
	s_add_u32 s16, s16, 12
	s_addc_u32 s17, s17, 0
	s_waitcnt lgkmcnt(0)
	v_mul_hi_u32 v2, s31, v1
	s_load_b32 s31, s[14:15], 0x0
	s_add_u32 s14, s14, 4
	s_addc_u32 s15, s15, 0
	s_add_i32 s29, s29, -1
	s_delay_alu instid0(SALU_CYCLE_1) | instskip(NEXT) | instid1(VALU_DEP_1)
	s_cmp_lg_u32 s29, 0
	v_add_nc_u32_e32 v2, v1, v2
	s_delay_alu instid0(VALU_DEP_1) | instskip(NEXT) | instid1(VALU_DEP_1)
	v_lshrrev_b32_e32 v4, s28, v2
	v_mul_lo_u32 v2, v4, s30
	s_delay_alu instid0(VALU_DEP_1) | instskip(SKIP_1) | instid1(VALU_DEP_1)
	v_sub_nc_u32_e32 v1, v1, v2
	s_waitcnt lgkmcnt(0)
	v_mad_u64_u32 v[2:3], null, v1, s31, v[0:1]
	s_delay_alu instid0(VALU_DEP_1)
	v_dual_mov_b32 v1, v4 :: v_dual_mov_b32 v0, v2
	s_cbranch_scc1 .LBB93_169
.LBB93_170:
	s_cbranch_execnz .LBB93_173
.LBB93_171:
	s_waitcnt lgkmcnt(0)
	v_mul_hi_u32 v0, s5, v6
	s_and_not1_b32 vcc_lo, exec_lo, s23
	s_delay_alu instid0(VALU_DEP_1) | instskip(NEXT) | instid1(VALU_DEP_1)
	v_add_nc_u32_e32 v0, v6, v0
	v_lshrrev_b32_e32 v1, s6, v0
	s_delay_alu instid0(VALU_DEP_1) | instskip(NEXT) | instid1(VALU_DEP_1)
	v_mul_lo_u32 v0, v1, s4
	v_sub_nc_u32_e32 v0, v6, v0
	s_delay_alu instid0(VALU_DEP_1)
	v_mul_lo_u32 v0, v0, s8
	s_cbranch_vccnz .LBB93_173
; %bb.172:
	v_mul_hi_u32 v2, s10, v1
	s_delay_alu instid0(VALU_DEP_1) | instskip(NEXT) | instid1(VALU_DEP_1)
	v_add_nc_u32_e32 v2, v1, v2
	v_lshrrev_b32_e32 v2, s11, v2
	s_delay_alu instid0(VALU_DEP_1) | instskip(NEXT) | instid1(VALU_DEP_1)
	v_mul_lo_u32 v2, v2, s7
	v_sub_nc_u32_e32 v3, v1, v2
	s_delay_alu instid0(VALU_DEP_1) | instskip(NEXT) | instid1(VALU_DEP_1)
	v_mad_u64_u32 v[1:2], null, v3, s9, v[0:1]
	v_mov_b32_e32 v0, v1
.LBB93_173:
	s_waitcnt lgkmcnt(0)
	v_dual_mov_b32 v1, s22 :: v_dual_add_nc_u32 v6, 0x80, v6
	global_store_b8 v0, v1, s[2:3]
	s_or_b32 exec_lo, exec_lo, s27
	s_delay_alu instid0(SALU_CYCLE_1)
	s_mov_b32 s27, exec_lo
	v_cmpx_gt_i32_e64 s24, v6
	s_cbranch_execnz .LBB93_160
.LBB93_174:
	s_or_b32 exec_lo, exec_lo, s27
	s_delay_alu instid0(SALU_CYCLE_1)
	s_mov_b32 s27, exec_lo
	v_cmpx_gt_i32_e64 s24, v6
	s_cbranch_execz .LBB93_189
.LBB93_175:
	s_and_not1_b32 vcc_lo, exec_lo, s20
	s_cbranch_vccnz .LBB93_180
; %bb.176:
	v_mov_b32_e32 v0, 0
	s_and_not1_b32 vcc_lo, exec_lo, s26
	s_cbranch_vccnz .LBB93_200
; %bb.177:
	s_add_i32 s29, s25, 1
	s_cmp_eq_u32 s19, 2
	s_mov_b32 s28, 0
	s_cbranch_scc1 .LBB93_196
; %bb.178:
	v_dual_mov_b32 v0, 0 :: v_dual_mov_b32 v1, v6
	s_and_b32 s28, s29, 28
	s_mov_b32 s30, 0
	s_mov_b64 s[14:15], s[0:1]
	s_mov_b64 s[16:17], s[12:13]
.LBB93_179:                             ; =>This Inner Loop Header: Depth=1
	s_clause 0x1
	s_load_b256 s[36:43], s[14:15], 0x4
	s_load_b128 s[44:47], s[14:15], 0x24
	s_load_b128 s[48:51], s[16:17], 0x0
	s_add_u32 s14, s14, 48
	s_addc_u32 s15, s15, 0
	s_add_i32 s30, s30, 4
	s_add_u32 s16, s16, 16
	s_addc_u32 s17, s17, 0
	s_cmp_eq_u32 s28, s30
	s_waitcnt lgkmcnt(0)
	v_mul_hi_u32 v2, s37, v1
	s_delay_alu instid0(VALU_DEP_1) | instskip(NEXT) | instid1(VALU_DEP_1)
	v_add_nc_u32_e32 v2, v1, v2
	v_lshrrev_b32_e32 v2, s38, v2
	s_delay_alu instid0(VALU_DEP_1) | instskip(SKIP_1) | instid1(VALU_DEP_2)
	v_mul_hi_u32 v3, s40, v2
	v_mul_lo_u32 v7, v2, s36
	v_add_nc_u32_e32 v3, v2, v3
	s_delay_alu instid0(VALU_DEP_2) | instskip(NEXT) | instid1(VALU_DEP_2)
	v_sub_nc_u32_e32 v7, v1, v7
	v_lshrrev_b32_e32 v3, s41, v3
	s_delay_alu instid0(VALU_DEP_2) | instskip(NEXT) | instid1(VALU_DEP_2)
	v_mul_lo_u32 v7, v7, s48
	v_mul_hi_u32 v4, s43, v3
	v_mul_lo_u32 v8, v3, s39
	s_delay_alu instid0(VALU_DEP_2) | instskip(NEXT) | instid1(VALU_DEP_2)
	v_add_nc_u32_e32 v4, v3, v4
	v_sub_nc_u32_e32 v2, v2, v8
	s_delay_alu instid0(VALU_DEP_2) | instskip(NEXT) | instid1(VALU_DEP_2)
	v_lshrrev_b32_e32 v4, s44, v4
	v_mul_lo_u32 v2, v2, s49
	s_delay_alu instid0(VALU_DEP_2) | instskip(NEXT) | instid1(VALU_DEP_2)
	v_mul_hi_u32 v5, s46, v4
	v_add3_u32 v0, v7, v0, v2
	s_delay_alu instid0(VALU_DEP_2) | instskip(NEXT) | instid1(VALU_DEP_1)
	v_add_nc_u32_e32 v5, v4, v5
	v_lshrrev_b32_e32 v1, s47, v5
	v_mul_lo_u32 v5, v4, s42
	s_delay_alu instid0(VALU_DEP_2) | instskip(NEXT) | instid1(VALU_DEP_2)
	v_mul_lo_u32 v9, v1, s45
	v_sub_nc_u32_e32 v3, v3, v5
	s_delay_alu instid0(VALU_DEP_2) | instskip(NEXT) | instid1(VALU_DEP_2)
	v_sub_nc_u32_e32 v4, v4, v9
	v_mul_lo_u32 v3, v3, s50
	s_delay_alu instid0(VALU_DEP_2) | instskip(NEXT) | instid1(VALU_DEP_1)
	v_mul_lo_u32 v4, v4, s51
	v_add3_u32 v0, v3, v0, v4
	s_cbranch_scc0 .LBB93_179
	s_branch .LBB93_197
.LBB93_180:
                                        ; implicit-def: $vgpr0
	s_branch .LBB93_201
.LBB93_181:
	v_mov_b32_e32 v1, v6
.LBB93_182:
	s_and_b32 s29, s29, 3
	s_delay_alu instid0(SALU_CYCLE_1)
	s_cmp_eq_u32 s29, 0
	s_cbranch_scc1 .LBB93_185
; %bb.183:
	s_lshl_b32 s14, s28, 2
	s_mul_i32 s16, s28, 12
	s_add_u32 s14, s14, s0
	s_addc_u32 s15, s1, 0
	s_add_u32 s14, s14, 0xc4
	s_addc_u32 s15, s15, 0
	;; [unrolled: 2-line block ×3, first 2 shown]
	.p2align	6
.LBB93_184:                             ; =>This Inner Loop Header: Depth=1
	s_clause 0x1
	s_load_b64 s[30:31], s[16:17], 0x4
	s_load_b32 s28, s[16:17], 0xc
	s_add_u32 s16, s16, 12
	s_addc_u32 s17, s17, 0
	s_waitcnt lgkmcnt(0)
	v_mul_hi_u32 v2, s31, v1
	s_load_b32 s31, s[14:15], 0x0
	s_add_u32 s14, s14, 4
	s_addc_u32 s15, s15, 0
	s_add_i32 s29, s29, -1
	s_delay_alu instid0(SALU_CYCLE_1) | instskip(NEXT) | instid1(VALU_DEP_1)
	s_cmp_lg_u32 s29, 0
	v_add_nc_u32_e32 v2, v1, v2
	s_delay_alu instid0(VALU_DEP_1) | instskip(NEXT) | instid1(VALU_DEP_1)
	v_lshrrev_b32_e32 v4, s28, v2
	v_mul_lo_u32 v2, v4, s30
	s_delay_alu instid0(VALU_DEP_1) | instskip(SKIP_1) | instid1(VALU_DEP_1)
	v_sub_nc_u32_e32 v1, v1, v2
	s_waitcnt lgkmcnt(0)
	v_mad_u64_u32 v[2:3], null, v1, s31, v[0:1]
	s_delay_alu instid0(VALU_DEP_1)
	v_dual_mov_b32 v1, v4 :: v_dual_mov_b32 v0, v2
	s_cbranch_scc1 .LBB93_184
.LBB93_185:
	s_cbranch_execnz .LBB93_188
.LBB93_186:
	s_waitcnt lgkmcnt(0)
	v_mul_hi_u32 v0, s5, v6
	s_and_not1_b32 vcc_lo, exec_lo, s23
	s_delay_alu instid0(VALU_DEP_1) | instskip(NEXT) | instid1(VALU_DEP_1)
	v_add_nc_u32_e32 v0, v6, v0
	v_lshrrev_b32_e32 v1, s6, v0
	s_delay_alu instid0(VALU_DEP_1) | instskip(NEXT) | instid1(VALU_DEP_1)
	v_mul_lo_u32 v0, v1, s4
	v_sub_nc_u32_e32 v0, v6, v0
	s_delay_alu instid0(VALU_DEP_1)
	v_mul_lo_u32 v0, v0, s8
	s_cbranch_vccnz .LBB93_188
; %bb.187:
	v_mul_hi_u32 v2, s10, v1
	s_delay_alu instid0(VALU_DEP_1) | instskip(NEXT) | instid1(VALU_DEP_1)
	v_add_nc_u32_e32 v2, v1, v2
	v_lshrrev_b32_e32 v2, s11, v2
	s_delay_alu instid0(VALU_DEP_1) | instskip(NEXT) | instid1(VALU_DEP_1)
	v_mul_lo_u32 v2, v2, s7
	v_sub_nc_u32_e32 v3, v1, v2
	s_delay_alu instid0(VALU_DEP_1) | instskip(NEXT) | instid1(VALU_DEP_1)
	v_mad_u64_u32 v[1:2], null, v3, s9, v[0:1]
	v_mov_b32_e32 v0, v1
.LBB93_188:
	s_waitcnt lgkmcnt(0)
	v_dual_mov_b32 v1, s22 :: v_dual_add_nc_u32 v6, 0x80, v6
	global_store_b8 v0, v1, s[2:3]
	s_or_b32 exec_lo, exec_lo, s27
	s_delay_alu instid0(SALU_CYCLE_1)
	s_mov_b32 s27, exec_lo
	v_cmpx_gt_i32_e64 s24, v6
	s_cbranch_execnz .LBB93_175
.LBB93_189:
	s_or_b32 exec_lo, exec_lo, s27
	s_delay_alu instid0(SALU_CYCLE_1)
	s_mov_b32 s27, exec_lo
	v_cmpx_gt_i32_e64 s24, v6
	s_cbranch_execz .LBB93_204
.LBB93_190:
	s_and_not1_b32 vcc_lo, exec_lo, s20
	s_cbranch_vccnz .LBB93_195
; %bb.191:
	v_mov_b32_e32 v0, 0
	s_and_not1_b32 vcc_lo, exec_lo, s26
	s_cbranch_vccnz .LBB93_211
; %bb.192:
	s_add_i32 s29, s25, 1
	s_cmp_eq_u32 s19, 2
	s_mov_b32 s28, 0
	s_cbranch_scc1 .LBB93_207
; %bb.193:
	v_dual_mov_b32 v0, 0 :: v_dual_mov_b32 v1, v6
	s_and_b32 s28, s29, 28
	s_mov_b32 s30, 0
	s_mov_b64 s[14:15], s[0:1]
	s_mov_b64 s[16:17], s[12:13]
.LBB93_194:                             ; =>This Inner Loop Header: Depth=1
	s_clause 0x1
	s_load_b256 s[36:43], s[14:15], 0x4
	s_load_b128 s[44:47], s[14:15], 0x24
	s_load_b128 s[48:51], s[16:17], 0x0
	s_add_u32 s14, s14, 48
	s_addc_u32 s15, s15, 0
	s_add_i32 s30, s30, 4
	s_add_u32 s16, s16, 16
	s_addc_u32 s17, s17, 0
	s_cmp_eq_u32 s28, s30
	s_waitcnt lgkmcnt(0)
	v_mul_hi_u32 v2, s37, v1
	s_delay_alu instid0(VALU_DEP_1) | instskip(NEXT) | instid1(VALU_DEP_1)
	v_add_nc_u32_e32 v2, v1, v2
	v_lshrrev_b32_e32 v2, s38, v2
	s_delay_alu instid0(VALU_DEP_1) | instskip(SKIP_1) | instid1(VALU_DEP_2)
	v_mul_hi_u32 v3, s40, v2
	v_mul_lo_u32 v7, v2, s36
	v_add_nc_u32_e32 v3, v2, v3
	s_delay_alu instid0(VALU_DEP_2) | instskip(NEXT) | instid1(VALU_DEP_2)
	v_sub_nc_u32_e32 v7, v1, v7
	v_lshrrev_b32_e32 v3, s41, v3
	s_delay_alu instid0(VALU_DEP_2) | instskip(NEXT) | instid1(VALU_DEP_2)
	v_mul_lo_u32 v7, v7, s48
	v_mul_hi_u32 v4, s43, v3
	v_mul_lo_u32 v8, v3, s39
	s_delay_alu instid0(VALU_DEP_2) | instskip(NEXT) | instid1(VALU_DEP_2)
	v_add_nc_u32_e32 v4, v3, v4
	v_sub_nc_u32_e32 v2, v2, v8
	s_delay_alu instid0(VALU_DEP_2) | instskip(NEXT) | instid1(VALU_DEP_2)
	v_lshrrev_b32_e32 v4, s44, v4
	v_mul_lo_u32 v2, v2, s49
	s_delay_alu instid0(VALU_DEP_2) | instskip(NEXT) | instid1(VALU_DEP_2)
	v_mul_hi_u32 v5, s46, v4
	v_add3_u32 v0, v7, v0, v2
	s_delay_alu instid0(VALU_DEP_2) | instskip(NEXT) | instid1(VALU_DEP_1)
	v_add_nc_u32_e32 v5, v4, v5
	v_lshrrev_b32_e32 v1, s47, v5
	v_mul_lo_u32 v5, v4, s42
	s_delay_alu instid0(VALU_DEP_2) | instskip(NEXT) | instid1(VALU_DEP_2)
	v_mul_lo_u32 v9, v1, s45
	v_sub_nc_u32_e32 v3, v3, v5
	s_delay_alu instid0(VALU_DEP_2) | instskip(NEXT) | instid1(VALU_DEP_2)
	v_sub_nc_u32_e32 v4, v4, v9
	v_mul_lo_u32 v3, v3, s50
	s_delay_alu instid0(VALU_DEP_2) | instskip(NEXT) | instid1(VALU_DEP_1)
	v_mul_lo_u32 v4, v4, s51
	v_add3_u32 v0, v3, v0, v4
	s_cbranch_scc0 .LBB93_194
	s_branch .LBB93_208
.LBB93_195:
                                        ; implicit-def: $vgpr0
	s_branch .LBB93_212
.LBB93_196:
	v_mov_b32_e32 v1, v6
.LBB93_197:
	s_and_b32 s29, s29, 3
	s_delay_alu instid0(SALU_CYCLE_1)
	s_cmp_eq_u32 s29, 0
	s_cbranch_scc1 .LBB93_200
; %bb.198:
	s_lshl_b32 s14, s28, 2
	s_mul_i32 s16, s28, 12
	s_add_u32 s14, s14, s0
	s_addc_u32 s15, s1, 0
	s_add_u32 s14, s14, 0xc4
	s_addc_u32 s15, s15, 0
	;; [unrolled: 2-line block ×3, first 2 shown]
	.p2align	6
.LBB93_199:                             ; =>This Inner Loop Header: Depth=1
	s_clause 0x1
	s_load_b64 s[30:31], s[16:17], 0x4
	s_load_b32 s28, s[16:17], 0xc
	s_add_u32 s16, s16, 12
	s_addc_u32 s17, s17, 0
	s_waitcnt lgkmcnt(0)
	v_mul_hi_u32 v2, s31, v1
	s_load_b32 s31, s[14:15], 0x0
	s_add_u32 s14, s14, 4
	s_addc_u32 s15, s15, 0
	s_add_i32 s29, s29, -1
	s_delay_alu instid0(SALU_CYCLE_1) | instskip(NEXT) | instid1(VALU_DEP_1)
	s_cmp_lg_u32 s29, 0
	v_add_nc_u32_e32 v2, v1, v2
	s_delay_alu instid0(VALU_DEP_1) | instskip(NEXT) | instid1(VALU_DEP_1)
	v_lshrrev_b32_e32 v4, s28, v2
	v_mul_lo_u32 v2, v4, s30
	s_delay_alu instid0(VALU_DEP_1) | instskip(SKIP_1) | instid1(VALU_DEP_1)
	v_sub_nc_u32_e32 v1, v1, v2
	s_waitcnt lgkmcnt(0)
	v_mad_u64_u32 v[2:3], null, v1, s31, v[0:1]
	s_delay_alu instid0(VALU_DEP_1)
	v_dual_mov_b32 v1, v4 :: v_dual_mov_b32 v0, v2
	s_cbranch_scc1 .LBB93_199
.LBB93_200:
	s_cbranch_execnz .LBB93_203
.LBB93_201:
	s_waitcnt lgkmcnt(0)
	v_mul_hi_u32 v0, s5, v6
	s_and_not1_b32 vcc_lo, exec_lo, s23
	s_delay_alu instid0(VALU_DEP_1) | instskip(NEXT) | instid1(VALU_DEP_1)
	v_add_nc_u32_e32 v0, v6, v0
	v_lshrrev_b32_e32 v1, s6, v0
	s_delay_alu instid0(VALU_DEP_1) | instskip(NEXT) | instid1(VALU_DEP_1)
	v_mul_lo_u32 v0, v1, s4
	v_sub_nc_u32_e32 v0, v6, v0
	s_delay_alu instid0(VALU_DEP_1)
	v_mul_lo_u32 v0, v0, s8
	s_cbranch_vccnz .LBB93_203
; %bb.202:
	v_mul_hi_u32 v2, s10, v1
	s_delay_alu instid0(VALU_DEP_1) | instskip(NEXT) | instid1(VALU_DEP_1)
	v_add_nc_u32_e32 v2, v1, v2
	v_lshrrev_b32_e32 v2, s11, v2
	s_delay_alu instid0(VALU_DEP_1) | instskip(NEXT) | instid1(VALU_DEP_1)
	v_mul_lo_u32 v2, v2, s7
	v_sub_nc_u32_e32 v3, v1, v2
	s_delay_alu instid0(VALU_DEP_1) | instskip(NEXT) | instid1(VALU_DEP_1)
	v_mad_u64_u32 v[1:2], null, v3, s9, v[0:1]
	v_mov_b32_e32 v0, v1
.LBB93_203:
	s_waitcnt lgkmcnt(0)
	v_dual_mov_b32 v1, s22 :: v_dual_add_nc_u32 v6, 0x80, v6
	global_store_b8 v0, v1, s[2:3]
	s_or_b32 exec_lo, exec_lo, s27
	s_delay_alu instid0(SALU_CYCLE_1)
	s_mov_b32 s27, exec_lo
	v_cmpx_gt_i32_e64 s24, v6
	s_cbranch_execnz .LBB93_190
.LBB93_204:
	s_or_b32 exec_lo, exec_lo, s27
	s_delay_alu instid0(SALU_CYCLE_1)
	s_mov_b32 s16, exec_lo
	v_cmpx_gt_i32_e64 s24, v6
	s_cbranch_execnz .LBB93_215
.LBB93_205:
	s_or_b32 exec_lo, exec_lo, s16
                                        ; implicit-def: $vgpr8
                                        ; implicit-def: $vgpr6
	s_waitcnt lgkmcnt(0)
	s_and_not1_saveexec_b32 s2, s21
	s_cbranch_execnz .LBB93_8
.LBB93_206:
	s_nop 0
	s_sendmsg sendmsg(MSG_DEALLOC_VGPRS)
	s_endpgm
.LBB93_207:
	v_mov_b32_e32 v1, v6
.LBB93_208:
	s_and_b32 s29, s29, 3
	s_delay_alu instid0(SALU_CYCLE_1)
	s_cmp_eq_u32 s29, 0
	s_cbranch_scc1 .LBB93_211
; %bb.209:
	s_lshl_b32 s14, s28, 2
	s_mul_i32 s16, s28, 12
	s_add_u32 s14, s14, s0
	s_addc_u32 s15, s1, 0
	s_add_u32 s14, s14, 0xc4
	s_addc_u32 s15, s15, 0
	;; [unrolled: 2-line block ×3, first 2 shown]
	.p2align	6
.LBB93_210:                             ; =>This Inner Loop Header: Depth=1
	s_clause 0x1
	s_load_b64 s[30:31], s[16:17], 0x4
	s_load_b32 s28, s[16:17], 0xc
	s_add_u32 s16, s16, 12
	s_addc_u32 s17, s17, 0
	s_waitcnt lgkmcnt(0)
	v_mul_hi_u32 v2, s31, v1
	s_load_b32 s31, s[14:15], 0x0
	s_add_u32 s14, s14, 4
	s_addc_u32 s15, s15, 0
	s_add_i32 s29, s29, -1
	s_delay_alu instid0(SALU_CYCLE_1) | instskip(NEXT) | instid1(VALU_DEP_1)
	s_cmp_lg_u32 s29, 0
	v_add_nc_u32_e32 v2, v1, v2
	s_delay_alu instid0(VALU_DEP_1) | instskip(NEXT) | instid1(VALU_DEP_1)
	v_lshrrev_b32_e32 v4, s28, v2
	v_mul_lo_u32 v2, v4, s30
	s_delay_alu instid0(VALU_DEP_1) | instskip(SKIP_1) | instid1(VALU_DEP_1)
	v_sub_nc_u32_e32 v1, v1, v2
	s_waitcnt lgkmcnt(0)
	v_mad_u64_u32 v[2:3], null, v1, s31, v[0:1]
	s_delay_alu instid0(VALU_DEP_1)
	v_dual_mov_b32 v1, v4 :: v_dual_mov_b32 v0, v2
	s_cbranch_scc1 .LBB93_210
.LBB93_211:
	s_cbranch_execnz .LBB93_214
.LBB93_212:
	s_waitcnt lgkmcnt(0)
	v_mul_hi_u32 v0, s5, v6
	s_and_not1_b32 vcc_lo, exec_lo, s23
	s_delay_alu instid0(VALU_DEP_1) | instskip(NEXT) | instid1(VALU_DEP_1)
	v_add_nc_u32_e32 v0, v6, v0
	v_lshrrev_b32_e32 v1, s6, v0
	s_delay_alu instid0(VALU_DEP_1) | instskip(NEXT) | instid1(VALU_DEP_1)
	v_mul_lo_u32 v0, v1, s4
	v_sub_nc_u32_e32 v0, v6, v0
	s_delay_alu instid0(VALU_DEP_1)
	v_mul_lo_u32 v0, v0, s8
	s_cbranch_vccnz .LBB93_214
; %bb.213:
	v_mul_hi_u32 v2, s10, v1
	s_delay_alu instid0(VALU_DEP_1) | instskip(NEXT) | instid1(VALU_DEP_1)
	v_add_nc_u32_e32 v2, v1, v2
	v_lshrrev_b32_e32 v2, s11, v2
	s_delay_alu instid0(VALU_DEP_1) | instskip(NEXT) | instid1(VALU_DEP_1)
	v_mul_lo_u32 v2, v2, s7
	v_sub_nc_u32_e32 v3, v1, v2
	s_delay_alu instid0(VALU_DEP_1) | instskip(NEXT) | instid1(VALU_DEP_1)
	v_mad_u64_u32 v[1:2], null, v3, s9, v[0:1]
	v_mov_b32_e32 v0, v1
.LBB93_214:
	s_waitcnt lgkmcnt(0)
	v_dual_mov_b32 v1, s22 :: v_dual_add_nc_u32 v6, 0x80, v6
	global_store_b8 v0, v1, s[2:3]
	s_or_b32 exec_lo, exec_lo, s27
	s_delay_alu instid0(SALU_CYCLE_1)
	s_mov_b32 s16, exec_lo
	v_cmpx_gt_i32_e64 s24, v6
	s_cbranch_execz .LBB93_205
.LBB93_215:
	s_and_not1_b32 vcc_lo, exec_lo, s20
	s_cbranch_vccnz .LBB93_220
; %bb.216:
	v_mov_b32_e32 v0, 0
	s_and_not1_b32 vcc_lo, exec_lo, s26
	s_cbranch_vccnz .LBB93_225
; %bb.217:
	s_add_i32 s25, s25, 1
	s_cmp_eq_u32 s19, 2
	s_mov_b32 s17, 0
	s_cbranch_scc1 .LBB93_221
; %bb.218:
	v_dual_mov_b32 v0, 0 :: v_dual_mov_b32 v1, v6
	s_and_b32 s17, s25, 28
	s_mov_b32 s24, 0
	s_mov_b64 s[14:15], s[0:1]
.LBB93_219:                             ; =>This Inner Loop Header: Depth=1
	s_clause 0x1
	s_load_b256 s[36:43], s[14:15], 0x4
	s_load_b128 s[28:31], s[14:15], 0x24
	s_load_b128 s[44:47], s[12:13], 0x0
	s_add_u32 s14, s14, 48
	s_addc_u32 s15, s15, 0
	s_add_i32 s24, s24, 4
	s_add_u32 s12, s12, 16
	s_addc_u32 s13, s13, 0
	s_cmp_eq_u32 s17, s24
	s_waitcnt lgkmcnt(0)
	v_mul_hi_u32 v2, s37, v1
	s_delay_alu instid0(VALU_DEP_1) | instskip(NEXT) | instid1(VALU_DEP_1)
	v_add_nc_u32_e32 v2, v1, v2
	v_lshrrev_b32_e32 v2, s38, v2
	s_delay_alu instid0(VALU_DEP_1) | instskip(SKIP_1) | instid1(VALU_DEP_2)
	v_mul_hi_u32 v3, s40, v2
	v_mul_lo_u32 v7, v2, s36
	v_add_nc_u32_e32 v3, v2, v3
	s_delay_alu instid0(VALU_DEP_2) | instskip(NEXT) | instid1(VALU_DEP_2)
	v_sub_nc_u32_e32 v7, v1, v7
	v_lshrrev_b32_e32 v3, s41, v3
	s_delay_alu instid0(VALU_DEP_2) | instskip(NEXT) | instid1(VALU_DEP_2)
	v_mul_lo_u32 v7, v7, s44
	v_mul_hi_u32 v4, s43, v3
	v_mul_lo_u32 v8, v3, s39
	s_delay_alu instid0(VALU_DEP_2) | instskip(NEXT) | instid1(VALU_DEP_2)
	v_add_nc_u32_e32 v4, v3, v4
	v_sub_nc_u32_e32 v2, v2, v8
	s_delay_alu instid0(VALU_DEP_2) | instskip(NEXT) | instid1(VALU_DEP_2)
	v_lshrrev_b32_e32 v4, s28, v4
	v_mul_lo_u32 v2, v2, s45
	s_delay_alu instid0(VALU_DEP_2) | instskip(NEXT) | instid1(VALU_DEP_2)
	v_mul_hi_u32 v5, s30, v4
	v_add3_u32 v0, v7, v0, v2
	s_delay_alu instid0(VALU_DEP_2) | instskip(NEXT) | instid1(VALU_DEP_1)
	v_add_nc_u32_e32 v5, v4, v5
	v_lshrrev_b32_e32 v1, s31, v5
	v_mul_lo_u32 v5, v4, s42
	s_delay_alu instid0(VALU_DEP_2) | instskip(NEXT) | instid1(VALU_DEP_2)
	v_mul_lo_u32 v9, v1, s29
	v_sub_nc_u32_e32 v3, v3, v5
	s_delay_alu instid0(VALU_DEP_2) | instskip(NEXT) | instid1(VALU_DEP_2)
	v_sub_nc_u32_e32 v4, v4, v9
	v_mul_lo_u32 v3, v3, s46
	s_delay_alu instid0(VALU_DEP_2) | instskip(NEXT) | instid1(VALU_DEP_1)
	v_mul_lo_u32 v4, v4, s47
	v_add3_u32 v0, v3, v0, v4
	s_cbranch_scc0 .LBB93_219
	s_branch .LBB93_222
.LBB93_220:
                                        ; implicit-def: $vgpr0
	s_branch .LBB93_226
.LBB93_221:
	v_mov_b32_e32 v1, v6
.LBB93_222:
	s_and_b32 s24, s25, 3
	s_delay_alu instid0(SALU_CYCLE_1)
	s_cmp_eq_u32 s24, 0
	s_cbranch_scc1 .LBB93_225
; %bb.223:
	s_lshl_b32 s12, s17, 2
	s_mul_i32 s14, s17, 12
	s_add_u32 s12, s12, s0
	s_addc_u32 s13, s1, 0
	s_add_u32 s12, s12, 0xc4
	s_addc_u32 s13, s13, 0
	;; [unrolled: 2-line block ×3, first 2 shown]
	.p2align	6
.LBB93_224:                             ; =>This Inner Loop Header: Depth=1
	s_clause 0x1
	s_load_b64 s[26:27], s[14:15], 0x4
	s_load_b32 s17, s[14:15], 0xc
	s_load_b32 s25, s[12:13], 0x0
	s_add_u32 s14, s14, 12
	s_addc_u32 s15, s15, 0
	s_add_u32 s12, s12, 4
	s_addc_u32 s13, s13, 0
	s_add_i32 s24, s24, -1
	s_delay_alu instid0(SALU_CYCLE_1) | instskip(SKIP_2) | instid1(VALU_DEP_1)
	s_cmp_lg_u32 s24, 0
	s_waitcnt lgkmcnt(0)
	v_mul_hi_u32 v2, s27, v1
	v_add_nc_u32_e32 v2, v1, v2
	s_delay_alu instid0(VALU_DEP_1) | instskip(NEXT) | instid1(VALU_DEP_1)
	v_lshrrev_b32_e32 v4, s17, v2
	v_mul_lo_u32 v2, v4, s26
	s_delay_alu instid0(VALU_DEP_1) | instskip(NEXT) | instid1(VALU_DEP_1)
	v_sub_nc_u32_e32 v1, v1, v2
	v_mad_u64_u32 v[2:3], null, v1, s25, v[0:1]
	s_delay_alu instid0(VALU_DEP_1)
	v_dual_mov_b32 v1, v4 :: v_dual_mov_b32 v0, v2
	s_cbranch_scc1 .LBB93_224
.LBB93_225:
	s_cbranch_execnz .LBB93_228
.LBB93_226:
	s_waitcnt lgkmcnt(0)
	v_mul_hi_u32 v0, s5, v6
	s_and_not1_b32 vcc_lo, exec_lo, s23
	s_delay_alu instid0(VALU_DEP_1) | instskip(NEXT) | instid1(VALU_DEP_1)
	v_add_nc_u32_e32 v0, v6, v0
	v_lshrrev_b32_e32 v1, s6, v0
	s_delay_alu instid0(VALU_DEP_1) | instskip(NEXT) | instid1(VALU_DEP_1)
	v_mul_lo_u32 v0, v1, s4
	v_sub_nc_u32_e32 v0, v6, v0
	s_delay_alu instid0(VALU_DEP_1)
	v_mul_lo_u32 v0, v0, s8
	s_cbranch_vccnz .LBB93_228
; %bb.227:
	v_mul_hi_u32 v2, s10, v1
	s_delay_alu instid0(VALU_DEP_1) | instskip(NEXT) | instid1(VALU_DEP_1)
	v_add_nc_u32_e32 v2, v1, v2
	v_lshrrev_b32_e32 v2, s11, v2
	s_delay_alu instid0(VALU_DEP_1) | instskip(NEXT) | instid1(VALU_DEP_1)
	v_mul_lo_u32 v2, v2, s7
	v_sub_nc_u32_e32 v3, v1, v2
	s_delay_alu instid0(VALU_DEP_1) | instskip(NEXT) | instid1(VALU_DEP_1)
	v_mad_u64_u32 v[1:2], null, v3, s9, v[0:1]
	v_mov_b32_e32 v0, v1
.LBB93_228:
	s_waitcnt lgkmcnt(0)
	v_mov_b32_e32 v1, s22
	global_store_b8 v0, v1, s[2:3]
	s_or_b32 exec_lo, exec_lo, s16
                                        ; implicit-def: $vgpr8
                                        ; implicit-def: $vgpr6
	s_and_not1_saveexec_b32 s2, s21
	s_cbranch_execz .LBB93_206
	s_branch .LBB93_8
	.section	.rodata,"a",@progbits
	.p2align	6, 0x0
	.amdhsa_kernel _ZN2at6native32elementwise_kernel_manual_unrollILi128ELi8EZNS0_22gpu_kernel_impl_nocastINS0_11FillFunctorIbEEEEvRNS_18TensorIteratorBaseERKT_EUlibE_EEviT1_
		.amdhsa_group_segment_fixed_size 0
		.amdhsa_private_segment_fixed_size 0
		.amdhsa_kernarg_size 288
		.amdhsa_user_sgpr_count 15
		.amdhsa_user_sgpr_dispatch_ptr 0
		.amdhsa_user_sgpr_queue_ptr 0
		.amdhsa_user_sgpr_kernarg_segment_ptr 1
		.amdhsa_user_sgpr_dispatch_id 0
		.amdhsa_user_sgpr_private_segment_size 0
		.amdhsa_wavefront_size32 1
		.amdhsa_uses_dynamic_stack 0
		.amdhsa_enable_private_segment 0
		.amdhsa_system_sgpr_workgroup_id_x 1
		.amdhsa_system_sgpr_workgroup_id_y 0
		.amdhsa_system_sgpr_workgroup_id_z 0
		.amdhsa_system_sgpr_workgroup_info 0
		.amdhsa_system_vgpr_workitem_id 0
		.amdhsa_next_free_vgpr 18
		.amdhsa_next_free_sgpr 52
		.amdhsa_reserve_vcc 1
		.amdhsa_float_round_mode_32 0
		.amdhsa_float_round_mode_16_64 0
		.amdhsa_float_denorm_mode_32 3
		.amdhsa_float_denorm_mode_16_64 3
		.amdhsa_dx10_clamp 1
		.amdhsa_ieee_mode 1
		.amdhsa_fp16_overflow 0
		.amdhsa_workgroup_processor_mode 1
		.amdhsa_memory_ordered 1
		.amdhsa_forward_progress 0
		.amdhsa_shared_vgpr_count 0
		.amdhsa_exception_fp_ieee_invalid_op 0
		.amdhsa_exception_fp_denorm_src 0
		.amdhsa_exception_fp_ieee_div_zero 0
		.amdhsa_exception_fp_ieee_overflow 0
		.amdhsa_exception_fp_ieee_underflow 0
		.amdhsa_exception_fp_ieee_inexact 0
		.amdhsa_exception_int_div_zero 0
	.end_amdhsa_kernel
	.section	.text._ZN2at6native32elementwise_kernel_manual_unrollILi128ELi8EZNS0_22gpu_kernel_impl_nocastINS0_11FillFunctorIbEEEEvRNS_18TensorIteratorBaseERKT_EUlibE_EEviT1_,"axG",@progbits,_ZN2at6native32elementwise_kernel_manual_unrollILi128ELi8EZNS0_22gpu_kernel_impl_nocastINS0_11FillFunctorIbEEEEvRNS_18TensorIteratorBaseERKT_EUlibE_EEviT1_,comdat
.Lfunc_end93:
	.size	_ZN2at6native32elementwise_kernel_manual_unrollILi128ELi8EZNS0_22gpu_kernel_impl_nocastINS0_11FillFunctorIbEEEEvRNS_18TensorIteratorBaseERKT_EUlibE_EEviT1_, .Lfunc_end93-_ZN2at6native32elementwise_kernel_manual_unrollILi128ELi8EZNS0_22gpu_kernel_impl_nocastINS0_11FillFunctorIbEEEEvRNS_18TensorIteratorBaseERKT_EUlibE_EEviT1_
                                        ; -- End function
	.section	.AMDGPU.csdata,"",@progbits
; Kernel info:
; codeLenInByte = 11652
; NumSgprs: 54
; NumVgprs: 18
; ScratchSize: 0
; MemoryBound: 0
; FloatMode: 240
; IeeeMode: 1
; LDSByteSize: 0 bytes/workgroup (compile time only)
; SGPRBlocks: 6
; VGPRBlocks: 2
; NumSGPRsForWavesPerEU: 54
; NumVGPRsForWavesPerEU: 18
; Occupancy: 16
; WaveLimiterHint : 1
; COMPUTE_PGM_RSRC2:SCRATCH_EN: 0
; COMPUTE_PGM_RSRC2:USER_SGPR: 15
; COMPUTE_PGM_RSRC2:TRAP_HANDLER: 0
; COMPUTE_PGM_RSRC2:TGID_X_EN: 1
; COMPUTE_PGM_RSRC2:TGID_Y_EN: 0
; COMPUTE_PGM_RSRC2:TGID_Z_EN: 0
; COMPUTE_PGM_RSRC2:TIDIG_COMP_CNT: 0
	.section	.text._ZN2at6native32elementwise_kernel_manual_unrollILi128ELi4EZNS0_15gpu_kernel_implINS0_11FillFunctorIbEEEEvRNS_18TensorIteratorBaseERKT_EUlibE_EEviT1_,"axG",@progbits,_ZN2at6native32elementwise_kernel_manual_unrollILi128ELi4EZNS0_15gpu_kernel_implINS0_11FillFunctorIbEEEEvRNS_18TensorIteratorBaseERKT_EUlibE_EEviT1_,comdat
	.protected	_ZN2at6native32elementwise_kernel_manual_unrollILi128ELi4EZNS0_15gpu_kernel_implINS0_11FillFunctorIbEEEEvRNS_18TensorIteratorBaseERKT_EUlibE_EEviT1_ ; -- Begin function _ZN2at6native32elementwise_kernel_manual_unrollILi128ELi4EZNS0_15gpu_kernel_implINS0_11FillFunctorIbEEEEvRNS_18TensorIteratorBaseERKT_EUlibE_EEviT1_
	.globl	_ZN2at6native32elementwise_kernel_manual_unrollILi128ELi4EZNS0_15gpu_kernel_implINS0_11FillFunctorIbEEEEvRNS_18TensorIteratorBaseERKT_EUlibE_EEviT1_
	.p2align	8
	.type	_ZN2at6native32elementwise_kernel_manual_unrollILi128ELi4EZNS0_15gpu_kernel_implINS0_11FillFunctorIbEEEEvRNS_18TensorIteratorBaseERKT_EUlibE_EEviT1_,@function
_ZN2at6native32elementwise_kernel_manual_unrollILi128ELi4EZNS0_15gpu_kernel_implINS0_11FillFunctorIbEEEEvRNS_18TensorIteratorBaseERKT_EUlibE_EEviT1_: ; @_ZN2at6native32elementwise_kernel_manual_unrollILi128ELi4EZNS0_15gpu_kernel_implINS0_11FillFunctorIbEEEEvRNS_18TensorIteratorBaseERKT_EUlibE_EEviT1_
; %bb.0:
	s_clause 0x1
	s_load_b128 s[16:19], s[0:1], 0x8
	s_load_b32 s20, s[0:1], 0x0
	v_lshl_or_b32 v23, s15, 9, v0
	s_mov_b32 s12, 0
	s_mov_b32 s2, 0
	s_mov_b32 s0, exec_lo
	s_delay_alu instid0(VALU_DEP_1) | instskip(SKIP_2) | instid1(VALU_DEP_2)
	v_or_b32_e32 v0, 0x180, v23
	s_waitcnt lgkmcnt(0)
	v_lshrrev_b16 v8, 8, s19
	v_cmpx_le_i32_e64 s20, v0
	s_xor_b32 s13, exec_lo, s0
	s_cbranch_execz .LBB94_151
; %bb.1:
	s_and_b32 s10, s19, 0xff
	s_bitcmp1_b32 s19, 0
	v_and_b32_e64 v9, 0xff, s19
	s_cselect_b32 s0, -1, 0
	s_mov_b32 s23, 0
	v_cndmask_b32_e64 v4, 0, 1.0, s0
	v_cndmask_b32_e64 v2, 0, 1, s0
	s_mov_b32 s11, s23
	s_mov_b32 s24, -1
	s_mov_b32 s21, 0
	v_lshrrev_b32_e32 v0, 23, v4
	v_and_b32_e32 v1, 0x3fffff, v4
	v_and_b32_e32 v3, 0x400000, v4
	v_bfe_u32 v5, v4, 20, 1
	v_cvt_f16_f32_e32 v10, v4
	v_cmp_eq_u32_e64 s8, 0xff, v0
	v_or_b32_e32 v1, v0, v1
	v_cmp_ne_u32_e32 vcc_lo, 0, v3
	v_dual_add_f32 v18, 0x46800000, v4 :: v_dual_add_nc_u32 v3, v4, v5
	v_cmp_gt_u32_e64 s7, 0x43800000, v4
	s_delay_alu instid0(VALU_DEP_4)
	v_cmp_ne_u32_e64 s0, 0, v1
	v_bfe_u32 v1, v4, 21, 1
	v_add_f32_e32 v21, 0x46000000, v4
	v_add_nc_u32_e32 v7, 0x487ffff, v3
	v_add_nc_u32_e32 v3, 0x407ffff, v3
	s_and_b32 s0, vcc_lo, s0
	v_add_nc_u32_e32 v6, v4, v1
	v_cndmask_b32_e64 v5, 0, 1, s0
	v_readfirstlane_b32 s1, v21
	v_cmp_lt_u32_e64 s6, 0x3bffffff, v4
	v_lshrrev_b32_e32 v22, 20, v7
	s_delay_alu instid0(VALU_DEP_4)
	v_dual_add_f32 v17, 0x42800000, v4 :: v_dual_add_nc_u32 v24, v0, v5
	v_cvt_f64_u32_e32 v[0:1], v2
	v_add_nc_u32_e32 v2, 0x88fffff, v6
	v_bfe_u32 v5, v4, 16, 1
	s_and_b32 s0, s1, 0xff
	v_readfirstlane_b32 s1, v17
	s_cmp_lg_u32 s0, 0
	v_lshrrev_b32_e32 v20, 21, v2
	v_and_b32_e32 v2, 0xff00000, v3
	v_lshrrev_b32_e32 v3, 20, v3
	s_cselect_b32 s15, -1, 0
	s_and_b32 s1, s1, 0xff
	v_cmp_lt_u32_e64 s0, 0x477fffff, v4
	v_cmp_ne_u32_e32 vcc_lo, 0x7f00000, v2
	v_add_nc_u32_e32 v2, 0x80fffff, v6
	v_cmp_gt_u32_e64 s5, 0x47800000, v4
	v_cmp_lt_u32_e64 s4, 0x37ffffff, v4
	s_cmp_lg_u32 s1, 0
	v_dual_cndmask_b32 v16, 0x7e, v3 :: v_dual_add_nc_u32 v3, v4, v5
	v_mov_b32_e32 v5, 0x7f
	v_lshrrev_b32_e32 v13, 21, v2
	v_cmp_lt_u32_e32 vcc_lo, 0x7f800000, v4
	v_cmp_lt_u32_e64 s2, 0x43efffff, v4
	v_add_nc_u32_e32 v2, 0x7fff, v3
	v_cmp_gt_u32_e64 s3, 0x3c800000, v4
	v_cmp_gt_u32_e64 s1, 0x38800000, v4
	v_cndmask_b32_e32 v19, 0x7e, v5, vcc_lo
	v_add_f32_e32 v14, 0x43000000, v4
	v_cndmask_b32_e32 v15, 0x7c, v5, vcc_lo
	v_lshrrev_b32_e32 v12, 16, v2
	v_and_b32_e32 v11, 0xffff, v10
	s_cselect_b32 s14, -1, 0
	s_mov_b32 s22, exec_lo
	v_cmpx_gt_i32_e64 s20, v23
	s_cbranch_execz .LBB94_100
; %bb.2:
	v_mul_lo_u32 v2, v23, s18
	v_cmp_gt_i16_e32 vcc_lo, 11, v8
	s_delay_alu instid0(VALU_DEP_2) | instskip(SKIP_1) | instid1(VALU_DEP_1)
	v_ashrrev_i32_e32 v3, 31, v2
	v_add_co_u32 v6, s9, s16, v2
	v_add_co_ci_u32_e64 v7, s9, s17, v3, s9
	s_cbranch_vccnz .LBB94_9
; %bb.3:
	v_cmp_lt_i16_e32 vcc_lo, 25, v8
	s_cbranch_vccz .LBB94_12
; %bb.4:
	v_cmp_lt_i16_e32 vcc_lo, 28, v8
	s_cbranch_vccz .LBB94_13
	;; [unrolled: 3-line block ×4, first 2 shown]
; %bb.7:
	v_cmp_eq_u16_e32 vcc_lo, 46, v8
	s_mov_b32 s24, 0
	s_mov_b32 s9, -1
	s_cbranch_vccz .LBB94_16
; %bb.8:
	s_mov_b32 s21, -1
	s_mov_b32 s9, 0
	global_store_b32 v[6:7], v12, off
	s_branch .LBB94_16
.LBB94_9:
	s_mov_b32 s9, 0
	s_and_b32 vcc_lo, exec_lo, s24
	s_cbranch_vccnz .LBB94_60
.LBB94_10:
	s_and_not1_b32 vcc_lo, exec_lo, s21
	s_cbranch_vccnz .LBB94_98
.LBB94_11:
	v_add_nc_u32_e32 v23, 0x80, v23
	s_mov_b32 s24, -1
	s_branch .LBB94_99
.LBB94_12:
	s_mov_b32 s9, 0
	s_and_b32 vcc_lo, exec_lo, s24
	s_cbranch_vccnz .LBB94_38
	s_branch .LBB94_59
.LBB94_13:
	s_mov_b32 s9, 0
	s_branch .LBB94_24
.LBB94_14:
	s_mov_b32 s9, 0
	s_branch .LBB94_20
.LBB94_15:
	s_mov_b32 s9, 0
.LBB94_16:
	s_and_b32 vcc_lo, exec_lo, s24
	s_cbranch_vccz .LBB94_19
; %bb.17:
	v_cmp_eq_u16_e32 vcc_lo, 44, v8
	s_mov_b32 s9, -1
	s_cbranch_vccz .LBB94_19
; %bb.18:
	v_cndmask_b32_e64 v2, v24, 0xff, s8
	s_mov_b32 s21, -1
	s_mov_b32 s9, 0
	s_mov_b32 s24, 0
	global_store_b8 v[6:7], v2, off
	s_branch .LBB94_20
.LBB94_19:
	s_mov_b32 s24, 0
.LBB94_20:
	s_delay_alu instid0(SALU_CYCLE_1)
	s_and_b32 vcc_lo, exec_lo, s24
	s_cbranch_vccz .LBB94_23
; %bb.21:
	v_cmp_eq_u16_e32 vcc_lo, 29, v8
	s_mov_b32 s9, -1
	s_cbranch_vccz .LBB94_23
; %bb.22:
	v_dual_mov_b32 v2, s10 :: v_dual_mov_b32 v3, s11
	s_mov_b32 s21, -1
	s_mov_b32 s9, 0
	s_mov_b32 s24, 0
	global_store_b64 v[6:7], v[2:3], off
	s_branch .LBB94_24
.LBB94_23:
	s_mov_b32 s24, 0
.LBB94_24:
	s_delay_alu instid0(SALU_CYCLE_1)
	s_and_b32 vcc_lo, exec_lo, s24
	s_cbranch_vccz .LBB94_37
; %bb.25:
	v_cmp_gt_i16_e32 vcc_lo, 27, v8
	s_mov_b32 s21, -1
	s_cbranch_vccnz .LBB94_31
; %bb.26:
	v_cmp_lt_i16_e32 vcc_lo, 27, v8
	s_cbranch_vccz .LBB94_28
; %bb.27:
	v_mov_b32_e32 v2, s10
	s_mov_b32 s21, 0
	global_store_b32 v[6:7], v2, off
.LBB94_28:
	s_and_not1_b32 vcc_lo, exec_lo, s21
	s_cbranch_vccnz .LBB94_30
; %bb.29:
	global_store_b16 v[6:7], v9, off
.LBB94_30:
	s_mov_b32 s21, 0
.LBB94_31:
	s_delay_alu instid0(SALU_CYCLE_1)
	s_and_not1_b32 vcc_lo, exec_lo, s21
	s_cbranch_vccnz .LBB94_36
; %bb.32:
	v_mov_b32_e32 v2, 0x80
	s_and_not1_b32 vcc_lo, exec_lo, s7
	s_cbranch_vccnz .LBB94_35
; %bb.33:
	v_mov_b32_e32 v2, 0
	s_or_b32 s21, s6, s15
	s_delay_alu instid0(SALU_CYCLE_1)
	s_and_not1_b32 vcc_lo, exec_lo, s21
	s_cbranch_vccnz .LBB94_35
; %bb.34:
	v_cndmask_b32_e64 v2, v21, v22, s6
.LBB94_35:
	global_store_b8 v[6:7], v2, off
.LBB94_36:
	s_mov_b32 s21, -1
.LBB94_37:
	s_branch .LBB94_59
.LBB94_38:
	v_cmp_lt_i16_e32 vcc_lo, 22, v8
	s_mov_b32 s24, -1
	s_cbranch_vccz .LBB94_51
; %bb.39:
	v_cmp_gt_i16_e32 vcc_lo, 24, v8
	s_mov_b32 s21, -1
	s_cbranch_vccnz .LBB94_48
; %bb.40:
	v_cmp_lt_i16_e32 vcc_lo, 24, v8
	s_cbranch_vccz .LBB94_45
; %bb.41:
	v_mov_b32_e32 v2, 0x80
	s_and_not1_b32 vcc_lo, exec_lo, s5
	s_cbranch_vccnz .LBB94_44
; %bb.42:
	v_mov_b32_e32 v2, 0
	s_or_b32 s21, s4, s14
	s_delay_alu instid0(SALU_CYCLE_1)
	s_and_not1_b32 vcc_lo, exec_lo, s21
	s_cbranch_vccnz .LBB94_44
; %bb.43:
	v_cndmask_b32_e64 v2, v17, v20, s4
.LBB94_44:
	s_mov_b32 s21, 0
	global_store_b8 v[6:7], v2, off
.LBB94_45:
	s_and_b32 vcc_lo, exec_lo, s21
	s_cbranch_vccz .LBB94_47
; %bb.46:
	v_cndmask_b32_e64 v2, v16, v18, s3
	s_delay_alu instid0(VALU_DEP_1)
	v_cndmask_b32_e64 v2, v2, v19, s2
	global_store_b8 v[6:7], v2, off
.LBB94_47:
	s_mov_b32 s21, 0
.LBB94_48:
	s_delay_alu instid0(SALU_CYCLE_1)
	s_and_not1_b32 vcc_lo, exec_lo, s21
	s_cbranch_vccnz .LBB94_50
; %bb.49:
	v_cndmask_b32_e64 v2, v13, v14, s1
	s_delay_alu instid0(VALU_DEP_1)
	v_cndmask_b32_e64 v2, v2, v15, s0
	global_store_b8 v[6:7], v2, off
.LBB94_50:
	s_mov_b32 s24, 0
	s_mov_b32 s21, -1
.LBB94_51:
	s_and_not1_b32 vcc_lo, exec_lo, s24
	s_cbranch_vccnz .LBB94_59
; %bb.52:
	v_cmp_lt_i16_e32 vcc_lo, 14, v8
	s_mov_b32 s24, -1
	s_cbranch_vccz .LBB94_56
; %bb.53:
	v_cmp_eq_u16_e32 vcc_lo, 15, v8
	s_mov_b32 s9, -1
	s_cbranch_vccz .LBB94_55
; %bb.54:
	s_mov_b32 s21, -1
	s_mov_b32 s9, 0
	global_store_b16 v[6:7], v12, off
.LBB94_55:
	s_mov_b32 s24, 0
.LBB94_56:
	s_delay_alu instid0(SALU_CYCLE_1)
	s_and_b32 vcc_lo, exec_lo, s24
	s_cbranch_vccz .LBB94_59
; %bb.57:
	v_cmp_eq_u16_e32 vcc_lo, 11, v8
	s_mov_b32 s9, -1
	s_cbranch_vccz .LBB94_59
; %bb.58:
	v_mov_b32_e32 v2, s19
	s_mov_b32 s21, -1
	s_mov_b32 s9, 0
	global_store_b8 v[6:7], v2, off
.LBB94_59:
	s_branch .LBB94_10
.LBB94_60:
	v_cmp_gt_i16_e32 vcc_lo, 5, v8
	s_mov_b32 s21, -1
	s_cbranch_vccnz .LBB94_81
; %bb.61:
	v_cmp_gt_i16_e32 vcc_lo, 8, v8
	s_cbranch_vccnz .LBB94_71
; %bb.62:
	v_cmp_gt_i16_e32 vcc_lo, 9, v8
	s_cbranch_vccnz .LBB94_68
; %bb.63:
	v_cmp_lt_i16_e32 vcc_lo, 9, v8
	s_cbranch_vccz .LBB94_65
; %bb.64:
	v_mov_b32_e32 v2, 0
	s_mov_b32 s21, 0
	s_delay_alu instid0(VALU_DEP_1)
	v_mov_b32_e32 v3, v2
	global_store_b128 v[6:7], v[0:3], off
.LBB94_65:
	s_and_not1_b32 vcc_lo, exec_lo, s21
	s_cbranch_vccnz .LBB94_67
; %bb.66:
	v_mov_b32_e32 v5, 0
	global_store_b64 v[6:7], v[4:5], off
.LBB94_67:
	s_mov_b32 s21, 0
.LBB94_68:
	s_delay_alu instid0(SALU_CYCLE_1)
	s_and_not1_b32 vcc_lo, exec_lo, s21
	s_cbranch_vccnz .LBB94_70
; %bb.69:
	global_store_b32 v[6:7], v11, off
.LBB94_70:
	s_mov_b32 s21, 0
.LBB94_71:
	s_delay_alu instid0(SALU_CYCLE_1)
	s_and_not1_b32 vcc_lo, exec_lo, s21
	s_cbranch_vccnz .LBB94_80
; %bb.72:
	v_cmp_gt_i16_e32 vcc_lo, 6, v8
	s_mov_b32 s21, -1
	s_cbranch_vccnz .LBB94_78
; %bb.73:
	v_cmp_lt_i16_e32 vcc_lo, 6, v8
	s_cbranch_vccz .LBB94_75
; %bb.74:
	s_mov_b32 s21, 0
	global_store_b64 v[6:7], v[0:1], off
.LBB94_75:
	s_and_not1_b32 vcc_lo, exec_lo, s21
	s_cbranch_vccnz .LBB94_77
; %bb.76:
	global_store_b32 v[6:7], v4, off
.LBB94_77:
	s_mov_b32 s21, 0
.LBB94_78:
	s_delay_alu instid0(SALU_CYCLE_1)
	s_and_not1_b32 vcc_lo, exec_lo, s21
	s_cbranch_vccnz .LBB94_80
; %bb.79:
	global_store_b16 v[6:7], v10, off
.LBB94_80:
	s_mov_b32 s21, 0
.LBB94_81:
	s_delay_alu instid0(SALU_CYCLE_1)
	s_and_not1_b32 vcc_lo, exec_lo, s21
	s_cbranch_vccnz .LBB94_97
; %bb.82:
	v_cmp_gt_i16_e32 vcc_lo, 2, v8
	s_mov_b32 s21, -1
	s_cbranch_vccnz .LBB94_92
; %bb.83:
	v_cmp_gt_i16_e32 vcc_lo, 3, v8
	s_cbranch_vccnz .LBB94_89
; %bb.84:
	v_cmp_lt_i16_e32 vcc_lo, 3, v8
	s_cbranch_vccz .LBB94_86
; %bb.85:
	v_dual_mov_b32 v2, s10 :: v_dual_mov_b32 v3, s11
	s_mov_b32 s21, 0
	global_store_b64 v[6:7], v[2:3], off
.LBB94_86:
	s_and_not1_b32 vcc_lo, exec_lo, s21
	s_cbranch_vccnz .LBB94_88
; %bb.87:
	v_mov_b32_e32 v2, s10
	global_store_b32 v[6:7], v2, off
.LBB94_88:
	s_mov_b32 s21, 0
.LBB94_89:
	s_delay_alu instid0(SALU_CYCLE_1)
	s_and_not1_b32 vcc_lo, exec_lo, s21
	s_cbranch_vccnz .LBB94_91
; %bb.90:
	global_store_b16 v[6:7], v9, off
.LBB94_91:
	s_mov_b32 s21, 0
.LBB94_92:
	s_delay_alu instid0(SALU_CYCLE_1)
	s_and_not1_b32 vcc_lo, exec_lo, s21
	s_cbranch_vccnz .LBB94_97
; %bb.93:
	v_cmp_lt_i16_e32 vcc_lo, 0, v8
	s_mov_b32 s21, -1
	s_cbranch_vccz .LBB94_95
; %bb.94:
	v_mov_b32_e32 v2, s19
	s_mov_b32 s21, 0
	global_store_b8 v[6:7], v2, off
.LBB94_95:
	s_and_not1_b32 vcc_lo, exec_lo, s21
	s_cbranch_vccnz .LBB94_97
; %bb.96:
	v_mov_b32_e32 v2, s19
	global_store_b8 v[6:7], v2, off
.LBB94_97:
	s_branch .LBB94_11
.LBB94_98:
	s_mov_b32 s24, 0
                                        ; implicit-def: $vgpr23
.LBB94_99:
	s_and_b32 s21, s9, exec_lo
	s_or_not1_b32 s24, s24, exec_lo
.LBB94_100:
	s_or_b32 exec_lo, exec_lo, s22
	s_mov_b32 s9, 0
                                        ; implicit-def: $vgpr6_vgpr7
	s_and_saveexec_b32 s22, s24
	s_cbranch_execz .LBB94_109
; %bb.101:
	s_mov_b32 s9, -1
	s_mov_b32 s23, s21
	s_mov_b32 s24, exec_lo
	v_cmpx_gt_i32_e64 s20, v23
	s_cbranch_execz .LBB94_326
; %bb.102:
	v_mul_lo_u32 v2, v23, s18
	v_cmp_gt_i16_e32 vcc_lo, 11, v8
	s_delay_alu instid0(VALU_DEP_2) | instskip(SKIP_1) | instid1(VALU_DEP_1)
	v_ashrrev_i32_e32 v3, 31, v2
	v_add_co_u32 v6, s9, s16, v2
	v_add_co_ci_u32_e64 v7, s9, s17, v3, s9
	s_cbranch_vccnz .LBB94_219
; %bb.103:
	v_cmp_lt_i16_e32 vcc_lo, 25, v8
	s_cbranch_vccz .LBB94_222
; %bb.104:
	v_cmp_lt_i16_e32 vcc_lo, 28, v8
	s_cbranch_vccz .LBB94_223
	;; [unrolled: 3-line block ×4, first 2 shown]
; %bb.107:
	v_cmp_eq_u16_e32 vcc_lo, 46, v8
	s_mov_b32 s25, 0
	s_mov_b32 s9, -1
	s_mov_b32 s23, 0
	s_cbranch_vccz .LBB94_241
; %bb.108:
	s_mov_b32 s23, -1
	s_mov_b32 s9, 0
	global_store_b32 v[6:7], v12, off
	s_branch .LBB94_241
.LBB94_109:
	s_or_b32 exec_lo, exec_lo, s22
	s_mov_b32 s0, 0
	s_and_saveexec_b32 s1, s21
	s_cbranch_execnz .LBB94_791
.LBB94_110:
	s_or_b32 exec_lo, exec_lo, s1
	s_and_saveexec_b32 s1, s23
	s_delay_alu instid0(SALU_CYCLE_1)
	s_xor_b32 s1, exec_lo, s1
	s_cbranch_execz .LBB94_112
.LBB94_111:
	v_mov_b32_e32 v2, s19
	global_store_b8 v[6:7], v2, off
.LBB94_112:
	s_or_b32 exec_lo, exec_lo, s1
	s_and_saveexec_b32 s1, s9
	s_delay_alu instid0(SALU_CYCLE_1)
	s_xor_b32 s1, exec_lo, s1
	s_cbranch_execz .LBB94_150
; %bb.113:
	v_cmp_gt_i16_e32 vcc_lo, 5, v8
	s_mov_b32 s2, -1
	s_cbranch_vccnz .LBB94_134
; %bb.114:
	v_cmp_gt_i16_e32 vcc_lo, 8, v8
	s_cbranch_vccnz .LBB94_124
; %bb.115:
	v_cmp_gt_i16_e32 vcc_lo, 9, v8
	s_cbranch_vccnz .LBB94_121
; %bb.116:
	v_cmp_lt_i16_e32 vcc_lo, 9, v8
	s_cbranch_vccz .LBB94_118
; %bb.117:
	v_mov_b32_e32 v2, 0
	s_mov_b32 s2, 0
	s_delay_alu instid0(VALU_DEP_1)
	v_mov_b32_e32 v3, v2
	global_store_b128 v[6:7], v[0:3], off
.LBB94_118:
	s_and_not1_b32 vcc_lo, exec_lo, s2
	s_cbranch_vccnz .LBB94_120
; %bb.119:
	v_mov_b32_e32 v5, 0
	global_store_b64 v[6:7], v[4:5], off
.LBB94_120:
	s_mov_b32 s2, 0
.LBB94_121:
	s_delay_alu instid0(SALU_CYCLE_1)
	s_and_not1_b32 vcc_lo, exec_lo, s2
	s_cbranch_vccnz .LBB94_123
; %bb.122:
	global_store_b32 v[6:7], v11, off
.LBB94_123:
	s_mov_b32 s2, 0
.LBB94_124:
	s_delay_alu instid0(SALU_CYCLE_1)
	s_and_not1_b32 vcc_lo, exec_lo, s2
	s_cbranch_vccnz .LBB94_133
; %bb.125:
	v_cmp_gt_i16_e32 vcc_lo, 6, v8
	s_mov_b32 s2, -1
	s_cbranch_vccnz .LBB94_131
; %bb.126:
	v_cmp_lt_i16_e32 vcc_lo, 6, v8
	s_cbranch_vccz .LBB94_128
; %bb.127:
	s_mov_b32 s2, 0
	global_store_b64 v[6:7], v[0:1], off
.LBB94_128:
	s_and_not1_b32 vcc_lo, exec_lo, s2
	s_cbranch_vccnz .LBB94_130
; %bb.129:
	global_store_b32 v[6:7], v4, off
.LBB94_130:
	s_mov_b32 s2, 0
.LBB94_131:
	s_delay_alu instid0(SALU_CYCLE_1)
	s_and_not1_b32 vcc_lo, exec_lo, s2
	s_cbranch_vccnz .LBB94_133
; %bb.132:
	global_store_b16 v[6:7], v10, off
.LBB94_133:
	s_mov_b32 s2, 0
.LBB94_134:
	s_delay_alu instid0(SALU_CYCLE_1)
	s_and_not1_b32 vcc_lo, exec_lo, s2
	s_cbranch_vccnz .LBB94_150
; %bb.135:
	v_cmp_gt_i16_e32 vcc_lo, 2, v8
	s_mov_b32 s2, -1
	s_cbranch_vccnz .LBB94_145
; %bb.136:
	v_cmp_gt_i16_e32 vcc_lo, 3, v8
	s_cbranch_vccnz .LBB94_142
; %bb.137:
	v_cmp_lt_i16_e32 vcc_lo, 3, v8
	s_cbranch_vccz .LBB94_139
; %bb.138:
	v_dual_mov_b32 v0, s10 :: v_dual_mov_b32 v1, s11
	s_mov_b32 s2, 0
	global_store_b64 v[6:7], v[0:1], off
.LBB94_139:
	s_and_not1_b32 vcc_lo, exec_lo, s2
	s_cbranch_vccnz .LBB94_141
; %bb.140:
	v_mov_b32_e32 v0, s10
	global_store_b32 v[6:7], v0, off
.LBB94_141:
	s_mov_b32 s2, 0
.LBB94_142:
	s_delay_alu instid0(SALU_CYCLE_1)
	s_and_not1_b32 vcc_lo, exec_lo, s2
	s_cbranch_vccnz .LBB94_144
; %bb.143:
	global_store_b16 v[6:7], v9, off
.LBB94_144:
	s_mov_b32 s2, 0
.LBB94_145:
	s_delay_alu instid0(SALU_CYCLE_1)
	s_and_not1_b32 vcc_lo, exec_lo, s2
	s_cbranch_vccnz .LBB94_150
; %bb.146:
	v_cmp_lt_i16_e32 vcc_lo, 0, v8
	s_mov_b32 s2, -1
	s_cbranch_vccz .LBB94_148
; %bb.147:
	v_mov_b32_e32 v0, s19
	s_mov_b32 s2, 0
	global_store_b8 v[6:7], v0, off
.LBB94_148:
	s_and_not1_b32 vcc_lo, exec_lo, s2
	s_cbranch_vccnz .LBB94_150
; %bb.149:
	v_mov_b32_e32 v0, s19
	global_store_b8 v[6:7], v0, off
.LBB94_150:
	s_or_b32 exec_lo, exec_lo, s1
	s_delay_alu instid0(SALU_CYCLE_1)
	s_and_b32 s2, s0, exec_lo
                                        ; implicit-def: $vgpr8
                                        ; implicit-def: $vgpr23
.LBB94_151:
	s_or_saveexec_b32 s3, s13
	s_mov_b32 s0, 0
                                        ; implicit-def: $vgpr0_vgpr1
                                        ; implicit-def: $sgpr1
	s_xor_b32 exec_lo, exec_lo, s3
	s_cbranch_execz .LBB94_685
; %bb.152:
	v_mul_lo_u32 v2, s18, v23
	v_cmp_gt_i16_e32 vcc_lo, 11, v8
	s_bitcmp1_b32 s19, 0
	s_cselect_b32 s1, -1, 0
	s_delay_alu instid0(VALU_DEP_2) | instskip(SKIP_1) | instid1(VALU_DEP_1)
	v_ashrrev_i32_e32 v1, 31, v2
	v_add_co_u32 v0, s0, s16, v2
	v_add_co_ci_u32_e64 v1, s0, s17, v1, s0
	s_cbranch_vccnz .LBB94_180
; %bb.153:
	v_cmp_lt_i16_e32 vcc_lo, 25, v8
	s_mov_b32 s4, -1
	s_mov_b32 s5, 0
	s_mov_b32 s6, 0
	;; [unrolled: 1-line block ×3, first 2 shown]
	s_cbranch_vccz .LBB94_233
; %bb.154:
	v_cmp_lt_i16_e32 vcc_lo, 28, v8
	s_cbranch_vccz .LBB94_169
; %bb.155:
	v_cmp_lt_i16_e32 vcc_lo, 43, v8
	;; [unrolled: 3-line block ×3, first 2 shown]
	s_cbranch_vccz .LBB94_159
; %bb.157:
	v_cmp_eq_u16_e32 vcc_lo, 46, v8
	s_mov_b32 s0, -1
	s_mov_b32 s4, 0
	s_cbranch_vccz .LBB94_159
; %bb.158:
	v_cndmask_b32_e64 v3, 0, 1.0, s1
	s_mov_b32 s0, 0
	s_mov_b32 s6, -1
	s_delay_alu instid0(VALU_DEP_1) | instskip(NEXT) | instid1(VALU_DEP_1)
	v_bfe_u32 v4, v3, 16, 1
	v_add_nc_u32_e32 v3, v3, v4
	s_delay_alu instid0(VALU_DEP_1) | instskip(NEXT) | instid1(VALU_DEP_1)
	v_add_nc_u32_e32 v3, 0x7fff, v3
	v_lshrrev_b32_e32 v3, 16, v3
	global_store_b32 v[0:1], v3, off
.LBB94_159:
	s_and_b32 vcc_lo, exec_lo, s4
	s_cbranch_vccz .LBB94_164
; %bb.160:
	v_cmp_eq_u16_e32 vcc_lo, 44, v8
	s_mov_b32 s0, -1
	s_cbranch_vccz .LBB94_164
; %bb.161:
	v_cndmask_b32_e64 v3, 0, 1.0, s1
	s_delay_alu instid0(VALU_DEP_1) | instskip(SKIP_1) | instid1(VALU_DEP_2)
	v_readfirstlane_b32 s4, v3
	v_mov_b32_e32 v3, 0xff
	s_lshr_b32 s0, s4, 23
	s_delay_alu instid0(SALU_CYCLE_1)
	s_cmpk_eq_i32 s0, 0xff
	s_cbranch_scc1 .LBB94_163
; %bb.162:
	s_bitcmp1_b32 s4, 22
	s_cselect_b32 s6, -1, 0
	s_and_b32 s4, s4, 0x3fffff
	s_delay_alu instid0(SALU_CYCLE_1) | instskip(NEXT) | instid1(SALU_CYCLE_1)
	s_or_b32 s4, s0, s4
	s_cmp_lg_u32 s4, 0
	s_cselect_b32 s4, -1, 0
	s_delay_alu instid0(SALU_CYCLE_1) | instskip(NEXT) | instid1(SALU_CYCLE_1)
	s_and_b32 s4, s6, s4
	v_cndmask_b32_e64 v3, 0, 1, s4
	s_delay_alu instid0(VALU_DEP_1)
	v_add_nc_u32_e32 v3, s0, v3
.LBB94_163:
	s_mov_b32 s0, 0
	s_mov_b32 s6, -1
	global_store_b8 v[0:1], v3, off
.LBB94_164:
	s_mov_b32 s4, 0
.LBB94_165:
	s_delay_alu instid0(SALU_CYCLE_1)
	s_and_b32 vcc_lo, exec_lo, s4
	s_cbranch_vccz .LBB94_168
; %bb.166:
	v_cmp_eq_u16_e32 vcc_lo, 29, v8
	s_mov_b32 s0, -1
	s_cbranch_vccz .LBB94_168
; %bb.167:
	s_and_b32 s0, s19, 0xff
	s_mov_b32 s6, -1
	v_dual_mov_b32 v3, s0 :: v_dual_mov_b32 v4, 0
	s_mov_b32 s0, 0
	global_store_b64 v[0:1], v[3:4], off
.LBB94_168:
	s_mov_b32 s4, 0
.LBB94_169:
	s_delay_alu instid0(SALU_CYCLE_1)
	s_and_b32 vcc_lo, exec_lo, s4
	s_cbranch_vccz .LBB94_232
; %bb.170:
	v_cmp_gt_i16_e32 vcc_lo, 27, v8
	s_mov_b32 s4, -1
	s_cbranch_vccnz .LBB94_176
; %bb.171:
	v_cmp_lt_i16_e32 vcc_lo, 27, v8
	s_cbranch_vccz .LBB94_173
; %bb.172:
	s_and_b32 s4, s19, 0xff
	s_delay_alu instid0(SALU_CYCLE_1)
	v_mov_b32_e32 v3, s4
	s_mov_b32 s4, 0
	global_store_b32 v[0:1], v3, off
.LBB94_173:
	s_and_not1_b32 vcc_lo, exec_lo, s4
	s_cbranch_vccnz .LBB94_175
; %bb.174:
	v_and_b32_e64 v3, 0xff, s19
	global_store_b16 v[0:1], v3, off
.LBB94_175:
	s_mov_b32 s4, 0
.LBB94_176:
	s_delay_alu instid0(SALU_CYCLE_1)
	s_and_not1_b32 vcc_lo, exec_lo, s4
	s_cbranch_vccnz .LBB94_231
; %bb.177:
	v_cndmask_b32_e64 v3, 0, 1.0, s1
	v_mov_b32_e32 v5, 0x80
	s_delay_alu instid0(VALU_DEP_2)
	v_cmp_lt_u32_e32 vcc_lo, 0x437fffff, v3
	v_readfirstlane_b32 s4, v3
	s_cbranch_vccnz .LBB94_230
; %bb.178:
	s_delay_alu instid0(VALU_DEP_1)
	s_cmp_gt_u32 s4, 0x3bffffff
	s_cbranch_scc0 .LBB94_225
; %bb.179:
	s_bfe_u32 s6, s4, 0x10014
	s_delay_alu instid0(SALU_CYCLE_1) | instskip(SKIP_2) | instid1(SALU_CYCLE_1)
	s_add_i32 s4, s4, s6
	s_mov_b32 s6, 0
	s_add_i32 s4, s4, 0x487ffff
	s_lshr_b32 s7, s4, 20
	s_mov_b32 s4, -1
	s_branch .LBB94_226
.LBB94_180:
	s_mov_b32 s6, 0
	s_mov_b32 s4, s2
	s_cbranch_execz .LBB94_382
; %bb.181:
	v_cmp_gt_i16_e32 vcc_lo, 5, v8
	s_mov_b32 s0, -1
	s_cbranch_vccnz .LBB94_202
; %bb.182:
	v_cmp_gt_i16_e32 vcc_lo, 8, v8
	s_cbranch_vccnz .LBB94_192
; %bb.183:
	v_cmp_gt_i16_e32 vcc_lo, 9, v8
	s_cbranch_vccnz .LBB94_189
; %bb.184:
	v_cmp_lt_i16_e32 vcc_lo, 9, v8
	s_cbranch_vccz .LBB94_186
; %bb.185:
	v_cndmask_b32_e64 v3, 0, 1, s1
	v_mov_b32_e32 v5, 0
	s_mov_b32 s0, 0
	s_delay_alu instid0(VALU_DEP_2) | instskip(NEXT) | instid1(VALU_DEP_2)
	v_cvt_f64_u32_e32 v[3:4], v3
	v_mov_b32_e32 v6, v5
	global_store_b128 v[0:1], v[3:6], off
.LBB94_186:
	s_and_not1_b32 vcc_lo, exec_lo, s0
	s_cbranch_vccnz .LBB94_188
; %bb.187:
	v_cndmask_b32_e64 v3, 0, 1.0, s1
	v_mov_b32_e32 v4, 0
	global_store_b64 v[0:1], v[3:4], off
.LBB94_188:
	s_mov_b32 s0, 0
.LBB94_189:
	s_delay_alu instid0(SALU_CYCLE_1)
	s_and_not1_b32 vcc_lo, exec_lo, s0
	s_cbranch_vccnz .LBB94_191
; %bb.190:
	v_cndmask_b32_e64 v3, 0, 1.0, s1
	s_delay_alu instid0(VALU_DEP_1) | instskip(NEXT) | instid1(VALU_DEP_1)
	v_cvt_f16_f32_e32 v3, v3
	v_and_b32_e32 v3, 0xffff, v3
	global_store_b32 v[0:1], v3, off
.LBB94_191:
	s_mov_b32 s0, 0
.LBB94_192:
	s_delay_alu instid0(SALU_CYCLE_1)
	s_and_not1_b32 vcc_lo, exec_lo, s0
	s_cbranch_vccnz .LBB94_201
; %bb.193:
	v_cmp_gt_i16_e32 vcc_lo, 6, v8
	s_mov_b32 s0, -1
	s_cbranch_vccnz .LBB94_199
; %bb.194:
	v_cmp_lt_i16_e32 vcc_lo, 6, v8
	s_cbranch_vccz .LBB94_196
; %bb.195:
	v_cndmask_b32_e64 v3, 0, 1, s1
	s_mov_b32 s0, 0
	s_delay_alu instid0(VALU_DEP_1)
	v_cvt_f64_u32_e32 v[3:4], v3
	global_store_b64 v[0:1], v[3:4], off
.LBB94_196:
	s_and_not1_b32 vcc_lo, exec_lo, s0
	s_cbranch_vccnz .LBB94_198
; %bb.197:
	v_cndmask_b32_e64 v3, 0, 1.0, s1
	global_store_b32 v[0:1], v3, off
.LBB94_198:
	s_mov_b32 s0, 0
.LBB94_199:
	s_delay_alu instid0(SALU_CYCLE_1)
	s_and_not1_b32 vcc_lo, exec_lo, s0
	s_cbranch_vccnz .LBB94_201
; %bb.200:
	v_cndmask_b32_e64 v3, 0, 1.0, s1
	s_delay_alu instid0(VALU_DEP_1)
	v_cvt_f16_f32_e32 v3, v3
	global_store_b16 v[0:1], v3, off
.LBB94_201:
	s_mov_b32 s0, 0
.LBB94_202:
	s_delay_alu instid0(SALU_CYCLE_1)
	s_and_not1_b32 vcc_lo, exec_lo, s0
	s_cbranch_vccnz .LBB94_218
; %bb.203:
	v_cmp_gt_i16_e32 vcc_lo, 2, v8
	s_mov_b32 s0, -1
	s_cbranch_vccnz .LBB94_213
; %bb.204:
	v_cmp_gt_i16_e32 vcc_lo, 3, v8
	s_cbranch_vccnz .LBB94_210
; %bb.205:
	v_cmp_lt_i16_e32 vcc_lo, 3, v8
	s_cbranch_vccz .LBB94_207
; %bb.206:
	s_and_b32 s0, s19, 0xff
	s_delay_alu instid0(SALU_CYCLE_1)
	v_dual_mov_b32 v4, 0 :: v_dual_mov_b32 v3, s0
	s_mov_b32 s0, 0
	global_store_b64 v[0:1], v[3:4], off
.LBB94_207:
	s_and_not1_b32 vcc_lo, exec_lo, s0
	s_cbranch_vccnz .LBB94_209
; %bb.208:
	s_and_b32 s0, s19, 0xff
	s_delay_alu instid0(SALU_CYCLE_1)
	v_mov_b32_e32 v3, s0
	global_store_b32 v[0:1], v3, off
.LBB94_209:
	s_mov_b32 s0, 0
.LBB94_210:
	s_delay_alu instid0(SALU_CYCLE_1)
	s_and_not1_b32 vcc_lo, exec_lo, s0
	s_cbranch_vccnz .LBB94_212
; %bb.211:
	v_and_b32_e64 v3, 0xff, s19
	global_store_b16 v[0:1], v3, off
.LBB94_212:
	s_mov_b32 s0, 0
.LBB94_213:
	s_delay_alu instid0(SALU_CYCLE_1)
	s_and_not1_b32 vcc_lo, exec_lo, s0
	s_cbranch_vccnz .LBB94_218
; %bb.214:
	v_cmp_lt_i16_e32 vcc_lo, 0, v8
	s_mov_b32 s0, -1
	s_cbranch_vccz .LBB94_216
; %bb.215:
	v_mov_b32_e32 v3, s19
	s_mov_b32 s0, 0
	global_store_b8 v[0:1], v3, off
.LBB94_216:
	s_and_not1_b32 vcc_lo, exec_lo, s0
	s_cbranch_vccnz .LBB94_218
; %bb.217:
	v_mov_b32_e32 v3, s19
	global_store_b8 v[0:1], v3, off
.LBB94_218:
	s_branch .LBB94_383
.LBB94_219:
	s_mov_b32 s23, 0
	s_mov_b32 s9, s21
	s_cbranch_execnz .LBB94_286
.LBB94_220:
	s_and_not1_b32 vcc_lo, exec_lo, s23
	s_cbranch_vccnz .LBB94_324
.LBB94_221:
	v_add_nc_u32_e32 v23, 0x80, v23
	s_mov_b32 s25, -1
	s_branch .LBB94_325
.LBB94_222:
	s_mov_b32 s25, -1
	s_mov_b32 s23, 0
	s_mov_b32 s9, s21
	s_branch .LBB94_263
.LBB94_223:
	s_mov_b32 s25, -1
	s_mov_b32 s23, 0
	s_mov_b32 s9, s21
	s_branch .LBB94_249
.LBB94_224:
	s_mov_b32 s25, -1
	s_mov_b32 s23, 0
	s_mov_b32 s9, s21
	s_branch .LBB94_245
.LBB94_225:
	s_mov_b32 s6, -1
	s_mov_b32 s4, 0
                                        ; implicit-def: $sgpr7
.LBB94_226:
	v_mov_b32_e32 v4, s7
	s_and_not1_b32 vcc_lo, exec_lo, s6
                                        ; implicit-def: $sgpr6
	s_cbranch_vccnz .LBB94_228
; %bb.227:
	v_add_f32_e32 v3, 0x46000000, v3
	s_mov_b32 s6, 0
	s_delay_alu instid0(VALU_DEP_1) | instskip(NEXT) | instid1(VALU_DEP_1)
	v_and_b32_e32 v4, 0xff, v3
	v_cmp_ne_u32_e64 s4, 0, v4
.LBB94_228:
	v_mov_b32_e32 v5, s6
	s_delay_alu instid0(VALU_DEP_2)
	s_and_not1_b32 vcc_lo, exec_lo, s4
	s_cbranch_vccnz .LBB94_230
; %bb.229:
	v_mov_b32_e32 v5, v4
.LBB94_230:
	global_store_b8 v[0:1], v5, off
.LBB94_231:
	s_mov_b32 s6, -1
.LBB94_232:
	s_mov_b32 s4, 0
.LBB94_233:
	s_delay_alu instid0(SALU_CYCLE_1)
	s_and_b32 vcc_lo, exec_lo, s4
	s_cbranch_vccz .LBB94_378
; %bb.234:
	v_cmp_lt_i16_e32 vcc_lo, 22, v8
	s_mov_b32 s4, -1
	s_cbranch_vccz .LBB94_371
; %bb.235:
	v_cmp_gt_i16_e32 vcc_lo, 24, v8
	s_cbranch_vccnz .LBB94_358
; %bb.236:
	v_cmp_lt_i16_e32 vcc_lo, 24, v8
	s_cbranch_vccz .LBB94_345
; %bb.237:
	v_cndmask_b32_e64 v3, 0, 1.0, s1
	v_mov_b32_e32 v5, 0x80
	s_delay_alu instid0(VALU_DEP_2)
	v_cmp_lt_u32_e32 vcc_lo, 0x477fffff, v3
	v_readfirstlane_b32 s4, v3
	s_cbranch_vccnz .LBB94_344
; %bb.238:
	s_delay_alu instid0(VALU_DEP_1)
	s_cmp_gt_u32 s4, 0x37ffffff
	s_cbranch_scc0 .LBB94_339
; %bb.239:
	s_bfe_u32 s5, s4, 0x10015
	s_delay_alu instid0(SALU_CYCLE_1) | instskip(SKIP_2) | instid1(SALU_CYCLE_1)
	s_add_i32 s4, s4, s5
	s_mov_b32 s5, 0
	s_add_i32 s4, s4, 0x88fffff
	s_lshr_b32 s6, s4, 21
	s_mov_b32 s4, -1
	s_branch .LBB94_340
.LBB94_240:
	s_mov_b32 s25, -1
	s_mov_b32 s23, 0
	s_mov_b32 s9, s21
.LBB94_241:
	s_and_b32 vcc_lo, exec_lo, s25
	s_cbranch_vccz .LBB94_244
; %bb.242:
	v_cmp_eq_u16_e32 vcc_lo, 44, v8
	s_mov_b32 s9, -1
	s_cbranch_vccz .LBB94_244
; %bb.243:
	v_cndmask_b32_e64 v2, v24, 0xff, s8
	s_mov_b32 s23, -1
	s_mov_b32 s9, 0
	global_store_b8 v[6:7], v2, off
.LBB94_244:
	s_mov_b32 s25, 0
.LBB94_245:
	s_delay_alu instid0(SALU_CYCLE_1)
	s_and_b32 vcc_lo, exec_lo, s25
	s_cbranch_vccz .LBB94_248
; %bb.246:
	v_cmp_eq_u16_e32 vcc_lo, 29, v8
	s_mov_b32 s9, -1
	s_cbranch_vccz .LBB94_248
; %bb.247:
	v_dual_mov_b32 v2, s10 :: v_dual_mov_b32 v3, s11
	s_mov_b32 s23, -1
	s_mov_b32 s9, 0
	s_mov_b32 s25, 0
	global_store_b64 v[6:7], v[2:3], off
	s_branch .LBB94_249
.LBB94_248:
	s_mov_b32 s25, 0
.LBB94_249:
	s_delay_alu instid0(SALU_CYCLE_1)
	s_and_b32 vcc_lo, exec_lo, s25
	s_cbranch_vccz .LBB94_262
; %bb.250:
	v_cmp_gt_i16_e32 vcc_lo, 27, v8
	s_mov_b32 s23, -1
	s_cbranch_vccnz .LBB94_256
; %bb.251:
	v_cmp_lt_i16_e32 vcc_lo, 27, v8
	s_cbranch_vccz .LBB94_253
; %bb.252:
	v_mov_b32_e32 v2, s10
	s_mov_b32 s23, 0
	global_store_b32 v[6:7], v2, off
.LBB94_253:
	s_and_not1_b32 vcc_lo, exec_lo, s23
	s_cbranch_vccnz .LBB94_255
; %bb.254:
	global_store_b16 v[6:7], v9, off
.LBB94_255:
	s_mov_b32 s23, 0
.LBB94_256:
	s_delay_alu instid0(SALU_CYCLE_1)
	s_and_not1_b32 vcc_lo, exec_lo, s23
	s_cbranch_vccnz .LBB94_261
; %bb.257:
	v_mov_b32_e32 v2, 0x80
	s_and_not1_b32 vcc_lo, exec_lo, s7
	s_cbranch_vccnz .LBB94_260
; %bb.258:
	v_mov_b32_e32 v2, 0
	s_or_b32 s23, s6, s15
	s_delay_alu instid0(SALU_CYCLE_1)
	s_and_not1_b32 vcc_lo, exec_lo, s23
	s_cbranch_vccnz .LBB94_260
; %bb.259:
	v_cndmask_b32_e64 v2, v21, v22, s6
.LBB94_260:
	global_store_b8 v[6:7], v2, off
.LBB94_261:
	s_mov_b32 s23, -1
.LBB94_262:
	s_mov_b32 s25, 0
.LBB94_263:
	s_delay_alu instid0(SALU_CYCLE_1)
	s_and_b32 vcc_lo, exec_lo, s25
	s_cbranch_vccz .LBB94_285
; %bb.264:
	v_cmp_lt_i16_e32 vcc_lo, 22, v8
	s_mov_b32 s25, -1
	s_cbranch_vccz .LBB94_277
; %bb.265:
	v_cmp_gt_i16_e32 vcc_lo, 24, v8
	s_mov_b32 s23, -1
	s_cbranch_vccnz .LBB94_274
; %bb.266:
	v_cmp_lt_i16_e32 vcc_lo, 24, v8
	s_cbranch_vccz .LBB94_271
; %bb.267:
	v_mov_b32_e32 v2, 0x80
	s_and_not1_b32 vcc_lo, exec_lo, s5
	s_cbranch_vccnz .LBB94_270
; %bb.268:
	v_mov_b32_e32 v2, 0
	s_or_b32 s23, s4, s14
	s_delay_alu instid0(SALU_CYCLE_1)
	s_and_not1_b32 vcc_lo, exec_lo, s23
	s_cbranch_vccnz .LBB94_270
; %bb.269:
	v_cndmask_b32_e64 v2, v17, v20, s4
.LBB94_270:
	s_mov_b32 s23, 0
	global_store_b8 v[6:7], v2, off
.LBB94_271:
	s_and_b32 vcc_lo, exec_lo, s23
	s_cbranch_vccz .LBB94_273
; %bb.272:
	v_cndmask_b32_e64 v2, v16, v18, s3
	s_delay_alu instid0(VALU_DEP_1)
	v_cndmask_b32_e64 v2, v2, v19, s2
	global_store_b8 v[6:7], v2, off
.LBB94_273:
	s_mov_b32 s23, 0
.LBB94_274:
	s_delay_alu instid0(SALU_CYCLE_1)
	s_and_not1_b32 vcc_lo, exec_lo, s23
	s_cbranch_vccnz .LBB94_276
; %bb.275:
	v_cndmask_b32_e64 v2, v13, v14, s1
	s_delay_alu instid0(VALU_DEP_1)
	v_cndmask_b32_e64 v2, v2, v15, s0
	global_store_b8 v[6:7], v2, off
.LBB94_276:
	s_mov_b32 s25, 0
	s_mov_b32 s23, -1
.LBB94_277:
	s_and_not1_b32 vcc_lo, exec_lo, s25
	s_cbranch_vccnz .LBB94_285
; %bb.278:
	v_cmp_lt_i16_e32 vcc_lo, 14, v8
	s_mov_b32 s25, -1
	s_cbranch_vccz .LBB94_282
; %bb.279:
	v_cmp_eq_u16_e32 vcc_lo, 15, v8
	s_mov_b32 s9, -1
	s_cbranch_vccz .LBB94_281
; %bb.280:
	s_mov_b32 s23, -1
	s_mov_b32 s9, 0
	global_store_b16 v[6:7], v12, off
.LBB94_281:
	s_mov_b32 s25, 0
.LBB94_282:
	s_delay_alu instid0(SALU_CYCLE_1)
	s_and_b32 vcc_lo, exec_lo, s25
	s_cbranch_vccz .LBB94_285
; %bb.283:
	v_cmp_eq_u16_e32 vcc_lo, 11, v8
	s_mov_b32 s9, -1
	s_cbranch_vccz .LBB94_285
; %bb.284:
	v_mov_b32_e32 v2, s19
	s_mov_b32 s23, -1
	s_mov_b32 s9, 0
	global_store_b8 v[6:7], v2, off
.LBB94_285:
	s_branch .LBB94_220
.LBB94_286:
	v_cmp_gt_i16_e32 vcc_lo, 5, v8
	s_mov_b32 s23, -1
	s_cbranch_vccnz .LBB94_307
; %bb.287:
	v_cmp_gt_i16_e32 vcc_lo, 8, v8
	s_cbranch_vccnz .LBB94_297
; %bb.288:
	v_cmp_gt_i16_e32 vcc_lo, 9, v8
	s_cbranch_vccnz .LBB94_294
; %bb.289:
	v_cmp_lt_i16_e32 vcc_lo, 9, v8
	s_cbranch_vccz .LBB94_291
; %bb.290:
	v_mov_b32_e32 v2, 0
	s_mov_b32 s23, 0
	s_delay_alu instid0(VALU_DEP_1)
	v_mov_b32_e32 v3, v2
	global_store_b128 v[6:7], v[0:3], off
.LBB94_291:
	s_and_not1_b32 vcc_lo, exec_lo, s23
	s_cbranch_vccnz .LBB94_293
; %bb.292:
	v_mov_b32_e32 v5, 0
	global_store_b64 v[6:7], v[4:5], off
.LBB94_293:
	s_mov_b32 s23, 0
.LBB94_294:
	s_delay_alu instid0(SALU_CYCLE_1)
	s_and_not1_b32 vcc_lo, exec_lo, s23
	s_cbranch_vccnz .LBB94_296
; %bb.295:
	global_store_b32 v[6:7], v11, off
.LBB94_296:
	s_mov_b32 s23, 0
.LBB94_297:
	s_delay_alu instid0(SALU_CYCLE_1)
	s_and_not1_b32 vcc_lo, exec_lo, s23
	s_cbranch_vccnz .LBB94_306
; %bb.298:
	v_cmp_gt_i16_e32 vcc_lo, 6, v8
	s_mov_b32 s23, -1
	s_cbranch_vccnz .LBB94_304
; %bb.299:
	v_cmp_lt_i16_e32 vcc_lo, 6, v8
	s_cbranch_vccz .LBB94_301
; %bb.300:
	s_mov_b32 s23, 0
	global_store_b64 v[6:7], v[0:1], off
.LBB94_301:
	s_and_not1_b32 vcc_lo, exec_lo, s23
	s_cbranch_vccnz .LBB94_303
; %bb.302:
	global_store_b32 v[6:7], v4, off
.LBB94_303:
	s_mov_b32 s23, 0
.LBB94_304:
	s_delay_alu instid0(SALU_CYCLE_1)
	s_and_not1_b32 vcc_lo, exec_lo, s23
	s_cbranch_vccnz .LBB94_306
; %bb.305:
	global_store_b16 v[6:7], v10, off
.LBB94_306:
	s_mov_b32 s23, 0
.LBB94_307:
	s_delay_alu instid0(SALU_CYCLE_1)
	s_and_not1_b32 vcc_lo, exec_lo, s23
	s_cbranch_vccnz .LBB94_323
; %bb.308:
	v_cmp_gt_i16_e32 vcc_lo, 2, v8
	s_mov_b32 s23, -1
	s_cbranch_vccnz .LBB94_318
; %bb.309:
	v_cmp_gt_i16_e32 vcc_lo, 3, v8
	s_cbranch_vccnz .LBB94_315
; %bb.310:
	v_cmp_lt_i16_e32 vcc_lo, 3, v8
	s_cbranch_vccz .LBB94_312
; %bb.311:
	v_dual_mov_b32 v2, s10 :: v_dual_mov_b32 v3, s11
	s_mov_b32 s23, 0
	global_store_b64 v[6:7], v[2:3], off
.LBB94_312:
	s_and_not1_b32 vcc_lo, exec_lo, s23
	s_cbranch_vccnz .LBB94_314
; %bb.313:
	v_mov_b32_e32 v2, s10
	global_store_b32 v[6:7], v2, off
.LBB94_314:
	s_mov_b32 s23, 0
.LBB94_315:
	s_delay_alu instid0(SALU_CYCLE_1)
	s_and_not1_b32 vcc_lo, exec_lo, s23
	s_cbranch_vccnz .LBB94_317
; %bb.316:
	global_store_b16 v[6:7], v9, off
.LBB94_317:
	s_mov_b32 s23, 0
.LBB94_318:
	s_delay_alu instid0(SALU_CYCLE_1)
	s_and_not1_b32 vcc_lo, exec_lo, s23
	s_cbranch_vccnz .LBB94_323
; %bb.319:
	v_cmp_lt_i16_e32 vcc_lo, 0, v8
	s_mov_b32 s23, -1
	s_cbranch_vccz .LBB94_321
; %bb.320:
	v_mov_b32_e32 v2, s19
	s_mov_b32 s23, 0
	global_store_b8 v[6:7], v2, off
.LBB94_321:
	s_and_not1_b32 vcc_lo, exec_lo, s23
	s_cbranch_vccnz .LBB94_323
; %bb.322:
	v_mov_b32_e32 v2, s19
	global_store_b8 v[6:7], v2, off
.LBB94_323:
	s_branch .LBB94_221
.LBB94_324:
	s_mov_b32 s25, 0
                                        ; implicit-def: $vgpr23
.LBB94_325:
	s_and_not1_b32 s23, s21, exec_lo
	s_and_b32 s9, s9, exec_lo
	s_delay_alu instid0(SALU_CYCLE_1)
	s_or_b32 s23, s23, s9
	s_or_not1_b32 s9, s25, exec_lo
.LBB94_326:
	s_or_b32 exec_lo, exec_lo, s24
	s_mov_b32 s25, 0
	s_mov_b32 s27, 0
                                        ; implicit-def: $vgpr6_vgpr7
	s_and_saveexec_b32 s24, s9
	s_cbranch_execz .LBB94_790
; %bb.327:
	s_mov_b32 s28, -1
	s_mov_b32 s26, s23
	s_mov_b32 s25, exec_lo
	v_cmpx_gt_i32_e64 s20, v23
	s_cbranch_execz .LBB94_558
; %bb.328:
	v_mul_lo_u32 v2, v23, s18
	v_cmp_gt_i16_e32 vcc_lo, 11, v8
	s_delay_alu instid0(VALU_DEP_2) | instskip(SKIP_1) | instid1(VALU_DEP_1)
	v_ashrrev_i32_e32 v3, 31, v2
	v_add_co_u32 v6, s9, s16, v2
	v_add_co_ci_u32_e64 v7, s9, s17, v3, s9
	s_cbranch_vccnz .LBB94_335
; %bb.329:
	v_cmp_lt_i16_e32 vcc_lo, 25, v8
	s_cbranch_vccz .LBB94_336
; %bb.330:
	v_cmp_lt_i16_e32 vcc_lo, 28, v8
	s_cbranch_vccz .LBB94_337
	;; [unrolled: 3-line block ×4, first 2 shown]
; %bb.333:
	v_cmp_eq_u16_e32 vcc_lo, 46, v8
	s_mov_b32 s9, -1
	s_mov_b32 s26, 0
	s_cbranch_vccz .LBB94_470
; %bb.334:
	s_mov_b32 s26, -1
	s_mov_b32 s9, 0
	global_store_b32 v[6:7], v12, off
	s_branch .LBB94_470
.LBB94_335:
	s_mov_b32 s27, -1
	s_mov_b32 s26, 0
	s_mov_b32 s9, s23
	s_branch .LBB94_515
.LBB94_336:
	s_mov_b32 s27, -1
	s_mov_b32 s26, 0
	s_mov_b32 s9, s23
	s_branch .LBB94_492
.LBB94_337:
	s_mov_b32 s27, -1
	s_mov_b32 s26, 0
	s_mov_b32 s9, s23
	s_branch .LBB94_478
.LBB94_338:
	s_mov_b32 s27, -1
	s_mov_b32 s26, 0
	s_mov_b32 s9, s23
	s_branch .LBB94_474
.LBB94_339:
	s_mov_b32 s5, -1
	s_mov_b32 s4, 0
                                        ; implicit-def: $sgpr6
.LBB94_340:
	v_mov_b32_e32 v4, s6
	s_and_not1_b32 vcc_lo, exec_lo, s5
                                        ; implicit-def: $sgpr5
	s_cbranch_vccnz .LBB94_342
; %bb.341:
	v_add_f32_e32 v3, 0x42800000, v3
	s_mov_b32 s5, 0
	s_delay_alu instid0(VALU_DEP_1) | instskip(NEXT) | instid1(VALU_DEP_1)
	v_and_b32_e32 v4, 0xff, v3
	v_cmp_ne_u32_e64 s4, 0, v4
.LBB94_342:
	v_mov_b32_e32 v5, s5
	s_delay_alu instid0(VALU_DEP_2)
	s_and_not1_b32 vcc_lo, exec_lo, s4
	s_cbranch_vccnz .LBB94_344
; %bb.343:
	v_mov_b32_e32 v5, v4
.LBB94_344:
	s_mov_b32 s4, 0
	global_store_b8 v[0:1], v5, off
.LBB94_345:
	s_and_b32 vcc_lo, exec_lo, s4
	s_cbranch_vccz .LBB94_357
; %bb.346:
	v_cndmask_b32_e64 v3, 0, 1.0, s1
	s_delay_alu instid0(VALU_DEP_1)
	v_cmp_gt_u32_e32 vcc_lo, 0x43f00000, v3
	v_readfirstlane_b32 s4, v3
	s_cbranch_vccz .LBB94_349
; %bb.347:
	s_delay_alu instid0(VALU_DEP_1)
	s_cmp_gt_u32 s4, 0x3c7fffff
	s_cbranch_scc0 .LBB94_350
; %bb.348:
	s_bfe_u32 s5, s4, 0x10014
	s_delay_alu instid0(SALU_CYCLE_1) | instskip(NEXT) | instid1(SALU_CYCLE_1)
	s_add_i32 s5, s4, s5
	s_add_i32 s5, s5, 0x407ffff
	s_delay_alu instid0(SALU_CYCLE_1)
	s_and_b32 s6, s5, 0xff00000
	s_lshr_b32 s5, s5, 20
	s_cmp_lg_u32 s6, 0x7f00000
	s_cselect_b32 s6, s5, 0x7e
	s_mov_b32 s5, 0
	s_branch .LBB94_351
.LBB94_349:
	s_mov_b32 s5, -1
                                        ; implicit-def: $vgpr4
	s_branch .LBB94_354
.LBB94_350:
	s_mov_b32 s5, -1
                                        ; implicit-def: $sgpr6
.LBB94_351:
	v_mov_b32_e32 v4, s6
	s_and_not1_b32 vcc_lo, exec_lo, s5
	s_cbranch_vccnz .LBB94_353
; %bb.352:
	v_add_f32_e32 v4, 0x46800000, v3
.LBB94_353:
	s_mov_b32 s5, 0
.LBB94_354:
	s_delay_alu instid0(SALU_CYCLE_1)
	s_and_not1_b32 vcc_lo, exec_lo, s5
	s_cbranch_vccnz .LBB94_356
; %bb.355:
	s_cmp_gt_u32 s4, 0x7f800000
	s_movk_i32 s4, 0x7f
	s_delay_alu instid0(SALU_CYCLE_1) | instskip(NEXT) | instid1(SALU_CYCLE_1)
	s_cselect_b32 s4, s4, 0x7e
	v_mov_b32_e32 v4, s4
.LBB94_356:
	global_store_b8 v[0:1], v4, off
.LBB94_357:
	s_mov_b32 s4, 0
.LBB94_358:
	s_delay_alu instid0(SALU_CYCLE_1)
	s_and_not1_b32 vcc_lo, exec_lo, s4
	s_cbranch_vccnz .LBB94_370
; %bb.359:
	v_cndmask_b32_e64 v3, 0, 1.0, s1
	s_delay_alu instid0(VALU_DEP_1)
	v_cmp_gt_u32_e32 vcc_lo, 0x47800000, v3
	v_readfirstlane_b32 s4, v3
	s_cbranch_vccz .LBB94_362
; %bb.360:
	s_delay_alu instid0(VALU_DEP_1)
	s_cmp_gt_u32 s4, 0x387fffff
	s_cbranch_scc0 .LBB94_363
; %bb.361:
	s_bfe_u32 s5, s4, 0x10015
	s_delay_alu instid0(SALU_CYCLE_1) | instskip(NEXT) | instid1(SALU_CYCLE_1)
	s_add_i32 s5, s4, s5
	s_add_i32 s5, s5, 0x80fffff
	s_delay_alu instid0(SALU_CYCLE_1)
	s_lshr_b32 s6, s5, 21
	s_mov_b32 s5, 0
	s_branch .LBB94_364
.LBB94_362:
	s_mov_b32 s5, -1
                                        ; implicit-def: $vgpr4
	s_branch .LBB94_367
.LBB94_363:
	s_mov_b32 s5, -1
                                        ; implicit-def: $sgpr6
.LBB94_364:
	v_mov_b32_e32 v4, s6
	s_and_not1_b32 vcc_lo, exec_lo, s5
	s_cbranch_vccnz .LBB94_366
; %bb.365:
	v_add_f32_e32 v4, 0x43000000, v3
.LBB94_366:
	s_mov_b32 s5, 0
.LBB94_367:
	s_delay_alu instid0(SALU_CYCLE_1)
	s_and_not1_b32 vcc_lo, exec_lo, s5
	s_cbranch_vccnz .LBB94_369
; %bb.368:
	s_cmp_gt_u32 s4, 0x7f800000
	s_movk_i32 s4, 0x7f
	s_delay_alu instid0(SALU_CYCLE_1) | instskip(NEXT) | instid1(SALU_CYCLE_1)
	s_cselect_b32 s4, s4, 0x7c
	v_mov_b32_e32 v4, s4
.LBB94_369:
	global_store_b8 v[0:1], v4, off
.LBB94_370:
	s_mov_b32 s4, 0
	s_mov_b32 s6, -1
.LBB94_371:
	s_and_not1_b32 vcc_lo, exec_lo, s4
	s_mov_b32 s5, 0
	s_cbranch_vccnz .LBB94_378
; %bb.372:
	v_cmp_lt_i16_e32 vcc_lo, 14, v8
	s_mov_b32 s4, -1
	s_cbranch_vccz .LBB94_376
; %bb.373:
	v_cmp_eq_u16_e32 vcc_lo, 15, v8
	s_mov_b32 s0, -1
	s_cbranch_vccz .LBB94_375
; %bb.374:
	v_cndmask_b32_e64 v3, 0, 1.0, s1
	s_mov_b32 s0, 0
	s_mov_b32 s6, -1
	s_delay_alu instid0(VALU_DEP_1) | instskip(NEXT) | instid1(VALU_DEP_1)
	v_bfe_u32 v4, v3, 16, 1
	v_add_nc_u32_e32 v3, v3, v4
	s_delay_alu instid0(VALU_DEP_1)
	v_add_nc_u32_e32 v3, 0x7fff, v3
	global_store_d16_hi_b16 v[0:1], v3, off
.LBB94_375:
	s_mov_b32 s4, 0
.LBB94_376:
	s_delay_alu instid0(SALU_CYCLE_1)
	s_and_b32 vcc_lo, exec_lo, s4
	s_cbranch_vccz .LBB94_378
; %bb.377:
	v_cmp_ne_u16_e64 s0, 11, v8
	s_mov_b32 s5, -1
.LBB94_378:
	s_delay_alu instid0(VALU_DEP_1)
	s_and_b32 vcc_lo, exec_lo, s0
	s_mov_b32 s4, s2
	s_cbranch_vccnz .LBB94_450
; %bb.379:
	s_and_not1_b32 vcc_lo, exec_lo, s5
	s_cbranch_vccnz .LBB94_381
.LBB94_380:
	v_mov_b32_e32 v3, s19
	s_mov_b32 s6, -1
	global_store_b8 v[0:1], v3, off
.LBB94_381:
.LBB94_382:
	s_and_not1_b32 vcc_lo, exec_lo, s6
	s_cbranch_vccnz .LBB94_683
.LBB94_383:
	s_lshl_b32 s5, s18, 7
	v_cmp_gt_i16_e32 vcc_lo, 11, v8
	v_add_nc_u32_e32 v2, s5, v2
	s_delay_alu instid0(VALU_DEP_1) | instskip(SKIP_1) | instid1(VALU_DEP_1)
	v_ashrrev_i32_e32 v1, 31, v2
	v_add_co_u32 v0, s0, s16, v2
	v_add_co_ci_u32_e64 v1, s0, s17, v1, s0
	s_cbranch_vccnz .LBB94_411
; %bb.384:
	v_cmp_lt_i16_e32 vcc_lo, 25, v8
	s_mov_b32 s8, -1
	s_mov_b32 s6, 0
	s_mov_b32 s7, 0
	;; [unrolled: 1-line block ×3, first 2 shown]
	s_cbranch_vccz .LBB94_462
; %bb.385:
	v_cmp_lt_i16_e32 vcc_lo, 28, v8
	s_cbranch_vccz .LBB94_400
; %bb.386:
	v_cmp_lt_i16_e32 vcc_lo, 43, v8
	;; [unrolled: 3-line block ×3, first 2 shown]
	s_cbranch_vccz .LBB94_390
; %bb.388:
	v_cmp_eq_u16_e32 vcc_lo, 46, v8
	s_mov_b32 s0, -1
	s_mov_b32 s8, 0
	s_cbranch_vccz .LBB94_390
; %bb.389:
	v_cndmask_b32_e64 v3, 0, 1.0, s1
	s_mov_b32 s0, 0
	s_mov_b32 s7, -1
	s_delay_alu instid0(VALU_DEP_1) | instskip(NEXT) | instid1(VALU_DEP_1)
	v_bfe_u32 v4, v3, 16, 1
	v_add_nc_u32_e32 v3, v3, v4
	s_delay_alu instid0(VALU_DEP_1) | instskip(NEXT) | instid1(VALU_DEP_1)
	v_add_nc_u32_e32 v3, 0x7fff, v3
	v_lshrrev_b32_e32 v3, 16, v3
	global_store_b32 v[0:1], v3, off
.LBB94_390:
	s_and_b32 vcc_lo, exec_lo, s8
	s_cbranch_vccz .LBB94_395
; %bb.391:
	v_cmp_eq_u16_e32 vcc_lo, 44, v8
	s_mov_b32 s0, -1
	s_cbranch_vccz .LBB94_395
; %bb.392:
	v_cndmask_b32_e64 v3, 0, 1.0, s1
	s_delay_alu instid0(VALU_DEP_1) | instskip(SKIP_1) | instid1(VALU_DEP_2)
	v_readfirstlane_b32 s7, v3
	v_mov_b32_e32 v3, 0xff
	s_lshr_b32 s0, s7, 23
	s_delay_alu instid0(SALU_CYCLE_1)
	s_cmpk_eq_i32 s0, 0xff
	s_cbranch_scc1 .LBB94_394
; %bb.393:
	s_bitcmp1_b32 s7, 22
	s_cselect_b32 s8, -1, 0
	s_and_b32 s7, s7, 0x3fffff
	s_delay_alu instid0(SALU_CYCLE_1) | instskip(NEXT) | instid1(SALU_CYCLE_1)
	s_or_b32 s7, s0, s7
	s_cmp_lg_u32 s7, 0
	s_cselect_b32 s7, -1, 0
	s_delay_alu instid0(SALU_CYCLE_1) | instskip(NEXT) | instid1(SALU_CYCLE_1)
	s_and_b32 s7, s8, s7
	v_cndmask_b32_e64 v3, 0, 1, s7
	s_delay_alu instid0(VALU_DEP_1)
	v_add_nc_u32_e32 v3, s0, v3
.LBB94_394:
	s_mov_b32 s0, 0
	s_mov_b32 s7, -1
	global_store_b8 v[0:1], v3, off
.LBB94_395:
	s_mov_b32 s8, 0
.LBB94_396:
	s_delay_alu instid0(SALU_CYCLE_1)
	s_and_b32 vcc_lo, exec_lo, s8
	s_cbranch_vccz .LBB94_399
; %bb.397:
	v_cmp_eq_u16_e32 vcc_lo, 29, v8
	s_mov_b32 s0, -1
	s_cbranch_vccz .LBB94_399
; %bb.398:
	s_and_b32 s0, s19, 0xff
	s_mov_b32 s7, -1
	v_dual_mov_b32 v3, s0 :: v_dual_mov_b32 v4, 0
	s_mov_b32 s0, 0
	global_store_b64 v[0:1], v[3:4], off
.LBB94_399:
	s_mov_b32 s8, 0
.LBB94_400:
	s_delay_alu instid0(SALU_CYCLE_1)
	s_and_b32 vcc_lo, exec_lo, s8
	s_cbranch_vccz .LBB94_461
; %bb.401:
	v_cmp_gt_i16_e32 vcc_lo, 27, v8
	s_mov_b32 s7, -1
	s_cbranch_vccnz .LBB94_407
; %bb.402:
	v_cmp_lt_i16_e32 vcc_lo, 27, v8
	s_cbranch_vccz .LBB94_404
; %bb.403:
	s_and_b32 s7, s19, 0xff
	s_delay_alu instid0(SALU_CYCLE_1)
	v_mov_b32_e32 v3, s7
	s_mov_b32 s7, 0
	global_store_b32 v[0:1], v3, off
.LBB94_404:
	s_and_not1_b32 vcc_lo, exec_lo, s7
	s_cbranch_vccnz .LBB94_406
; %bb.405:
	v_and_b32_e64 v3, 0xff, s19
	global_store_b16 v[0:1], v3, off
.LBB94_406:
	s_mov_b32 s7, 0
.LBB94_407:
	s_delay_alu instid0(SALU_CYCLE_1)
	s_and_not1_b32 vcc_lo, exec_lo, s7
	s_cbranch_vccnz .LBB94_460
; %bb.408:
	v_cndmask_b32_e64 v3, 0, 1.0, s1
	v_mov_b32_e32 v5, 0x80
	s_delay_alu instid0(VALU_DEP_2)
	v_cmp_lt_u32_e32 vcc_lo, 0x437fffff, v3
	v_readfirstlane_b32 s7, v3
	s_cbranch_vccnz .LBB94_459
; %bb.409:
	s_delay_alu instid0(VALU_DEP_1)
	s_cmp_gt_u32 s7, 0x3bffffff
	s_cbranch_scc0 .LBB94_454
; %bb.410:
	s_bfe_u32 s8, s7, 0x10014
	s_delay_alu instid0(SALU_CYCLE_1) | instskip(SKIP_2) | instid1(SALU_CYCLE_1)
	s_add_i32 s7, s7, s8
	s_mov_b32 s8, 0
	s_add_i32 s7, s7, 0x487ffff
	s_lshr_b32 s9, s7, 20
	s_mov_b32 s7, -1
	s_branch .LBB94_455
.LBB94_411:
	s_mov_b32 s7, 0
	s_cbranch_execz .LBB94_615
; %bb.412:
	v_cmp_gt_i16_e32 vcc_lo, 5, v8
	s_mov_b32 s0, -1
	s_cbranch_vccnz .LBB94_433
; %bb.413:
	v_cmp_gt_i16_e32 vcc_lo, 8, v8
	s_cbranch_vccnz .LBB94_423
; %bb.414:
	v_cmp_gt_i16_e32 vcc_lo, 9, v8
	s_cbranch_vccnz .LBB94_420
; %bb.415:
	v_cmp_lt_i16_e32 vcc_lo, 9, v8
	s_cbranch_vccz .LBB94_417
; %bb.416:
	v_cndmask_b32_e64 v3, 0, 1, s1
	v_mov_b32_e32 v5, 0
	s_mov_b32 s0, 0
	s_delay_alu instid0(VALU_DEP_2) | instskip(NEXT) | instid1(VALU_DEP_2)
	v_cvt_f64_u32_e32 v[3:4], v3
	v_mov_b32_e32 v6, v5
	global_store_b128 v[0:1], v[3:6], off
.LBB94_417:
	s_and_not1_b32 vcc_lo, exec_lo, s0
	s_cbranch_vccnz .LBB94_419
; %bb.418:
	v_cndmask_b32_e64 v3, 0, 1.0, s1
	v_mov_b32_e32 v4, 0
	global_store_b64 v[0:1], v[3:4], off
.LBB94_419:
	s_mov_b32 s0, 0
.LBB94_420:
	s_delay_alu instid0(SALU_CYCLE_1)
	s_and_not1_b32 vcc_lo, exec_lo, s0
	s_cbranch_vccnz .LBB94_422
; %bb.421:
	v_cndmask_b32_e64 v3, 0, 1.0, s1
	s_delay_alu instid0(VALU_DEP_1) | instskip(NEXT) | instid1(VALU_DEP_1)
	v_cvt_f16_f32_e32 v3, v3
	v_and_b32_e32 v3, 0xffff, v3
	global_store_b32 v[0:1], v3, off
.LBB94_422:
	s_mov_b32 s0, 0
.LBB94_423:
	s_delay_alu instid0(SALU_CYCLE_1)
	s_and_not1_b32 vcc_lo, exec_lo, s0
	s_cbranch_vccnz .LBB94_432
; %bb.424:
	v_cmp_gt_i16_e32 vcc_lo, 6, v8
	s_mov_b32 s0, -1
	s_cbranch_vccnz .LBB94_430
; %bb.425:
	v_cmp_lt_i16_e32 vcc_lo, 6, v8
	s_cbranch_vccz .LBB94_427
; %bb.426:
	v_cndmask_b32_e64 v3, 0, 1, s1
	s_mov_b32 s0, 0
	s_delay_alu instid0(VALU_DEP_1)
	v_cvt_f64_u32_e32 v[3:4], v3
	global_store_b64 v[0:1], v[3:4], off
.LBB94_427:
	s_and_not1_b32 vcc_lo, exec_lo, s0
	s_cbranch_vccnz .LBB94_429
; %bb.428:
	v_cndmask_b32_e64 v3, 0, 1.0, s1
	global_store_b32 v[0:1], v3, off
.LBB94_429:
	s_mov_b32 s0, 0
.LBB94_430:
	s_delay_alu instid0(SALU_CYCLE_1)
	s_and_not1_b32 vcc_lo, exec_lo, s0
	s_cbranch_vccnz .LBB94_432
; %bb.431:
	v_cndmask_b32_e64 v3, 0, 1.0, s1
	s_delay_alu instid0(VALU_DEP_1)
	v_cvt_f16_f32_e32 v3, v3
	global_store_b16 v[0:1], v3, off
.LBB94_432:
	s_mov_b32 s0, 0
.LBB94_433:
	s_delay_alu instid0(SALU_CYCLE_1)
	s_and_not1_b32 vcc_lo, exec_lo, s0
	s_cbranch_vccnz .LBB94_449
; %bb.434:
	v_cmp_gt_i16_e32 vcc_lo, 2, v8
	s_mov_b32 s0, -1
	s_cbranch_vccnz .LBB94_444
; %bb.435:
	v_cmp_gt_i16_e32 vcc_lo, 3, v8
	s_cbranch_vccnz .LBB94_441
; %bb.436:
	v_cmp_lt_i16_e32 vcc_lo, 3, v8
	s_cbranch_vccz .LBB94_438
; %bb.437:
	s_and_b32 s0, s19, 0xff
	s_delay_alu instid0(SALU_CYCLE_1)
	v_dual_mov_b32 v4, 0 :: v_dual_mov_b32 v3, s0
	s_mov_b32 s0, 0
	global_store_b64 v[0:1], v[3:4], off
.LBB94_438:
	s_and_not1_b32 vcc_lo, exec_lo, s0
	s_cbranch_vccnz .LBB94_440
; %bb.439:
	s_and_b32 s0, s19, 0xff
	s_delay_alu instid0(SALU_CYCLE_1)
	v_mov_b32_e32 v3, s0
	global_store_b32 v[0:1], v3, off
.LBB94_440:
	s_mov_b32 s0, 0
.LBB94_441:
	s_delay_alu instid0(SALU_CYCLE_1)
	s_and_not1_b32 vcc_lo, exec_lo, s0
	s_cbranch_vccnz .LBB94_443
; %bb.442:
	v_and_b32_e64 v3, 0xff, s19
	global_store_b16 v[0:1], v3, off
.LBB94_443:
	s_mov_b32 s0, 0
.LBB94_444:
	s_delay_alu instid0(SALU_CYCLE_1)
	s_and_not1_b32 vcc_lo, exec_lo, s0
	s_cbranch_vccnz .LBB94_449
; %bb.445:
	v_cmp_lt_i16_e32 vcc_lo, 0, v8
	s_mov_b32 s0, -1
	s_cbranch_vccz .LBB94_447
; %bb.446:
	v_mov_b32_e32 v3, s19
	s_mov_b32 s0, 0
	global_store_b8 v[0:1], v3, off
.LBB94_447:
	s_and_not1_b32 vcc_lo, exec_lo, s0
	s_cbranch_vccnz .LBB94_449
; %bb.448:
	v_mov_b32_e32 v3, s19
	global_store_b8 v[0:1], v3, off
.LBB94_449:
	s_branch .LBB94_616
.LBB94_450:
	s_cbranch_execnz .LBB94_452
; %bb.451:
	s_or_b32 s4, s2, exec_lo
	s_cbranch_execz .LBB94_380
	s_branch .LBB94_381
.LBB94_452:
	s_trap 2
	s_sendmsg_rtn_b32 s0, sendmsg(MSG_RTN_GET_DOORBELL)
	s_mov_b32 ttmp2, m0
	s_waitcnt lgkmcnt(0)
	s_and_b32 s0, s0, 0x3ff
	s_delay_alu instid0(SALU_CYCLE_1) | instskip(NEXT) | instid1(SALU_CYCLE_1)
	s_bitset1_b32 s0, 10
	s_mov_b32 m0, s0
	s_sendmsg sendmsg(MSG_INTERRUPT)
	s_mov_b32 m0, ttmp2
.LBB94_453:                             ; =>This Inner Loop Header: Depth=1
	s_sethalt 5
	s_branch .LBB94_453
.LBB94_454:
	s_mov_b32 s8, -1
	s_mov_b32 s7, 0
                                        ; implicit-def: $sgpr9
.LBB94_455:
	v_mov_b32_e32 v4, s9
	s_and_not1_b32 vcc_lo, exec_lo, s8
                                        ; implicit-def: $sgpr8
	s_cbranch_vccnz .LBB94_457
; %bb.456:
	v_add_f32_e32 v3, 0x46000000, v3
	s_mov_b32 s8, 0
	s_delay_alu instid0(VALU_DEP_1) | instskip(NEXT) | instid1(VALU_DEP_1)
	v_and_b32_e32 v4, 0xff, v3
	v_cmp_ne_u32_e64 s7, 0, v4
.LBB94_457:
	v_mov_b32_e32 v5, s8
	s_delay_alu instid0(VALU_DEP_2)
	s_and_not1_b32 vcc_lo, exec_lo, s7
	s_cbranch_vccnz .LBB94_459
; %bb.458:
	v_mov_b32_e32 v5, v4
.LBB94_459:
	global_store_b8 v[0:1], v5, off
.LBB94_460:
	s_mov_b32 s7, -1
.LBB94_461:
	s_mov_b32 s8, 0
.LBB94_462:
	s_delay_alu instid0(SALU_CYCLE_1)
	s_and_b32 vcc_lo, exec_lo, s8
	s_cbranch_vccz .LBB94_611
; %bb.463:
	v_cmp_lt_i16_e32 vcc_lo, 22, v8
	s_mov_b32 s6, -1
	s_cbranch_vccz .LBB94_604
; %bb.464:
	v_cmp_gt_i16_e32 vcc_lo, 24, v8
	s_cbranch_vccnz .LBB94_591
; %bb.465:
	v_cmp_lt_i16_e32 vcc_lo, 24, v8
	s_cbranch_vccz .LBB94_578
; %bb.466:
	v_cndmask_b32_e64 v3, 0, 1.0, s1
	v_mov_b32_e32 v5, 0x80
	s_delay_alu instid0(VALU_DEP_2)
	v_cmp_lt_u32_e32 vcc_lo, 0x477fffff, v3
	v_readfirstlane_b32 s6, v3
	s_cbranch_vccnz .LBB94_577
; %bb.467:
	s_delay_alu instid0(VALU_DEP_1)
	s_cmp_gt_u32 s6, 0x37ffffff
	s_cbranch_scc0 .LBB94_572
; %bb.468:
	s_bfe_u32 s7, s6, 0x10015
	s_delay_alu instid0(SALU_CYCLE_1) | instskip(SKIP_2) | instid1(SALU_CYCLE_1)
	s_add_i32 s6, s6, s7
	s_mov_b32 s7, 0
	s_add_i32 s6, s6, 0x88fffff
	s_lshr_b32 s8, s6, 21
	s_mov_b32 s6, -1
	s_branch .LBB94_573
.LBB94_469:
	s_mov_b32 s27, -1
	s_mov_b32 s26, 0
	s_mov_b32 s9, s23
.LBB94_470:
	s_and_b32 vcc_lo, exec_lo, s27
	s_cbranch_vccz .LBB94_473
; %bb.471:
	v_cmp_eq_u16_e32 vcc_lo, 44, v8
	s_mov_b32 s9, -1
	s_cbranch_vccz .LBB94_473
; %bb.472:
	v_cndmask_b32_e64 v2, v24, 0xff, s8
	s_mov_b32 s26, -1
	s_mov_b32 s9, 0
	global_store_b8 v[6:7], v2, off
.LBB94_473:
	s_mov_b32 s27, 0
.LBB94_474:
	s_delay_alu instid0(SALU_CYCLE_1)
	s_and_b32 vcc_lo, exec_lo, s27
	s_cbranch_vccz .LBB94_477
; %bb.475:
	v_cmp_eq_u16_e32 vcc_lo, 29, v8
	s_mov_b32 s9, -1
	s_cbranch_vccz .LBB94_477
; %bb.476:
	v_dual_mov_b32 v2, s10 :: v_dual_mov_b32 v3, s11
	s_mov_b32 s26, -1
	s_mov_b32 s9, 0
	s_mov_b32 s27, 0
	global_store_b64 v[6:7], v[2:3], off
	s_branch .LBB94_478
.LBB94_477:
	s_mov_b32 s27, 0
.LBB94_478:
	s_delay_alu instid0(SALU_CYCLE_1)
	s_and_b32 vcc_lo, exec_lo, s27
	s_cbranch_vccz .LBB94_491
; %bb.479:
	v_cmp_gt_i16_e32 vcc_lo, 27, v8
	s_mov_b32 s26, -1
	s_cbranch_vccnz .LBB94_485
; %bb.480:
	v_cmp_lt_i16_e32 vcc_lo, 27, v8
	s_cbranch_vccz .LBB94_482
; %bb.481:
	v_mov_b32_e32 v2, s10
	s_mov_b32 s26, 0
	global_store_b32 v[6:7], v2, off
.LBB94_482:
	s_and_not1_b32 vcc_lo, exec_lo, s26
	s_cbranch_vccnz .LBB94_484
; %bb.483:
	global_store_b16 v[6:7], v9, off
.LBB94_484:
	s_mov_b32 s26, 0
.LBB94_485:
	s_delay_alu instid0(SALU_CYCLE_1)
	s_and_not1_b32 vcc_lo, exec_lo, s26
	s_cbranch_vccnz .LBB94_490
; %bb.486:
	v_mov_b32_e32 v2, 0x80
	s_and_not1_b32 vcc_lo, exec_lo, s7
	s_cbranch_vccnz .LBB94_489
; %bb.487:
	v_mov_b32_e32 v2, 0
	s_or_b32 s26, s6, s15
	s_delay_alu instid0(SALU_CYCLE_1)
	s_and_not1_b32 vcc_lo, exec_lo, s26
	s_cbranch_vccnz .LBB94_489
; %bb.488:
	v_cndmask_b32_e64 v2, v21, v22, s6
.LBB94_489:
	global_store_b8 v[6:7], v2, off
.LBB94_490:
	s_mov_b32 s26, -1
.LBB94_491:
	s_mov_b32 s27, 0
.LBB94_492:
	s_delay_alu instid0(SALU_CYCLE_1)
	s_and_b32 vcc_lo, exec_lo, s27
	s_cbranch_vccz .LBB94_514
; %bb.493:
	v_cmp_lt_i16_e32 vcc_lo, 22, v8
	s_mov_b32 s27, -1
	s_cbranch_vccz .LBB94_506
; %bb.494:
	v_cmp_gt_i16_e32 vcc_lo, 24, v8
	s_mov_b32 s26, -1
	s_cbranch_vccnz .LBB94_503
; %bb.495:
	v_cmp_lt_i16_e32 vcc_lo, 24, v8
	s_cbranch_vccz .LBB94_500
; %bb.496:
	v_mov_b32_e32 v2, 0x80
	s_and_not1_b32 vcc_lo, exec_lo, s5
	s_cbranch_vccnz .LBB94_499
; %bb.497:
	v_mov_b32_e32 v2, 0
	s_or_b32 s26, s4, s14
	s_delay_alu instid0(SALU_CYCLE_1)
	s_and_not1_b32 vcc_lo, exec_lo, s26
	s_cbranch_vccnz .LBB94_499
; %bb.498:
	v_cndmask_b32_e64 v2, v17, v20, s4
.LBB94_499:
	s_mov_b32 s26, 0
	global_store_b8 v[6:7], v2, off
.LBB94_500:
	s_and_b32 vcc_lo, exec_lo, s26
	s_cbranch_vccz .LBB94_502
; %bb.501:
	v_cndmask_b32_e64 v2, v16, v18, s3
	s_delay_alu instid0(VALU_DEP_1)
	v_cndmask_b32_e64 v2, v2, v19, s2
	global_store_b8 v[6:7], v2, off
.LBB94_502:
	s_mov_b32 s26, 0
.LBB94_503:
	s_delay_alu instid0(SALU_CYCLE_1)
	s_and_not1_b32 vcc_lo, exec_lo, s26
	s_cbranch_vccnz .LBB94_505
; %bb.504:
	v_cndmask_b32_e64 v2, v13, v14, s1
	s_delay_alu instid0(VALU_DEP_1)
	v_cndmask_b32_e64 v2, v2, v15, s0
	global_store_b8 v[6:7], v2, off
.LBB94_505:
	s_mov_b32 s27, 0
	s_mov_b32 s26, -1
.LBB94_506:
	s_and_not1_b32 vcc_lo, exec_lo, s27
	s_cbranch_vccnz .LBB94_514
; %bb.507:
	v_cmp_lt_i16_e32 vcc_lo, 14, v8
	s_mov_b32 s27, -1
	s_cbranch_vccz .LBB94_511
; %bb.508:
	v_cmp_eq_u16_e32 vcc_lo, 15, v8
	s_mov_b32 s9, -1
	s_cbranch_vccz .LBB94_510
; %bb.509:
	s_mov_b32 s26, -1
	s_mov_b32 s9, 0
	global_store_b16 v[6:7], v12, off
.LBB94_510:
	s_mov_b32 s27, 0
.LBB94_511:
	s_delay_alu instid0(SALU_CYCLE_1)
	s_and_b32 vcc_lo, exec_lo, s27
	s_cbranch_vccz .LBB94_514
; %bb.512:
	v_cmp_eq_u16_e32 vcc_lo, 11, v8
	s_mov_b32 s9, -1
	s_cbranch_vccz .LBB94_514
; %bb.513:
	v_mov_b32_e32 v2, s19
	s_mov_b32 s26, -1
	s_mov_b32 s9, 0
	global_store_b8 v[6:7], v2, off
.LBB94_514:
	s_mov_b32 s27, 0
.LBB94_515:
	s_delay_alu instid0(SALU_CYCLE_1)
	s_and_b32 vcc_lo, exec_lo, s27
	s_cbranch_vccz .LBB94_554
; %bb.516:
	v_cmp_gt_i16_e32 vcc_lo, 5, v8
	s_mov_b32 s26, -1
	s_cbranch_vccnz .LBB94_537
; %bb.517:
	v_cmp_gt_i16_e32 vcc_lo, 8, v8
	s_cbranch_vccnz .LBB94_527
; %bb.518:
	v_cmp_gt_i16_e32 vcc_lo, 9, v8
	s_cbranch_vccnz .LBB94_524
; %bb.519:
	v_cmp_lt_i16_e32 vcc_lo, 9, v8
	s_cbranch_vccz .LBB94_521
; %bb.520:
	v_mov_b32_e32 v2, 0
	s_mov_b32 s26, 0
	s_delay_alu instid0(VALU_DEP_1)
	v_mov_b32_e32 v3, v2
	global_store_b128 v[6:7], v[0:3], off
.LBB94_521:
	s_and_not1_b32 vcc_lo, exec_lo, s26
	s_cbranch_vccnz .LBB94_523
; %bb.522:
	v_mov_b32_e32 v5, 0
	global_store_b64 v[6:7], v[4:5], off
.LBB94_523:
	s_mov_b32 s26, 0
.LBB94_524:
	s_delay_alu instid0(SALU_CYCLE_1)
	s_and_not1_b32 vcc_lo, exec_lo, s26
	s_cbranch_vccnz .LBB94_526
; %bb.525:
	global_store_b32 v[6:7], v11, off
.LBB94_526:
	s_mov_b32 s26, 0
.LBB94_527:
	s_delay_alu instid0(SALU_CYCLE_1)
	s_and_not1_b32 vcc_lo, exec_lo, s26
	s_cbranch_vccnz .LBB94_536
; %bb.528:
	v_cmp_gt_i16_e32 vcc_lo, 6, v8
	s_mov_b32 s26, -1
	s_cbranch_vccnz .LBB94_534
; %bb.529:
	v_cmp_lt_i16_e32 vcc_lo, 6, v8
	s_cbranch_vccz .LBB94_531
; %bb.530:
	s_mov_b32 s26, 0
	global_store_b64 v[6:7], v[0:1], off
.LBB94_531:
	s_and_not1_b32 vcc_lo, exec_lo, s26
	s_cbranch_vccnz .LBB94_533
; %bb.532:
	global_store_b32 v[6:7], v4, off
.LBB94_533:
	s_mov_b32 s26, 0
.LBB94_534:
	s_delay_alu instid0(SALU_CYCLE_1)
	s_and_not1_b32 vcc_lo, exec_lo, s26
	s_cbranch_vccnz .LBB94_536
; %bb.535:
	global_store_b16 v[6:7], v10, off
.LBB94_536:
	s_mov_b32 s26, 0
.LBB94_537:
	s_delay_alu instid0(SALU_CYCLE_1)
	s_and_not1_b32 vcc_lo, exec_lo, s26
	s_cbranch_vccnz .LBB94_553
; %bb.538:
	v_cmp_gt_i16_e32 vcc_lo, 2, v8
	s_mov_b32 s26, -1
	s_cbranch_vccnz .LBB94_548
; %bb.539:
	v_cmp_gt_i16_e32 vcc_lo, 3, v8
	s_cbranch_vccnz .LBB94_545
; %bb.540:
	v_cmp_lt_i16_e32 vcc_lo, 3, v8
	s_cbranch_vccz .LBB94_542
; %bb.541:
	v_dual_mov_b32 v2, s10 :: v_dual_mov_b32 v3, s11
	s_mov_b32 s26, 0
	global_store_b64 v[6:7], v[2:3], off
.LBB94_542:
	s_and_not1_b32 vcc_lo, exec_lo, s26
	s_cbranch_vccnz .LBB94_544
; %bb.543:
	v_mov_b32_e32 v2, s10
	global_store_b32 v[6:7], v2, off
.LBB94_544:
	s_mov_b32 s26, 0
.LBB94_545:
	s_delay_alu instid0(SALU_CYCLE_1)
	s_and_not1_b32 vcc_lo, exec_lo, s26
	s_cbranch_vccnz .LBB94_547
; %bb.546:
	global_store_b16 v[6:7], v9, off
.LBB94_547:
	s_mov_b32 s26, 0
.LBB94_548:
	s_delay_alu instid0(SALU_CYCLE_1)
	s_and_not1_b32 vcc_lo, exec_lo, s26
	s_cbranch_vccnz .LBB94_553
; %bb.549:
	v_cmp_lt_i16_e32 vcc_lo, 0, v8
	s_mov_b32 s26, -1
	s_cbranch_vccz .LBB94_551
; %bb.550:
	v_mov_b32_e32 v2, s19
	s_mov_b32 s26, 0
	global_store_b8 v[6:7], v2, off
.LBB94_551:
	s_and_not1_b32 vcc_lo, exec_lo, s26
	s_cbranch_vccnz .LBB94_553
; %bb.552:
	v_mov_b32_e32 v2, s19
	global_store_b8 v[6:7], v2, off
.LBB94_553:
	s_mov_b32 s26, -1
.LBB94_554:
	s_delay_alu instid0(SALU_CYCLE_1)
	s_and_not1_b32 vcc_lo, exec_lo, s26
	s_cbranch_vccnz .LBB94_556
; %bb.555:
	v_add_nc_u32_e32 v23, 0x80, v23
	s_mov_b32 s27, -1
	s_branch .LBB94_557
.LBB94_556:
	s_mov_b32 s27, 0
                                        ; implicit-def: $vgpr23
.LBB94_557:
	s_and_not1_b32 s26, s23, exec_lo
	s_and_b32 s9, s9, exec_lo
	s_or_not1_b32 s28, s27, exec_lo
	s_or_b32 s26, s26, s9
.LBB94_558:
	s_or_b32 exec_lo, exec_lo, s25
	s_mov_b32 s9, 0
	s_mov_b32 s27, 0
                                        ; implicit-def: $vgpr6_vgpr7
	s_and_saveexec_b32 s25, s28
	s_cbranch_execz .LBB94_789
; %bb.559:
	v_cmp_gt_i32_e32 vcc_lo, s20, v23
	s_mov_b32 s28, s26
                                        ; implicit-def: $vgpr6_vgpr7
	s_and_saveexec_b32 s20, vcc_lo
	s_cbranch_execz .LBB94_788
; %bb.560:
	v_mul_lo_u32 v2, v23, s18
	v_cmp_gt_i16_e32 vcc_lo, 11, v8
	s_delay_alu instid0(VALU_DEP_2) | instskip(SKIP_1) | instid1(VALU_DEP_1)
	v_ashrrev_i32_e32 v3, 31, v2
	v_add_co_u32 v6, s9, s16, v2
	v_add_co_ci_u32_e64 v7, s9, s17, v3, s9
	s_cbranch_vccnz .LBB94_571
; %bb.561:
	v_cmp_lt_i16_e32 vcc_lo, 25, v8
	s_mov_b32 s27, -1
	s_mov_b32 s9, s26
	s_cbranch_vccz .LBB94_765
; %bb.562:
	v_cmp_lt_i16_e32 vcc_lo, 28, v8
	s_mov_b32 s9, s26
	s_cbranch_vccz .LBB94_752
; %bb.563:
	v_cmp_lt_i16_e32 vcc_lo, 43, v8
	;; [unrolled: 4-line block ×3, first 2 shown]
	s_mov_b32 s9, s26
	s_cbranch_vccz .LBB94_568
; %bb.565:
	v_cmp_eq_u16_e32 vcc_lo, 46, v8
	s_mov_b32 s9, -1
	s_cbranch_vccz .LBB94_567
; %bb.566:
	s_mov_b32 s9, 0
	global_store_b32 v[6:7], v12, off
.LBB94_567:
	s_mov_b32 s27, 0
.LBB94_568:
	s_delay_alu instid0(SALU_CYCLE_1)
	s_and_b32 vcc_lo, exec_lo, s27
	s_cbranch_vccz .LBB94_747
; %bb.569:
	v_cmp_eq_u16_e32 vcc_lo, 44, v8
	s_mov_b32 s9, -1
	s_cbranch_vccz .LBB94_747
; %bb.570:
	v_cndmask_b32_e64 v2, v24, 0xff, s8
	s_mov_b32 s9, 0
	s_mov_b32 s27, 0
	global_store_b8 v[6:7], v2, off
	s_branch .LBB94_748
.LBB94_571:
	s_mov_b32 s0, 0
	s_mov_b32 s6, -1
	s_mov_b32 s9, s26
	s_branch .LBB94_787
.LBB94_572:
	s_mov_b32 s7, -1
	s_mov_b32 s6, 0
                                        ; implicit-def: $sgpr8
.LBB94_573:
	v_mov_b32_e32 v4, s8
	s_and_not1_b32 vcc_lo, exec_lo, s7
                                        ; implicit-def: $sgpr7
	s_cbranch_vccnz .LBB94_575
; %bb.574:
	v_add_f32_e32 v3, 0x42800000, v3
	s_mov_b32 s7, 0
	s_delay_alu instid0(VALU_DEP_1) | instskip(NEXT) | instid1(VALU_DEP_1)
	v_and_b32_e32 v4, 0xff, v3
	v_cmp_ne_u32_e64 s6, 0, v4
.LBB94_575:
	v_mov_b32_e32 v5, s7
	s_delay_alu instid0(VALU_DEP_2)
	s_and_not1_b32 vcc_lo, exec_lo, s6
	s_cbranch_vccnz .LBB94_577
; %bb.576:
	v_mov_b32_e32 v5, v4
.LBB94_577:
	s_mov_b32 s6, 0
	global_store_b8 v[0:1], v5, off
.LBB94_578:
	s_and_b32 vcc_lo, exec_lo, s6
	s_cbranch_vccz .LBB94_590
; %bb.579:
	v_cndmask_b32_e64 v3, 0, 1.0, s1
	s_delay_alu instid0(VALU_DEP_1)
	v_cmp_gt_u32_e32 vcc_lo, 0x43f00000, v3
	v_readfirstlane_b32 s6, v3
	s_cbranch_vccz .LBB94_582
; %bb.580:
	s_delay_alu instid0(VALU_DEP_1)
	s_cmp_gt_u32 s6, 0x3c7fffff
	s_cbranch_scc0 .LBB94_583
; %bb.581:
	s_bfe_u32 s7, s6, 0x10014
	s_delay_alu instid0(SALU_CYCLE_1) | instskip(NEXT) | instid1(SALU_CYCLE_1)
	s_add_i32 s7, s6, s7
	s_add_i32 s7, s7, 0x407ffff
	s_delay_alu instid0(SALU_CYCLE_1)
	s_and_b32 s8, s7, 0xff00000
	s_lshr_b32 s7, s7, 20
	s_cmp_lg_u32 s8, 0x7f00000
	s_cselect_b32 s8, s7, 0x7e
	s_mov_b32 s7, 0
	s_branch .LBB94_584
.LBB94_582:
	s_mov_b32 s7, -1
                                        ; implicit-def: $vgpr4
	s_branch .LBB94_587
.LBB94_583:
	s_mov_b32 s7, -1
                                        ; implicit-def: $sgpr8
.LBB94_584:
	v_mov_b32_e32 v4, s8
	s_and_not1_b32 vcc_lo, exec_lo, s7
	s_cbranch_vccnz .LBB94_586
; %bb.585:
	v_add_f32_e32 v4, 0x46800000, v3
.LBB94_586:
	s_mov_b32 s7, 0
.LBB94_587:
	s_delay_alu instid0(SALU_CYCLE_1)
	s_and_not1_b32 vcc_lo, exec_lo, s7
	s_cbranch_vccnz .LBB94_589
; %bb.588:
	s_cmp_gt_u32 s6, 0x7f800000
	s_movk_i32 s6, 0x7f
	s_delay_alu instid0(SALU_CYCLE_1) | instskip(NEXT) | instid1(SALU_CYCLE_1)
	s_cselect_b32 s6, s6, 0x7e
	v_mov_b32_e32 v4, s6
.LBB94_589:
	global_store_b8 v[0:1], v4, off
.LBB94_590:
	s_mov_b32 s6, 0
.LBB94_591:
	s_delay_alu instid0(SALU_CYCLE_1)
	s_and_not1_b32 vcc_lo, exec_lo, s6
	s_cbranch_vccnz .LBB94_603
; %bb.592:
	v_cndmask_b32_e64 v3, 0, 1.0, s1
	s_delay_alu instid0(VALU_DEP_1)
	v_cmp_gt_u32_e32 vcc_lo, 0x47800000, v3
	v_readfirstlane_b32 s6, v3
	s_cbranch_vccz .LBB94_595
; %bb.593:
	s_delay_alu instid0(VALU_DEP_1)
	s_cmp_gt_u32 s6, 0x387fffff
	s_cbranch_scc0 .LBB94_596
; %bb.594:
	s_bfe_u32 s7, s6, 0x10015
	s_delay_alu instid0(SALU_CYCLE_1) | instskip(NEXT) | instid1(SALU_CYCLE_1)
	s_add_i32 s7, s6, s7
	s_add_i32 s7, s7, 0x80fffff
	s_delay_alu instid0(SALU_CYCLE_1)
	s_lshr_b32 s8, s7, 21
	s_mov_b32 s7, 0
	s_branch .LBB94_597
.LBB94_595:
	s_mov_b32 s7, -1
                                        ; implicit-def: $vgpr4
	s_branch .LBB94_600
.LBB94_596:
	s_mov_b32 s7, -1
                                        ; implicit-def: $sgpr8
.LBB94_597:
	v_mov_b32_e32 v4, s8
	s_and_not1_b32 vcc_lo, exec_lo, s7
	s_cbranch_vccnz .LBB94_599
; %bb.598:
	v_add_f32_e32 v4, 0x43000000, v3
.LBB94_599:
	s_mov_b32 s7, 0
.LBB94_600:
	s_delay_alu instid0(SALU_CYCLE_1)
	s_and_not1_b32 vcc_lo, exec_lo, s7
	s_cbranch_vccnz .LBB94_602
; %bb.601:
	s_cmp_gt_u32 s6, 0x7f800000
	s_movk_i32 s6, 0x7f
	s_delay_alu instid0(SALU_CYCLE_1) | instskip(NEXT) | instid1(SALU_CYCLE_1)
	s_cselect_b32 s6, s6, 0x7c
	v_mov_b32_e32 v4, s6
.LBB94_602:
	global_store_b8 v[0:1], v4, off
.LBB94_603:
	s_mov_b32 s6, 0
	s_mov_b32 s7, -1
.LBB94_604:
	s_and_not1_b32 vcc_lo, exec_lo, s6
	s_mov_b32 s6, 0
	s_cbranch_vccnz .LBB94_611
; %bb.605:
	v_cmp_lt_i16_e32 vcc_lo, 14, v8
	s_mov_b32 s6, -1
	s_cbranch_vccz .LBB94_609
; %bb.606:
	v_cmp_eq_u16_e32 vcc_lo, 15, v8
	s_mov_b32 s0, -1
	s_cbranch_vccz .LBB94_608
; %bb.607:
	v_cndmask_b32_e64 v3, 0, 1.0, s1
	s_mov_b32 s0, 0
	s_mov_b32 s7, -1
	s_delay_alu instid0(VALU_DEP_1) | instskip(NEXT) | instid1(VALU_DEP_1)
	v_bfe_u32 v4, v3, 16, 1
	v_add_nc_u32_e32 v3, v3, v4
	s_delay_alu instid0(VALU_DEP_1)
	v_add_nc_u32_e32 v3, 0x7fff, v3
	global_store_d16_hi_b16 v[0:1], v3, off
.LBB94_608:
	s_mov_b32 s6, 0
.LBB94_609:
	s_delay_alu instid0(SALU_CYCLE_1)
	s_and_b32 vcc_lo, exec_lo, s6
	s_mov_b32 s6, 0
	s_cbranch_vccz .LBB94_611
; %bb.610:
	v_cmp_ne_u16_e64 s0, 11, v8
	s_mov_b32 s6, -1
.LBB94_611:
	s_delay_alu instid0(VALU_DEP_1)
	s_and_b32 vcc_lo, exec_lo, s0
	s_cbranch_vccnz .LBB94_728
; %bb.612:
	s_and_not1_b32 vcc_lo, exec_lo, s6
	s_cbranch_vccnz .LBB94_614
.LBB94_613:
	v_mov_b32_e32 v3, s19
	s_mov_b32 s7, -1
	global_store_b8 v[0:1], v3, off
.LBB94_614:
.LBB94_615:
	s_and_not1_b32 vcc_lo, exec_lo, s7
	s_cbranch_vccnz .LBB94_683
.LBB94_616:
	v_add_nc_u32_e32 v2, s5, v2
	v_cmp_gt_i16_e32 vcc_lo, 11, v8
	s_delay_alu instid0(VALU_DEP_2) | instskip(SKIP_1) | instid1(VALU_DEP_1)
	v_ashrrev_i32_e32 v1, 31, v2
	v_add_co_u32 v0, s0, s16, v2
	v_add_co_ci_u32_e64 v1, s0, s17, v1, s0
	s_cbranch_vccnz .LBB94_644
; %bb.617:
	v_cmp_lt_i16_e32 vcc_lo, 25, v8
	s_mov_b32 s8, -1
	s_mov_b32 s6, 0
	s_mov_b32 s7, 0
	;; [unrolled: 1-line block ×3, first 2 shown]
	s_cbranch_vccz .LBB94_740
; %bb.618:
	v_cmp_lt_i16_e32 vcc_lo, 28, v8
	s_cbranch_vccz .LBB94_633
; %bb.619:
	v_cmp_lt_i16_e32 vcc_lo, 43, v8
	;; [unrolled: 3-line block ×3, first 2 shown]
	s_cbranch_vccz .LBB94_623
; %bb.621:
	v_cmp_eq_u16_e32 vcc_lo, 46, v8
	s_mov_b32 s0, -1
	s_mov_b32 s8, 0
	s_cbranch_vccz .LBB94_623
; %bb.622:
	v_cndmask_b32_e64 v3, 0, 1.0, s1
	s_mov_b32 s0, 0
	s_mov_b32 s7, -1
	s_delay_alu instid0(VALU_DEP_1) | instskip(NEXT) | instid1(VALU_DEP_1)
	v_bfe_u32 v4, v3, 16, 1
	v_add_nc_u32_e32 v3, v3, v4
	s_delay_alu instid0(VALU_DEP_1) | instskip(NEXT) | instid1(VALU_DEP_1)
	v_add_nc_u32_e32 v3, 0x7fff, v3
	v_lshrrev_b32_e32 v3, 16, v3
	global_store_b32 v[0:1], v3, off
.LBB94_623:
	s_and_b32 vcc_lo, exec_lo, s8
	s_cbranch_vccz .LBB94_628
; %bb.624:
	v_cmp_eq_u16_e32 vcc_lo, 44, v8
	s_mov_b32 s0, -1
	s_cbranch_vccz .LBB94_628
; %bb.625:
	v_cndmask_b32_e64 v3, 0, 1.0, s1
	s_delay_alu instid0(VALU_DEP_1) | instskip(SKIP_1) | instid1(VALU_DEP_2)
	v_readfirstlane_b32 s7, v3
	v_mov_b32_e32 v3, 0xff
	s_lshr_b32 s0, s7, 23
	s_delay_alu instid0(SALU_CYCLE_1)
	s_cmpk_eq_i32 s0, 0xff
	s_cbranch_scc1 .LBB94_627
; %bb.626:
	s_bitcmp1_b32 s7, 22
	s_cselect_b32 s8, -1, 0
	s_and_b32 s7, s7, 0x3fffff
	s_delay_alu instid0(SALU_CYCLE_1) | instskip(NEXT) | instid1(SALU_CYCLE_1)
	s_or_b32 s7, s0, s7
	s_cmp_lg_u32 s7, 0
	s_cselect_b32 s7, -1, 0
	s_delay_alu instid0(SALU_CYCLE_1) | instskip(NEXT) | instid1(SALU_CYCLE_1)
	s_and_b32 s7, s8, s7
	v_cndmask_b32_e64 v3, 0, 1, s7
	s_delay_alu instid0(VALU_DEP_1)
	v_add_nc_u32_e32 v3, s0, v3
.LBB94_627:
	s_mov_b32 s0, 0
	s_mov_b32 s7, -1
	global_store_b8 v[0:1], v3, off
.LBB94_628:
	s_mov_b32 s8, 0
.LBB94_629:
	s_delay_alu instid0(SALU_CYCLE_1)
	s_and_b32 vcc_lo, exec_lo, s8
	s_cbranch_vccz .LBB94_632
; %bb.630:
	v_cmp_eq_u16_e32 vcc_lo, 29, v8
	s_mov_b32 s0, -1
	s_cbranch_vccz .LBB94_632
; %bb.631:
	s_and_b32 s0, s19, 0xff
	s_mov_b32 s7, -1
	v_dual_mov_b32 v3, s0 :: v_dual_mov_b32 v4, 0
	s_mov_b32 s0, 0
	global_store_b64 v[0:1], v[3:4], off
.LBB94_632:
	s_mov_b32 s8, 0
.LBB94_633:
	s_delay_alu instid0(SALU_CYCLE_1)
	s_and_b32 vcc_lo, exec_lo, s8
	s_cbranch_vccz .LBB94_739
; %bb.634:
	v_cmp_gt_i16_e32 vcc_lo, 27, v8
	s_mov_b32 s7, -1
	s_cbranch_vccnz .LBB94_640
; %bb.635:
	v_cmp_lt_i16_e32 vcc_lo, 27, v8
	s_cbranch_vccz .LBB94_637
; %bb.636:
	s_and_b32 s7, s19, 0xff
	s_delay_alu instid0(SALU_CYCLE_1)
	v_mov_b32_e32 v3, s7
	s_mov_b32 s7, 0
	global_store_b32 v[0:1], v3, off
.LBB94_637:
	s_and_not1_b32 vcc_lo, exec_lo, s7
	s_cbranch_vccnz .LBB94_639
; %bb.638:
	v_and_b32_e64 v3, 0xff, s19
	global_store_b16 v[0:1], v3, off
.LBB94_639:
	s_mov_b32 s7, 0
.LBB94_640:
	s_delay_alu instid0(SALU_CYCLE_1)
	s_and_not1_b32 vcc_lo, exec_lo, s7
	s_cbranch_vccnz .LBB94_738
; %bb.641:
	v_cndmask_b32_e64 v3, 0, 1.0, s1
	v_mov_b32_e32 v5, 0x80
	s_delay_alu instid0(VALU_DEP_2)
	v_cmp_lt_u32_e32 vcc_lo, 0x437fffff, v3
	v_readfirstlane_b32 s7, v3
	s_cbranch_vccnz .LBB94_737
; %bb.642:
	s_delay_alu instid0(VALU_DEP_1)
	s_cmp_gt_u32 s7, 0x3bffffff
	s_cbranch_scc0 .LBB94_732
; %bb.643:
	s_bfe_u32 s8, s7, 0x10014
	s_delay_alu instid0(SALU_CYCLE_1) | instskip(SKIP_2) | instid1(SALU_CYCLE_1)
	s_add_i32 s7, s7, s8
	s_mov_b32 s8, 0
	s_add_i32 s7, s7, 0x487ffff
	s_lshr_b32 s9, s7, 20
	s_mov_b32 s7, -1
	s_branch .LBB94_733
.LBB94_644:
	s_mov_b32 s7, 0
	s_cbranch_execz .LBB94_838
; %bb.645:
	v_cmp_gt_i16_e32 vcc_lo, 5, v8
	s_mov_b32 s0, -1
	s_cbranch_vccnz .LBB94_666
; %bb.646:
	v_cmp_gt_i16_e32 vcc_lo, 8, v8
	s_cbranch_vccnz .LBB94_656
; %bb.647:
	v_cmp_gt_i16_e32 vcc_lo, 9, v8
	s_cbranch_vccnz .LBB94_653
; %bb.648:
	v_cmp_lt_i16_e32 vcc_lo, 9, v8
	s_cbranch_vccz .LBB94_650
; %bb.649:
	v_cndmask_b32_e64 v3, 0, 1, s1
	v_mov_b32_e32 v5, 0
	s_mov_b32 s0, 0
	s_delay_alu instid0(VALU_DEP_2) | instskip(NEXT) | instid1(VALU_DEP_2)
	v_cvt_f64_u32_e32 v[3:4], v3
	v_mov_b32_e32 v6, v5
	global_store_b128 v[0:1], v[3:6], off
.LBB94_650:
	s_and_not1_b32 vcc_lo, exec_lo, s0
	s_cbranch_vccnz .LBB94_652
; %bb.651:
	v_cndmask_b32_e64 v3, 0, 1.0, s1
	v_mov_b32_e32 v4, 0
	global_store_b64 v[0:1], v[3:4], off
.LBB94_652:
	s_mov_b32 s0, 0
.LBB94_653:
	s_delay_alu instid0(SALU_CYCLE_1)
	s_and_not1_b32 vcc_lo, exec_lo, s0
	s_cbranch_vccnz .LBB94_655
; %bb.654:
	v_cndmask_b32_e64 v3, 0, 1.0, s1
	s_delay_alu instid0(VALU_DEP_1) | instskip(NEXT) | instid1(VALU_DEP_1)
	v_cvt_f16_f32_e32 v3, v3
	v_and_b32_e32 v3, 0xffff, v3
	global_store_b32 v[0:1], v3, off
.LBB94_655:
	s_mov_b32 s0, 0
.LBB94_656:
	s_delay_alu instid0(SALU_CYCLE_1)
	s_and_not1_b32 vcc_lo, exec_lo, s0
	s_cbranch_vccnz .LBB94_665
; %bb.657:
	v_cmp_gt_i16_e32 vcc_lo, 6, v8
	s_mov_b32 s0, -1
	s_cbranch_vccnz .LBB94_663
; %bb.658:
	v_cmp_lt_i16_e32 vcc_lo, 6, v8
	s_cbranch_vccz .LBB94_660
; %bb.659:
	v_cndmask_b32_e64 v3, 0, 1, s1
	s_mov_b32 s0, 0
	s_delay_alu instid0(VALU_DEP_1)
	v_cvt_f64_u32_e32 v[3:4], v3
	global_store_b64 v[0:1], v[3:4], off
.LBB94_660:
	s_and_not1_b32 vcc_lo, exec_lo, s0
	s_cbranch_vccnz .LBB94_662
; %bb.661:
	v_cndmask_b32_e64 v3, 0, 1.0, s1
	global_store_b32 v[0:1], v3, off
.LBB94_662:
	s_mov_b32 s0, 0
.LBB94_663:
	s_delay_alu instid0(SALU_CYCLE_1)
	s_and_not1_b32 vcc_lo, exec_lo, s0
	s_cbranch_vccnz .LBB94_665
; %bb.664:
	v_cndmask_b32_e64 v3, 0, 1.0, s1
	s_delay_alu instid0(VALU_DEP_1)
	v_cvt_f16_f32_e32 v3, v3
	global_store_b16 v[0:1], v3, off
.LBB94_665:
	s_mov_b32 s0, 0
.LBB94_666:
	s_delay_alu instid0(SALU_CYCLE_1)
	s_and_not1_b32 vcc_lo, exec_lo, s0
	s_cbranch_vccnz .LBB94_682
; %bb.667:
	v_cmp_gt_i16_e32 vcc_lo, 2, v8
	s_mov_b32 s0, -1
	s_cbranch_vccnz .LBB94_677
; %bb.668:
	v_cmp_gt_i16_e32 vcc_lo, 3, v8
	s_cbranch_vccnz .LBB94_674
; %bb.669:
	v_cmp_lt_i16_e32 vcc_lo, 3, v8
	s_cbranch_vccz .LBB94_671
; %bb.670:
	s_and_b32 s0, s19, 0xff
	s_delay_alu instid0(SALU_CYCLE_1)
	v_dual_mov_b32 v4, 0 :: v_dual_mov_b32 v3, s0
	s_mov_b32 s0, 0
	global_store_b64 v[0:1], v[3:4], off
.LBB94_671:
	s_and_not1_b32 vcc_lo, exec_lo, s0
	s_cbranch_vccnz .LBB94_673
; %bb.672:
	s_and_b32 s0, s19, 0xff
	s_delay_alu instid0(SALU_CYCLE_1)
	v_mov_b32_e32 v3, s0
	global_store_b32 v[0:1], v3, off
.LBB94_673:
	s_mov_b32 s0, 0
.LBB94_674:
	s_delay_alu instid0(SALU_CYCLE_1)
	s_and_not1_b32 vcc_lo, exec_lo, s0
	s_cbranch_vccnz .LBB94_676
; %bb.675:
	v_and_b32_e64 v3, 0xff, s19
	global_store_b16 v[0:1], v3, off
.LBB94_676:
	s_mov_b32 s0, 0
.LBB94_677:
	s_delay_alu instid0(SALU_CYCLE_1)
	s_and_not1_b32 vcc_lo, exec_lo, s0
	s_cbranch_vccnz .LBB94_682
; %bb.678:
	v_cmp_lt_i16_e32 vcc_lo, 0, v8
	s_mov_b32 s0, -1
	s_cbranch_vccz .LBB94_680
; %bb.679:
	v_mov_b32_e32 v3, s19
	s_mov_b32 s0, 0
	global_store_b8 v[0:1], v3, off
.LBB94_680:
	s_and_not1_b32 vcc_lo, exec_lo, s0
	s_cbranch_vccnz .LBB94_682
; %bb.681:
	v_mov_b32_e32 v3, s19
	global_store_b8 v[0:1], v3, off
.LBB94_682:
	s_branch .LBB94_839
.LBB94_683:
	s_mov_b32 s0, 0
	s_mov_b32 s5, 0
                                        ; implicit-def: $vgpr8
                                        ; implicit-def: $vgpr0_vgpr1
.LBB94_684:
	s_and_not1_b32 s2, s2, exec_lo
	s_and_b32 s4, s4, exec_lo
	s_and_b32 s0, s0, exec_lo
	;; [unrolled: 1-line block ×3, first 2 shown]
	s_or_b32 s2, s2, s4
.LBB94_685:
	s_or_b32 exec_lo, exec_lo, s3
	s_and_saveexec_b32 s3, s2
	s_cbranch_execz .LBB94_688
; %bb.686:
	; divergent unreachable
	s_or_b32 exec_lo, exec_lo, s3
	s_and_saveexec_b32 s2, s12
	s_delay_alu instid0(SALU_CYCLE_1)
	s_xor_b32 s2, exec_lo, s2
	s_cbranch_execnz .LBB94_689
.LBB94_687:
	s_or_b32 exec_lo, exec_lo, s2
	s_and_saveexec_b32 s2, s0
	s_cbranch_execnz .LBB94_690
	s_branch .LBB94_727
.LBB94_688:
	s_or_b32 exec_lo, exec_lo, s3
	s_and_saveexec_b32 s2, s12
	s_delay_alu instid0(SALU_CYCLE_1)
	s_xor_b32 s2, exec_lo, s2
	s_cbranch_execz .LBB94_687
.LBB94_689:
	v_mov_b32_e32 v2, s19
	global_store_b8 v[0:1], v2, off
	s_or_b32 exec_lo, exec_lo, s2
	s_and_saveexec_b32 s2, s0
	s_cbranch_execz .LBB94_727
.LBB94_690:
	v_cmp_gt_i16_e32 vcc_lo, 5, v8
	s_mov_b32 s0, -1
	s_cbranch_vccnz .LBB94_711
; %bb.691:
	v_cmp_gt_i16_e32 vcc_lo, 8, v8
	s_cbranch_vccnz .LBB94_701
; %bb.692:
	v_cmp_gt_i16_e32 vcc_lo, 9, v8
	s_cbranch_vccnz .LBB94_698
; %bb.693:
	v_cmp_lt_i16_e32 vcc_lo, 9, v8
	s_cbranch_vccz .LBB94_695
; %bb.694:
	v_cndmask_b32_e64 v2, 0, 1, s1
	v_mov_b32_e32 v4, 0
	s_mov_b32 s0, 0
	s_delay_alu instid0(VALU_DEP_2) | instskip(NEXT) | instid1(VALU_DEP_2)
	v_cvt_f64_u32_e32 v[2:3], v2
	v_mov_b32_e32 v5, v4
	global_store_b128 v[0:1], v[2:5], off
.LBB94_695:
	s_and_not1_b32 vcc_lo, exec_lo, s0
	s_cbranch_vccnz .LBB94_697
; %bb.696:
	v_cndmask_b32_e64 v2, 0, 1.0, s1
	v_mov_b32_e32 v3, 0
	global_store_b64 v[0:1], v[2:3], off
.LBB94_697:
	s_mov_b32 s0, 0
.LBB94_698:
	s_delay_alu instid0(SALU_CYCLE_1)
	s_and_not1_b32 vcc_lo, exec_lo, s0
	s_cbranch_vccnz .LBB94_700
; %bb.699:
	v_cndmask_b32_e64 v2, 0, 1.0, s1
	s_delay_alu instid0(VALU_DEP_1) | instskip(NEXT) | instid1(VALU_DEP_1)
	v_cvt_f16_f32_e32 v2, v2
	v_and_b32_e32 v2, 0xffff, v2
	global_store_b32 v[0:1], v2, off
.LBB94_700:
	s_mov_b32 s0, 0
.LBB94_701:
	s_delay_alu instid0(SALU_CYCLE_1)
	s_and_not1_b32 vcc_lo, exec_lo, s0
	s_cbranch_vccnz .LBB94_710
; %bb.702:
	v_cmp_gt_i16_e32 vcc_lo, 6, v8
	s_mov_b32 s0, -1
	s_cbranch_vccnz .LBB94_708
; %bb.703:
	v_cmp_lt_i16_e32 vcc_lo, 6, v8
	s_cbranch_vccz .LBB94_705
; %bb.704:
	v_cndmask_b32_e64 v2, 0, 1, s1
	s_mov_b32 s0, 0
	s_delay_alu instid0(VALU_DEP_1)
	v_cvt_f64_u32_e32 v[2:3], v2
	global_store_b64 v[0:1], v[2:3], off
.LBB94_705:
	s_and_not1_b32 vcc_lo, exec_lo, s0
	s_cbranch_vccnz .LBB94_707
; %bb.706:
	v_cndmask_b32_e64 v2, 0, 1.0, s1
	global_store_b32 v[0:1], v2, off
.LBB94_707:
	s_mov_b32 s0, 0
.LBB94_708:
	s_delay_alu instid0(SALU_CYCLE_1)
	s_and_not1_b32 vcc_lo, exec_lo, s0
	s_cbranch_vccnz .LBB94_710
; %bb.709:
	v_cndmask_b32_e64 v2, 0, 1.0, s1
	s_delay_alu instid0(VALU_DEP_1)
	v_cvt_f16_f32_e32 v2, v2
	global_store_b16 v[0:1], v2, off
.LBB94_710:
	s_mov_b32 s0, 0
.LBB94_711:
	s_delay_alu instid0(SALU_CYCLE_1)
	s_and_not1_b32 vcc_lo, exec_lo, s0
	s_cbranch_vccnz .LBB94_727
; %bb.712:
	v_cmp_gt_i16_e32 vcc_lo, 2, v8
	s_mov_b32 s0, -1
	s_cbranch_vccnz .LBB94_722
; %bb.713:
	v_cmp_gt_i16_e32 vcc_lo, 3, v8
	s_cbranch_vccnz .LBB94_719
; %bb.714:
	v_cmp_lt_i16_e32 vcc_lo, 3, v8
	s_cbranch_vccz .LBB94_716
; %bb.715:
	s_and_b32 s0, s19, 0xff
	s_delay_alu instid0(SALU_CYCLE_1)
	v_dual_mov_b32 v3, 0 :: v_dual_mov_b32 v2, s0
	s_mov_b32 s0, 0
	global_store_b64 v[0:1], v[2:3], off
.LBB94_716:
	s_and_not1_b32 vcc_lo, exec_lo, s0
	s_cbranch_vccnz .LBB94_718
; %bb.717:
	s_and_b32 s0, s19, 0xff
	s_delay_alu instid0(SALU_CYCLE_1)
	v_mov_b32_e32 v2, s0
	global_store_b32 v[0:1], v2, off
.LBB94_718:
	s_mov_b32 s0, 0
.LBB94_719:
	s_delay_alu instid0(SALU_CYCLE_1)
	s_and_not1_b32 vcc_lo, exec_lo, s0
	s_cbranch_vccnz .LBB94_721
; %bb.720:
	v_and_b32_e64 v2, 0xff, s19
	global_store_b16 v[0:1], v2, off
.LBB94_721:
	s_mov_b32 s0, 0
.LBB94_722:
	s_delay_alu instid0(SALU_CYCLE_1)
	s_and_not1_b32 vcc_lo, exec_lo, s0
	s_cbranch_vccnz .LBB94_727
; %bb.723:
	v_cmp_lt_i16_e32 vcc_lo, 0, v8
	s_mov_b32 s0, -1
	s_cbranch_vccz .LBB94_725
; %bb.724:
	v_mov_b32_e32 v2, s19
	s_mov_b32 s0, 0
	global_store_b8 v[0:1], v2, off
.LBB94_725:
	s_and_not1_b32 vcc_lo, exec_lo, s0
	s_cbranch_vccnz .LBB94_727
; %bb.726:
	v_mov_b32_e32 v2, s19
	global_store_b8 v[0:1], v2, off
	s_nop 0
	s_sendmsg sendmsg(MSG_DEALLOC_VGPRS)
	s_endpgm
.LBB94_727:
	s_nop 0
	s_sendmsg sendmsg(MSG_DEALLOC_VGPRS)
	s_endpgm
.LBB94_728:
	s_cbranch_execnz .LBB94_730
; %bb.729:
	s_or_b32 s4, s4, exec_lo
	s_cbranch_execz .LBB94_613
	s_branch .LBB94_614
.LBB94_730:
	s_trap 2
	s_sendmsg_rtn_b32 s0, sendmsg(MSG_RTN_GET_DOORBELL)
	s_mov_b32 ttmp2, m0
	s_waitcnt lgkmcnt(0)
	s_and_b32 s0, s0, 0x3ff
	s_delay_alu instid0(SALU_CYCLE_1) | instskip(NEXT) | instid1(SALU_CYCLE_1)
	s_bitset1_b32 s0, 10
	s_mov_b32 m0, s0
	s_sendmsg sendmsg(MSG_INTERRUPT)
	s_mov_b32 m0, ttmp2
.LBB94_731:                             ; =>This Inner Loop Header: Depth=1
	s_sethalt 5
	s_branch .LBB94_731
.LBB94_732:
	s_mov_b32 s8, -1
	s_mov_b32 s7, 0
                                        ; implicit-def: $sgpr9
.LBB94_733:
	v_mov_b32_e32 v4, s9
	s_and_not1_b32 vcc_lo, exec_lo, s8
                                        ; implicit-def: $sgpr8
	s_cbranch_vccnz .LBB94_735
; %bb.734:
	v_add_f32_e32 v3, 0x46000000, v3
	s_mov_b32 s8, 0
	s_delay_alu instid0(VALU_DEP_1) | instskip(NEXT) | instid1(VALU_DEP_1)
	v_and_b32_e32 v4, 0xff, v3
	v_cmp_ne_u32_e64 s7, 0, v4
.LBB94_735:
	v_mov_b32_e32 v5, s8
	s_delay_alu instid0(VALU_DEP_2)
	s_and_not1_b32 vcc_lo, exec_lo, s7
	s_cbranch_vccnz .LBB94_737
; %bb.736:
	v_mov_b32_e32 v5, v4
.LBB94_737:
	global_store_b8 v[0:1], v5, off
.LBB94_738:
	s_mov_b32 s7, -1
.LBB94_739:
	s_mov_b32 s8, 0
.LBB94_740:
	s_delay_alu instid0(SALU_CYCLE_1)
	s_and_b32 vcc_lo, exec_lo, s8
	s_cbranch_vccz .LBB94_834
; %bb.741:
	v_cmp_lt_i16_e32 vcc_lo, 22, v8
	s_mov_b32 s6, -1
	s_cbranch_vccz .LBB94_827
; %bb.742:
	v_cmp_gt_i16_e32 vcc_lo, 24, v8
	s_cbranch_vccnz .LBB94_814
; %bb.743:
	v_cmp_lt_i16_e32 vcc_lo, 24, v8
	s_cbranch_vccz .LBB94_801
; %bb.744:
	v_cndmask_b32_e64 v3, 0, 1.0, s1
	v_mov_b32_e32 v5, 0x80
	s_delay_alu instid0(VALU_DEP_2)
	v_cmp_lt_u32_e32 vcc_lo, 0x477fffff, v3
	v_readfirstlane_b32 s6, v3
	s_cbranch_vccnz .LBB94_800
; %bb.745:
	s_delay_alu instid0(VALU_DEP_1)
	s_cmp_gt_u32 s6, 0x37ffffff
	s_cbranch_scc0 .LBB94_795
; %bb.746:
	s_bfe_u32 s7, s6, 0x10015
	s_delay_alu instid0(SALU_CYCLE_1) | instskip(SKIP_2) | instid1(SALU_CYCLE_1)
	s_add_i32 s6, s6, s7
	s_mov_b32 s7, 0
	s_add_i32 s6, s6, 0x88fffff
	s_lshr_b32 s8, s6, 21
	s_mov_b32 s6, -1
	s_branch .LBB94_796
.LBB94_747:
	s_mov_b32 s27, 0
.LBB94_748:
	s_delay_alu instid0(SALU_CYCLE_1)
	s_and_b32 vcc_lo, exec_lo, s27
	s_cbranch_vccz .LBB94_751
; %bb.749:
	v_cmp_eq_u16_e32 vcc_lo, 29, v8
	s_mov_b32 s9, -1
	s_cbranch_vccz .LBB94_751
; %bb.750:
	v_dual_mov_b32 v2, s10 :: v_dual_mov_b32 v3, s11
	s_mov_b32 s9, 0
	s_mov_b32 s27, 0
	global_store_b64 v[6:7], v[2:3], off
	s_branch .LBB94_752
.LBB94_751:
	s_mov_b32 s27, 0
.LBB94_752:
	s_delay_alu instid0(SALU_CYCLE_1)
	s_and_b32 vcc_lo, exec_lo, s27
	s_cbranch_vccz .LBB94_764
; %bb.753:
	v_cmp_gt_i16_e32 vcc_lo, 27, v8
	s_mov_b32 s8, -1
	s_cbranch_vccnz .LBB94_759
; %bb.754:
	v_cmp_lt_i16_e32 vcc_lo, 27, v8
	s_cbranch_vccz .LBB94_756
; %bb.755:
	v_mov_b32_e32 v2, s10
	s_mov_b32 s8, 0
	global_store_b32 v[6:7], v2, off
.LBB94_756:
	s_and_not1_b32 vcc_lo, exec_lo, s8
	s_cbranch_vccnz .LBB94_758
; %bb.757:
	global_store_b16 v[6:7], v9, off
.LBB94_758:
	s_mov_b32 s8, 0
.LBB94_759:
	s_delay_alu instid0(SALU_CYCLE_1)
	s_and_not1_b32 vcc_lo, exec_lo, s8
	s_cbranch_vccnz .LBB94_764
; %bb.760:
	v_mov_b32_e32 v2, 0x80
	s_and_not1_b32 vcc_lo, exec_lo, s7
	s_cbranch_vccnz .LBB94_763
; %bb.761:
	v_mov_b32_e32 v2, 0
	s_or_b32 s7, s6, s15
	s_delay_alu instid0(SALU_CYCLE_1)
	s_and_not1_b32 vcc_lo, exec_lo, s7
	s_cbranch_vccnz .LBB94_763
; %bb.762:
	v_cndmask_b32_e64 v2, v21, v22, s6
.LBB94_763:
	global_store_b8 v[6:7], v2, off
.LBB94_764:
	s_mov_b32 s27, 0
.LBB94_765:
	s_delay_alu instid0(SALU_CYCLE_1)
	s_and_b32 vcc_lo, exec_lo, s27
	s_mov_b32 s6, 0
	s_cbranch_vccz .LBB94_786
; %bb.766:
	v_cmp_lt_i16_e32 vcc_lo, 22, v8
	s_mov_b32 s7, -1
	s_cbranch_vccz .LBB94_779
; %bb.767:
	v_cmp_gt_i16_e32 vcc_lo, 24, v8
	s_cbranch_vccnz .LBB94_776
; %bb.768:
	v_cmp_lt_i16_e32 vcc_lo, 24, v8
	s_cbranch_vccz .LBB94_773
; %bb.769:
	v_mov_b32_e32 v2, 0x80
	s_and_not1_b32 vcc_lo, exec_lo, s5
	s_cbranch_vccnz .LBB94_772
; %bb.770:
	v_mov_b32_e32 v2, 0
	s_or_b32 s5, s4, s14
	s_delay_alu instid0(SALU_CYCLE_1)
	s_and_not1_b32 vcc_lo, exec_lo, s5
	s_cbranch_vccnz .LBB94_772
; %bb.771:
	v_cndmask_b32_e64 v2, v17, v20, s4
.LBB94_772:
	s_mov_b32 s7, 0
	global_store_b8 v[6:7], v2, off
.LBB94_773:
	s_and_b32 vcc_lo, exec_lo, s7
	s_cbranch_vccz .LBB94_775
; %bb.774:
	v_cndmask_b32_e64 v2, v16, v18, s3
	s_delay_alu instid0(VALU_DEP_1)
	v_cndmask_b32_e64 v2, v2, v19, s2
	global_store_b8 v[6:7], v2, off
.LBB94_775:
	s_mov_b32 s7, 0
.LBB94_776:
	s_delay_alu instid0(SALU_CYCLE_1)
	s_and_not1_b32 vcc_lo, exec_lo, s7
	s_cbranch_vccnz .LBB94_778
; %bb.777:
	v_cndmask_b32_e64 v2, v13, v14, s1
	s_delay_alu instid0(VALU_DEP_1)
	v_cndmask_b32_e64 v2, v2, v15, s0
	global_store_b8 v[6:7], v2, off
.LBB94_778:
	s_mov_b32 s7, 0
.LBB94_779:
	s_delay_alu instid0(SALU_CYCLE_1)
	s_and_not1_b32 vcc_lo, exec_lo, s7
	s_mov_b32 s0, 0
	s_cbranch_vccnz .LBB94_787
; %bb.780:
	v_cmp_lt_i16_e32 vcc_lo, 14, v8
	s_mov_b32 s0, -1
	s_cbranch_vccz .LBB94_784
; %bb.781:
	v_cmp_eq_u16_e32 vcc_lo, 15, v8
	s_mov_b32 s9, -1
	s_cbranch_vccz .LBB94_783
; %bb.782:
	s_mov_b32 s9, 0
	global_store_b16 v[6:7], v12, off
.LBB94_783:
	s_mov_b32 s0, 0
.LBB94_784:
	s_delay_alu instid0(SALU_CYCLE_1)
	s_and_b32 vcc_lo, exec_lo, s0
	s_mov_b32 s0, 0
	s_cbranch_vccz .LBB94_787
; %bb.785:
	v_cmp_ne_u16_e32 vcc_lo, 11, v8
	s_and_not1_b32 s1, s9, exec_lo
	s_mov_b32 s0, -1
	s_and_b32 s2, vcc_lo, exec_lo
	s_delay_alu instid0(SALU_CYCLE_1)
	s_or_b32 s9, s1, s2
	s_branch .LBB94_787
.LBB94_786:
	s_mov_b32 s0, 0
.LBB94_787:
	s_and_not1_b32 s1, s26, exec_lo
	s_and_b32 s2, s9, exec_lo
	s_and_b32 s27, s6, exec_lo
	;; [unrolled: 1-line block ×3, first 2 shown]
	s_or_b32 s28, s1, s2
.LBB94_788:
	s_or_b32 exec_lo, exec_lo, s20
	s_delay_alu instid0(SALU_CYCLE_1)
	s_and_not1_b32 s0, s26, exec_lo
	s_and_b32 s1, s28, exec_lo
	s_and_b32 s27, s27, exec_lo
	;; [unrolled: 1-line block ×3, first 2 shown]
	s_or_b32 s26, s0, s1
.LBB94_789:
	s_or_b32 exec_lo, exec_lo, s25
	s_delay_alu instid0(SALU_CYCLE_1)
	s_and_not1_b32 s0, s23, exec_lo
	s_and_b32 s1, s26, exec_lo
	s_and_b32 s27, s27, exec_lo
	;; [unrolled: 1-line block ×3, first 2 shown]
	s_or_b32 s23, s0, s1
.LBB94_790:
	s_or_b32 exec_lo, exec_lo, s24
	s_delay_alu instid0(SALU_CYCLE_1)
	s_and_not1_b32 s0, s21, exec_lo
	s_and_b32 s1, s23, exec_lo
	s_and_b32 s9, s27, exec_lo
	;; [unrolled: 1-line block ×3, first 2 shown]
	s_or_b32 s21, s0, s1
	s_or_b32 exec_lo, exec_lo, s22
	s_mov_b32 s0, 0
	s_and_saveexec_b32 s1, s21
	s_cbranch_execz .LBB94_110
.LBB94_791:
	s_cbranch_execnz .LBB94_793
; %bb.792:
	s_mov_b32 s0, exec_lo
	s_and_not1_b32 s23, s23, exec_lo
	s_or_b32 exec_lo, exec_lo, s1
	s_and_saveexec_b32 s1, s23
	s_delay_alu instid0(SALU_CYCLE_1)
	s_xor_b32 s1, exec_lo, s1
	s_cbranch_execnz .LBB94_111
	s_branch .LBB94_112
.LBB94_793:
	s_trap 2
	s_sendmsg_rtn_b32 s0, sendmsg(MSG_RTN_GET_DOORBELL)
	s_mov_b32 ttmp2, m0
	s_waitcnt lgkmcnt(0)
	s_and_b32 s0, s0, 0x3ff
	s_delay_alu instid0(SALU_CYCLE_1) | instskip(NEXT) | instid1(SALU_CYCLE_1)
	s_bitset1_b32 s0, 10
	s_mov_b32 m0, s0
	s_sendmsg sendmsg(MSG_INTERRUPT)
	s_mov_b32 m0, ttmp2
.LBB94_794:                             ; =>This Inner Loop Header: Depth=1
	s_sethalt 5
	s_branch .LBB94_794
.LBB94_795:
	s_mov_b32 s7, -1
	s_mov_b32 s6, 0
                                        ; implicit-def: $sgpr8
.LBB94_796:
	v_mov_b32_e32 v4, s8
	s_and_not1_b32 vcc_lo, exec_lo, s7
                                        ; implicit-def: $sgpr7
	s_cbranch_vccnz .LBB94_798
; %bb.797:
	v_add_f32_e32 v3, 0x42800000, v3
	s_mov_b32 s7, 0
	s_delay_alu instid0(VALU_DEP_1) | instskip(NEXT) | instid1(VALU_DEP_1)
	v_and_b32_e32 v4, 0xff, v3
	v_cmp_ne_u32_e64 s6, 0, v4
.LBB94_798:
	v_mov_b32_e32 v5, s7
	s_delay_alu instid0(VALU_DEP_2)
	s_and_not1_b32 vcc_lo, exec_lo, s6
	s_cbranch_vccnz .LBB94_800
; %bb.799:
	v_mov_b32_e32 v5, v4
.LBB94_800:
	s_mov_b32 s6, 0
	global_store_b8 v[0:1], v5, off
.LBB94_801:
	s_and_b32 vcc_lo, exec_lo, s6
	s_cbranch_vccz .LBB94_813
; %bb.802:
	v_cndmask_b32_e64 v3, 0, 1.0, s1
	s_delay_alu instid0(VALU_DEP_1)
	v_cmp_gt_u32_e32 vcc_lo, 0x43f00000, v3
	v_readfirstlane_b32 s6, v3
	s_cbranch_vccz .LBB94_805
; %bb.803:
	s_delay_alu instid0(VALU_DEP_1)
	s_cmp_gt_u32 s6, 0x3c7fffff
	s_cbranch_scc0 .LBB94_806
; %bb.804:
	s_bfe_u32 s7, s6, 0x10014
	s_delay_alu instid0(SALU_CYCLE_1) | instskip(NEXT) | instid1(SALU_CYCLE_1)
	s_add_i32 s7, s6, s7
	s_add_i32 s7, s7, 0x407ffff
	s_delay_alu instid0(SALU_CYCLE_1)
	s_and_b32 s8, s7, 0xff00000
	s_lshr_b32 s7, s7, 20
	s_cmp_lg_u32 s8, 0x7f00000
	s_cselect_b32 s8, s7, 0x7e
	s_mov_b32 s7, 0
	s_branch .LBB94_807
.LBB94_805:
	s_mov_b32 s7, -1
                                        ; implicit-def: $vgpr4
	s_branch .LBB94_810
.LBB94_806:
	s_mov_b32 s7, -1
                                        ; implicit-def: $sgpr8
.LBB94_807:
	v_mov_b32_e32 v4, s8
	s_and_not1_b32 vcc_lo, exec_lo, s7
	s_cbranch_vccnz .LBB94_809
; %bb.808:
	v_add_f32_e32 v4, 0x46800000, v3
.LBB94_809:
	s_mov_b32 s7, 0
.LBB94_810:
	s_delay_alu instid0(SALU_CYCLE_1)
	s_and_not1_b32 vcc_lo, exec_lo, s7
	s_cbranch_vccnz .LBB94_812
; %bb.811:
	s_cmp_gt_u32 s6, 0x7f800000
	s_movk_i32 s6, 0x7f
	s_delay_alu instid0(SALU_CYCLE_1) | instskip(NEXT) | instid1(SALU_CYCLE_1)
	s_cselect_b32 s6, s6, 0x7e
	v_mov_b32_e32 v4, s6
.LBB94_812:
	global_store_b8 v[0:1], v4, off
.LBB94_813:
	s_mov_b32 s6, 0
.LBB94_814:
	s_delay_alu instid0(SALU_CYCLE_1)
	s_and_not1_b32 vcc_lo, exec_lo, s6
	s_cbranch_vccnz .LBB94_826
; %bb.815:
	v_cndmask_b32_e64 v3, 0, 1.0, s1
	s_delay_alu instid0(VALU_DEP_1)
	v_cmp_gt_u32_e32 vcc_lo, 0x47800000, v3
	v_readfirstlane_b32 s6, v3
	s_cbranch_vccz .LBB94_818
; %bb.816:
	s_delay_alu instid0(VALU_DEP_1)
	s_cmp_gt_u32 s6, 0x387fffff
	s_cbranch_scc0 .LBB94_819
; %bb.817:
	s_bfe_u32 s7, s6, 0x10015
	s_delay_alu instid0(SALU_CYCLE_1) | instskip(NEXT) | instid1(SALU_CYCLE_1)
	s_add_i32 s7, s6, s7
	s_add_i32 s7, s7, 0x80fffff
	s_delay_alu instid0(SALU_CYCLE_1)
	s_lshr_b32 s8, s7, 21
	s_mov_b32 s7, 0
	s_branch .LBB94_820
.LBB94_818:
	s_mov_b32 s7, -1
                                        ; implicit-def: $vgpr4
	s_branch .LBB94_823
.LBB94_819:
	s_mov_b32 s7, -1
                                        ; implicit-def: $sgpr8
.LBB94_820:
	v_mov_b32_e32 v4, s8
	s_and_not1_b32 vcc_lo, exec_lo, s7
	s_cbranch_vccnz .LBB94_822
; %bb.821:
	v_add_f32_e32 v4, 0x43000000, v3
.LBB94_822:
	s_mov_b32 s7, 0
.LBB94_823:
	s_delay_alu instid0(SALU_CYCLE_1)
	s_and_not1_b32 vcc_lo, exec_lo, s7
	s_cbranch_vccnz .LBB94_825
; %bb.824:
	s_cmp_gt_u32 s6, 0x7f800000
	s_movk_i32 s6, 0x7f
	s_delay_alu instid0(SALU_CYCLE_1) | instskip(NEXT) | instid1(SALU_CYCLE_1)
	s_cselect_b32 s6, s6, 0x7c
	v_mov_b32_e32 v4, s6
.LBB94_825:
	global_store_b8 v[0:1], v4, off
.LBB94_826:
	s_mov_b32 s6, 0
	s_mov_b32 s7, -1
.LBB94_827:
	s_and_not1_b32 vcc_lo, exec_lo, s6
	s_mov_b32 s6, 0
	s_cbranch_vccnz .LBB94_834
; %bb.828:
	v_cmp_lt_i16_e32 vcc_lo, 14, v8
	s_mov_b32 s6, -1
	s_cbranch_vccz .LBB94_832
; %bb.829:
	v_cmp_eq_u16_e32 vcc_lo, 15, v8
	s_mov_b32 s0, -1
	s_cbranch_vccz .LBB94_831
; %bb.830:
	v_cndmask_b32_e64 v3, 0, 1.0, s1
	s_mov_b32 s0, 0
	s_mov_b32 s7, -1
	s_delay_alu instid0(VALU_DEP_1) | instskip(NEXT) | instid1(VALU_DEP_1)
	v_bfe_u32 v4, v3, 16, 1
	v_add_nc_u32_e32 v3, v3, v4
	s_delay_alu instid0(VALU_DEP_1)
	v_add_nc_u32_e32 v3, 0x7fff, v3
	global_store_d16_hi_b16 v[0:1], v3, off
.LBB94_831:
	s_mov_b32 s6, 0
.LBB94_832:
	s_delay_alu instid0(SALU_CYCLE_1)
	s_and_b32 vcc_lo, exec_lo, s6
	s_mov_b32 s6, 0
	s_cbranch_vccz .LBB94_834
; %bb.833:
	v_cmp_ne_u16_e64 s0, 11, v8
	s_mov_b32 s6, -1
.LBB94_834:
	s_delay_alu instid0(VALU_DEP_1)
	s_and_b32 vcc_lo, exec_lo, s0
	s_cbranch_vccnz .LBB94_869
; %bb.835:
	s_and_not1_b32 vcc_lo, exec_lo, s6
	s_cbranch_vccnz .LBB94_837
.LBB94_836:
	v_mov_b32_e32 v3, s19
	s_mov_b32 s7, -1
	global_store_b8 v[0:1], v3, off
.LBB94_837:
.LBB94_838:
	s_and_not1_b32 vcc_lo, exec_lo, s7
	s_cbranch_vccnz .LBB94_683
.LBB94_839:
	v_add_nc_u32_e32 v0, s5, v2
	v_cmp_gt_i16_e32 vcc_lo, 11, v8
	s_delay_alu instid0(VALU_DEP_2) | instskip(SKIP_1) | instid1(VALU_DEP_1)
	v_ashrrev_i32_e32 v1, 31, v0
	v_add_co_u32 v0, s0, s16, v0
	v_add_co_ci_u32_e64 v1, s0, s17, v1, s0
	s_cbranch_vccnz .LBB94_868
; %bb.840:
	v_cmp_lt_i16_e32 vcc_lo, 25, v8
	s_mov_b32 s6, -1
	s_mov_b32 s5, 0
	s_mov_b32 s0, 0
	s_cbranch_vccz .LBB94_880
; %bb.841:
	v_cmp_lt_i16_e32 vcc_lo, 28, v8
	s_cbranch_vccz .LBB94_857
; %bb.842:
	v_cmp_lt_i16_e32 vcc_lo, 43, v8
	;; [unrolled: 3-line block ×3, first 2 shown]
	s_cbranch_vccz .LBB94_847
; %bb.844:
	v_cmp_eq_u16_e32 vcc_lo, 46, v8
	s_mov_b32 s0, -1
	s_cbranch_vccz .LBB94_846
; %bb.845:
	v_cndmask_b32_e64 v2, 0, 1.0, s1
	s_mov_b32 s0, 0
	s_delay_alu instid0(VALU_DEP_1) | instskip(NEXT) | instid1(VALU_DEP_1)
	v_bfe_u32 v3, v2, 16, 1
	v_add_nc_u32_e32 v2, v2, v3
	s_delay_alu instid0(VALU_DEP_1) | instskip(NEXT) | instid1(VALU_DEP_1)
	v_add_nc_u32_e32 v2, 0x7fff, v2
	v_lshrrev_b32_e32 v2, 16, v2
	global_store_b32 v[0:1], v2, off
.LBB94_846:
	s_mov_b32 s6, 0
.LBB94_847:
	s_delay_alu instid0(SALU_CYCLE_1)
	s_and_b32 vcc_lo, exec_lo, s6
	s_cbranch_vccz .LBB94_852
; %bb.848:
	v_cmp_eq_u16_e32 vcc_lo, 44, v8
	s_mov_b32 s0, -1
	s_cbranch_vccz .LBB94_852
; %bb.849:
	v_cndmask_b32_e64 v2, 0, 1.0, s1
	s_delay_alu instid0(VALU_DEP_1) | instskip(SKIP_1) | instid1(VALU_DEP_2)
	v_readfirstlane_b32 s6, v2
	v_mov_b32_e32 v2, 0xff
	s_lshr_b32 s0, s6, 23
	s_delay_alu instid0(SALU_CYCLE_1)
	s_cmpk_eq_i32 s0, 0xff
	s_cbranch_scc1 .LBB94_851
; %bb.850:
	s_bitcmp1_b32 s6, 22
	s_cselect_b32 s7, -1, 0
	s_and_b32 s6, s6, 0x3fffff
	s_delay_alu instid0(SALU_CYCLE_1) | instskip(NEXT) | instid1(SALU_CYCLE_1)
	s_or_b32 s6, s0, s6
	s_cmp_lg_u32 s6, 0
	s_cselect_b32 s6, -1, 0
	s_delay_alu instid0(SALU_CYCLE_1) | instskip(NEXT) | instid1(SALU_CYCLE_1)
	s_and_b32 s6, s7, s6
	v_cndmask_b32_e64 v2, 0, 1, s6
	s_delay_alu instid0(VALU_DEP_1)
	v_add_nc_u32_e32 v2, s0, v2
.LBB94_851:
	s_mov_b32 s0, 0
	global_store_b8 v[0:1], v2, off
.LBB94_852:
	s_mov_b32 s6, 0
.LBB94_853:
	s_delay_alu instid0(SALU_CYCLE_1)
	s_and_b32 vcc_lo, exec_lo, s6
	s_cbranch_vccz .LBB94_856
; %bb.854:
	v_cmp_eq_u16_e32 vcc_lo, 29, v8
	s_mov_b32 s0, -1
	s_cbranch_vccz .LBB94_856
; %bb.855:
	s_and_b32 s0, s19, 0xff
	s_delay_alu instid0(SALU_CYCLE_1)
	v_dual_mov_b32 v3, 0 :: v_dual_mov_b32 v2, s0
	s_mov_b32 s0, 0
	global_store_b64 v[0:1], v[2:3], off
.LBB94_856:
	s_mov_b32 s6, 0
.LBB94_857:
	s_delay_alu instid0(SALU_CYCLE_1)
	s_and_b32 vcc_lo, exec_lo, s6
	s_cbranch_vccz .LBB94_879
; %bb.858:
	v_cmp_gt_i16_e32 vcc_lo, 27, v8
	s_mov_b32 s6, -1
	s_cbranch_vccnz .LBB94_864
; %bb.859:
	v_cmp_lt_i16_e32 vcc_lo, 27, v8
	s_cbranch_vccz .LBB94_861
; %bb.860:
	s_and_b32 s6, s19, 0xff
	s_delay_alu instid0(SALU_CYCLE_1)
	v_mov_b32_e32 v2, s6
	s_mov_b32 s6, 0
	global_store_b32 v[0:1], v2, off
.LBB94_861:
	s_and_not1_b32 vcc_lo, exec_lo, s6
	s_cbranch_vccnz .LBB94_863
; %bb.862:
	v_and_b32_e64 v2, 0xff, s19
	global_store_b16 v[0:1], v2, off
.LBB94_863:
	s_mov_b32 s6, 0
.LBB94_864:
	s_delay_alu instid0(SALU_CYCLE_1)
	s_and_not1_b32 vcc_lo, exec_lo, s6
	s_cbranch_vccnz .LBB94_879
; %bb.865:
	v_cndmask_b32_e64 v2, 0, 1.0, s1
	v_mov_b32_e32 v4, 0x80
	s_delay_alu instid0(VALU_DEP_2)
	v_cmp_lt_u32_e32 vcc_lo, 0x437fffff, v2
	v_readfirstlane_b32 s6, v2
	s_cbranch_vccnz .LBB94_878
; %bb.866:
	s_delay_alu instid0(VALU_DEP_1)
	s_cmp_gt_u32 s6, 0x3bffffff
	s_cbranch_scc0 .LBB94_873
; %bb.867:
	s_bfe_u32 s7, s6, 0x10014
	s_delay_alu instid0(SALU_CYCLE_1) | instskip(SKIP_2) | instid1(SALU_CYCLE_1)
	s_add_i32 s6, s6, s7
	s_mov_b32 s7, 0
	s_add_i32 s6, s6, 0x487ffff
	s_lshr_b32 s8, s6, 20
	s_mov_b32 s6, -1
	s_branch .LBB94_874
.LBB94_868:
	s_mov_b32 s5, 0
	s_mov_b32 s0, -1
	s_branch .LBB94_684
.LBB94_869:
	s_cbranch_execnz .LBB94_871
; %bb.870:
	s_or_b32 s4, s4, exec_lo
	s_cbranch_execz .LBB94_836
	s_branch .LBB94_837
.LBB94_871:
	s_trap 2
	s_sendmsg_rtn_b32 s0, sendmsg(MSG_RTN_GET_DOORBELL)
	s_mov_b32 ttmp2, m0
	s_waitcnt lgkmcnt(0)
	s_and_b32 s0, s0, 0x3ff
	s_delay_alu instid0(SALU_CYCLE_1) | instskip(NEXT) | instid1(SALU_CYCLE_1)
	s_bitset1_b32 s0, 10
	s_mov_b32 m0, s0
	s_sendmsg sendmsg(MSG_INTERRUPT)
	s_mov_b32 m0, ttmp2
.LBB94_872:                             ; =>This Inner Loop Header: Depth=1
	s_sethalt 5
	s_branch .LBB94_872
.LBB94_873:
	s_mov_b32 s7, -1
	s_mov_b32 s6, 0
                                        ; implicit-def: $sgpr8
.LBB94_874:
	v_mov_b32_e32 v3, s8
	s_and_not1_b32 vcc_lo, exec_lo, s7
                                        ; implicit-def: $sgpr7
	s_cbranch_vccnz .LBB94_876
; %bb.875:
	v_add_f32_e32 v2, 0x46000000, v2
	s_mov_b32 s7, 0
	s_delay_alu instid0(VALU_DEP_1) | instskip(NEXT) | instid1(VALU_DEP_1)
	v_and_b32_e32 v3, 0xff, v2
	v_cmp_ne_u32_e64 s6, 0, v3
.LBB94_876:
	v_mov_b32_e32 v4, s7
	s_delay_alu instid0(VALU_DEP_2)
	s_and_not1_b32 vcc_lo, exec_lo, s6
	s_cbranch_vccnz .LBB94_878
; %bb.877:
	v_mov_b32_e32 v4, v3
.LBB94_878:
	global_store_b8 v[0:1], v4, off
.LBB94_879:
	s_mov_b32 s6, 0
.LBB94_880:
	s_delay_alu instid0(SALU_CYCLE_1)
	s_and_b32 vcc_lo, exec_lo, s6
	s_cbranch_vccz .LBB94_926
; %bb.881:
	v_cmp_lt_i16_e32 vcc_lo, 22, v8
	s_mov_b32 s5, -1
	s_cbranch_vccz .LBB94_919
; %bb.882:
	v_cmp_gt_i16_e32 vcc_lo, 24, v8
	s_cbranch_vccnz .LBB94_906
; %bb.883:
	v_cmp_lt_i16_e32 vcc_lo, 24, v8
	s_cbranch_vccz .LBB94_893
; %bb.884:
	v_cndmask_b32_e64 v2, 0, 1.0, s1
	v_mov_b32_e32 v4, 0x80
	s_delay_alu instid0(VALU_DEP_2)
	v_cmp_lt_u32_e32 vcc_lo, 0x477fffff, v2
	v_readfirstlane_b32 s5, v2
	s_cbranch_vccnz .LBB94_892
; %bb.885:
	s_delay_alu instid0(VALU_DEP_1)
	s_cmp_gt_u32 s5, 0x37ffffff
	s_cbranch_scc0 .LBB94_887
; %bb.886:
	s_bfe_u32 s6, s5, 0x10015
	s_delay_alu instid0(SALU_CYCLE_1) | instskip(SKIP_2) | instid1(SALU_CYCLE_1)
	s_add_i32 s5, s5, s6
	s_mov_b32 s6, 0
	s_add_i32 s5, s5, 0x88fffff
	s_lshr_b32 s7, s5, 21
	s_mov_b32 s5, -1
	s_branch .LBB94_888
.LBB94_887:
	s_mov_b32 s6, -1
	s_mov_b32 s5, 0
                                        ; implicit-def: $sgpr7
.LBB94_888:
	v_mov_b32_e32 v3, s7
	s_and_not1_b32 vcc_lo, exec_lo, s6
                                        ; implicit-def: $sgpr6
	s_cbranch_vccnz .LBB94_890
; %bb.889:
	v_add_f32_e32 v2, 0x42800000, v2
	s_mov_b32 s6, 0
	s_delay_alu instid0(VALU_DEP_1) | instskip(NEXT) | instid1(VALU_DEP_1)
	v_and_b32_e32 v3, 0xff, v2
	v_cmp_ne_u32_e64 s5, 0, v3
.LBB94_890:
	v_mov_b32_e32 v4, s6
	s_delay_alu instid0(VALU_DEP_2)
	s_and_not1_b32 vcc_lo, exec_lo, s5
	s_cbranch_vccnz .LBB94_892
; %bb.891:
	v_mov_b32_e32 v4, v3
.LBB94_892:
	s_mov_b32 s5, 0
	global_store_b8 v[0:1], v4, off
.LBB94_893:
	s_and_b32 vcc_lo, exec_lo, s5
	s_cbranch_vccz .LBB94_905
; %bb.894:
	v_cndmask_b32_e64 v2, 0, 1.0, s1
	s_delay_alu instid0(VALU_DEP_1)
	v_cmp_gt_u32_e32 vcc_lo, 0x43f00000, v2
	v_readfirstlane_b32 s5, v2
	s_cbranch_vccz .LBB94_897
; %bb.895:
	s_delay_alu instid0(VALU_DEP_1)
	s_cmp_gt_u32 s5, 0x3c7fffff
	s_cbranch_scc0 .LBB94_898
; %bb.896:
	s_bfe_u32 s6, s5, 0x10014
	s_delay_alu instid0(SALU_CYCLE_1) | instskip(NEXT) | instid1(SALU_CYCLE_1)
	s_add_i32 s6, s5, s6
	s_add_i32 s6, s6, 0x407ffff
	s_delay_alu instid0(SALU_CYCLE_1)
	s_and_b32 s7, s6, 0xff00000
	s_lshr_b32 s6, s6, 20
	s_cmp_lg_u32 s7, 0x7f00000
	s_cselect_b32 s7, s6, 0x7e
	s_mov_b32 s6, 0
	s_branch .LBB94_899
.LBB94_897:
	s_mov_b32 s6, -1
                                        ; implicit-def: $vgpr3
	s_branch .LBB94_902
.LBB94_898:
	s_mov_b32 s6, -1
                                        ; implicit-def: $sgpr7
.LBB94_899:
	v_mov_b32_e32 v3, s7
	s_and_not1_b32 vcc_lo, exec_lo, s6
	s_cbranch_vccnz .LBB94_901
; %bb.900:
	v_add_f32_e32 v3, 0x46800000, v2
.LBB94_901:
	s_mov_b32 s6, 0
.LBB94_902:
	s_delay_alu instid0(SALU_CYCLE_1)
	s_and_not1_b32 vcc_lo, exec_lo, s6
	s_cbranch_vccnz .LBB94_904
; %bb.903:
	s_cmp_gt_u32 s5, 0x7f800000
	s_movk_i32 s5, 0x7f
	s_delay_alu instid0(SALU_CYCLE_1) | instskip(NEXT) | instid1(SALU_CYCLE_1)
	s_cselect_b32 s5, s5, 0x7e
	v_mov_b32_e32 v3, s5
.LBB94_904:
	global_store_b8 v[0:1], v3, off
.LBB94_905:
	s_mov_b32 s5, 0
.LBB94_906:
	s_delay_alu instid0(SALU_CYCLE_1)
	s_and_not1_b32 vcc_lo, exec_lo, s5
	s_cbranch_vccnz .LBB94_918
; %bb.907:
	v_cndmask_b32_e64 v2, 0, 1.0, s1
	s_delay_alu instid0(VALU_DEP_1)
	v_cmp_gt_u32_e32 vcc_lo, 0x47800000, v2
	v_readfirstlane_b32 s5, v2
	s_cbranch_vccz .LBB94_910
; %bb.908:
	s_delay_alu instid0(VALU_DEP_1)
	s_cmp_gt_u32 s5, 0x387fffff
	s_cbranch_scc0 .LBB94_911
; %bb.909:
	s_bfe_u32 s6, s5, 0x10015
	s_delay_alu instid0(SALU_CYCLE_1) | instskip(NEXT) | instid1(SALU_CYCLE_1)
	s_add_i32 s6, s5, s6
	s_add_i32 s6, s6, 0x80fffff
	s_delay_alu instid0(SALU_CYCLE_1)
	s_lshr_b32 s7, s6, 21
	s_mov_b32 s6, 0
	s_branch .LBB94_912
.LBB94_910:
	s_mov_b32 s6, -1
                                        ; implicit-def: $vgpr3
	s_branch .LBB94_915
.LBB94_911:
	s_mov_b32 s6, -1
                                        ; implicit-def: $sgpr7
.LBB94_912:
	v_mov_b32_e32 v3, s7
	s_and_not1_b32 vcc_lo, exec_lo, s6
	s_cbranch_vccnz .LBB94_914
; %bb.913:
	v_add_f32_e32 v3, 0x43000000, v2
.LBB94_914:
	s_mov_b32 s6, 0
.LBB94_915:
	s_delay_alu instid0(SALU_CYCLE_1)
	s_and_not1_b32 vcc_lo, exec_lo, s6
	s_cbranch_vccnz .LBB94_917
; %bb.916:
	s_cmp_gt_u32 s5, 0x7f800000
	s_movk_i32 s5, 0x7f
	s_delay_alu instid0(SALU_CYCLE_1) | instskip(NEXT) | instid1(SALU_CYCLE_1)
	s_cselect_b32 s5, s5, 0x7c
	v_mov_b32_e32 v3, s5
.LBB94_917:
	global_store_b8 v[0:1], v3, off
.LBB94_918:
	s_mov_b32 s5, 0
.LBB94_919:
	s_delay_alu instid0(SALU_CYCLE_1)
	s_and_not1_b32 vcc_lo, exec_lo, s5
	s_mov_b32 s5, 0
	s_cbranch_vccnz .LBB94_926
; %bb.920:
	v_cmp_lt_i16_e32 vcc_lo, 14, v8
	s_mov_b32 s5, -1
	s_cbranch_vccz .LBB94_924
; %bb.921:
	v_cmp_eq_u16_e32 vcc_lo, 15, v8
	s_mov_b32 s0, -1
	s_cbranch_vccz .LBB94_923
; %bb.922:
	v_cndmask_b32_e64 v2, 0, 1.0, s1
	s_mov_b32 s0, 0
	s_delay_alu instid0(VALU_DEP_1) | instskip(NEXT) | instid1(VALU_DEP_1)
	v_bfe_u32 v3, v2, 16, 1
	v_add_nc_u32_e32 v2, v2, v3
	s_delay_alu instid0(VALU_DEP_1)
	v_add_nc_u32_e32 v2, 0x7fff, v2
	global_store_d16_hi_b16 v[0:1], v2, off
.LBB94_923:
	s_mov_b32 s5, 0
.LBB94_924:
	s_delay_alu instid0(SALU_CYCLE_1)
	s_and_b32 vcc_lo, exec_lo, s5
	s_mov_b32 s5, 0
	s_cbranch_vccz .LBB94_926
; %bb.925:
	v_cmp_ne_u16_e64 s0, 11, v8
	s_mov_b32 s5, -1
.LBB94_926:
	s_delay_alu instid0(VALU_DEP_1)
	s_and_b32 vcc_lo, exec_lo, s0
	s_cbranch_vccnz .LBB94_928
.LBB94_927:
	s_mov_b32 s0, 0
	s_branch .LBB94_684
.LBB94_928:
	s_cbranch_execnz .LBB94_930
; %bb.929:
	s_mov_b32 s5, 0
	s_or_b32 s4, s4, exec_lo
	s_branch .LBB94_927
.LBB94_930:
	s_trap 2
	s_sendmsg_rtn_b32 s0, sendmsg(MSG_RTN_GET_DOORBELL)
	s_mov_b32 ttmp2, m0
	s_waitcnt lgkmcnt(0)
	s_and_b32 s0, s0, 0x3ff
	s_delay_alu instid0(SALU_CYCLE_1) | instskip(NEXT) | instid1(SALU_CYCLE_1)
	s_bitset1_b32 s0, 10
	s_mov_b32 m0, s0
	s_sendmsg sendmsg(MSG_INTERRUPT)
	s_mov_b32 m0, ttmp2
.LBB94_931:                             ; =>This Inner Loop Header: Depth=1
	s_sethalt 5
	s_branch .LBB94_931
	.section	.rodata,"a",@progbits
	.p2align	6, 0x0
	.amdhsa_kernel _ZN2at6native32elementwise_kernel_manual_unrollILi128ELi4EZNS0_15gpu_kernel_implINS0_11FillFunctorIbEEEEvRNS_18TensorIteratorBaseERKT_EUlibE_EEviT1_
		.amdhsa_group_segment_fixed_size 0
		.amdhsa_private_segment_fixed_size 0
		.amdhsa_kernarg_size 24
		.amdhsa_user_sgpr_count 15
		.amdhsa_user_sgpr_dispatch_ptr 0
		.amdhsa_user_sgpr_queue_ptr 0
		.amdhsa_user_sgpr_kernarg_segment_ptr 1
		.amdhsa_user_sgpr_dispatch_id 0
		.amdhsa_user_sgpr_private_segment_size 0
		.amdhsa_wavefront_size32 1
		.amdhsa_uses_dynamic_stack 0
		.amdhsa_enable_private_segment 0
		.amdhsa_system_sgpr_workgroup_id_x 1
		.amdhsa_system_sgpr_workgroup_id_y 0
		.amdhsa_system_sgpr_workgroup_id_z 0
		.amdhsa_system_sgpr_workgroup_info 0
		.amdhsa_system_vgpr_workitem_id 0
		.amdhsa_next_free_vgpr 25
		.amdhsa_next_free_sgpr 29
		.amdhsa_reserve_vcc 1
		.amdhsa_float_round_mode_32 0
		.amdhsa_float_round_mode_16_64 0
		.amdhsa_float_denorm_mode_32 3
		.amdhsa_float_denorm_mode_16_64 3
		.amdhsa_dx10_clamp 1
		.amdhsa_ieee_mode 1
		.amdhsa_fp16_overflow 0
		.amdhsa_workgroup_processor_mode 1
		.amdhsa_memory_ordered 1
		.amdhsa_forward_progress 0
		.amdhsa_shared_vgpr_count 0
		.amdhsa_exception_fp_ieee_invalid_op 0
		.amdhsa_exception_fp_denorm_src 0
		.amdhsa_exception_fp_ieee_div_zero 0
		.amdhsa_exception_fp_ieee_overflow 0
		.amdhsa_exception_fp_ieee_underflow 0
		.amdhsa_exception_fp_ieee_inexact 0
		.amdhsa_exception_int_div_zero 0
	.end_amdhsa_kernel
	.section	.text._ZN2at6native32elementwise_kernel_manual_unrollILi128ELi4EZNS0_15gpu_kernel_implINS0_11FillFunctorIbEEEEvRNS_18TensorIteratorBaseERKT_EUlibE_EEviT1_,"axG",@progbits,_ZN2at6native32elementwise_kernel_manual_unrollILi128ELi4EZNS0_15gpu_kernel_implINS0_11FillFunctorIbEEEEvRNS_18TensorIteratorBaseERKT_EUlibE_EEviT1_,comdat
.Lfunc_end94:
	.size	_ZN2at6native32elementwise_kernel_manual_unrollILi128ELi4EZNS0_15gpu_kernel_implINS0_11FillFunctorIbEEEEvRNS_18TensorIteratorBaseERKT_EUlibE_EEviT1_, .Lfunc_end94-_ZN2at6native32elementwise_kernel_manual_unrollILi128ELi4EZNS0_15gpu_kernel_implINS0_11FillFunctorIbEEEEvRNS_18TensorIteratorBaseERKT_EUlibE_EEviT1_
                                        ; -- End function
	.section	.AMDGPU.csdata,"",@progbits
; Kernel info:
; codeLenInByte = 13428
; NumSgprs: 31
; NumVgprs: 25
; ScratchSize: 0
; MemoryBound: 0
; FloatMode: 240
; IeeeMode: 1
; LDSByteSize: 0 bytes/workgroup (compile time only)
; SGPRBlocks: 3
; VGPRBlocks: 3
; NumSGPRsForWavesPerEU: 31
; NumVGPRsForWavesPerEU: 25
; Occupancy: 16
; WaveLimiterHint : 0
; COMPUTE_PGM_RSRC2:SCRATCH_EN: 0
; COMPUTE_PGM_RSRC2:USER_SGPR: 15
; COMPUTE_PGM_RSRC2:TRAP_HANDLER: 0
; COMPUTE_PGM_RSRC2:TGID_X_EN: 1
; COMPUTE_PGM_RSRC2:TGID_Y_EN: 0
; COMPUTE_PGM_RSRC2:TGID_Z_EN: 0
; COMPUTE_PGM_RSRC2:TIDIG_COMP_CNT: 0
	.section	.text._ZN2at6native32elementwise_kernel_manual_unrollILi128ELi4EZNS0_15gpu_kernel_implINS0_11FillFunctorIbEEEEvRNS_18TensorIteratorBaseERKT_EUlibE0_EEviT1_,"axG",@progbits,_ZN2at6native32elementwise_kernel_manual_unrollILi128ELi4EZNS0_15gpu_kernel_implINS0_11FillFunctorIbEEEEvRNS_18TensorIteratorBaseERKT_EUlibE0_EEviT1_,comdat
	.protected	_ZN2at6native32elementwise_kernel_manual_unrollILi128ELi4EZNS0_15gpu_kernel_implINS0_11FillFunctorIbEEEEvRNS_18TensorIteratorBaseERKT_EUlibE0_EEviT1_ ; -- Begin function _ZN2at6native32elementwise_kernel_manual_unrollILi128ELi4EZNS0_15gpu_kernel_implINS0_11FillFunctorIbEEEEvRNS_18TensorIteratorBaseERKT_EUlibE0_EEviT1_
	.globl	_ZN2at6native32elementwise_kernel_manual_unrollILi128ELi4EZNS0_15gpu_kernel_implINS0_11FillFunctorIbEEEEvRNS_18TensorIteratorBaseERKT_EUlibE0_EEviT1_
	.p2align	8
	.type	_ZN2at6native32elementwise_kernel_manual_unrollILi128ELi4EZNS0_15gpu_kernel_implINS0_11FillFunctorIbEEEEvRNS_18TensorIteratorBaseERKT_EUlibE0_EEviT1_,@function
_ZN2at6native32elementwise_kernel_manual_unrollILi128ELi4EZNS0_15gpu_kernel_implINS0_11FillFunctorIbEEEEvRNS_18TensorIteratorBaseERKT_EUlibE0_EEviT1_: ; @_ZN2at6native32elementwise_kernel_manual_unrollILi128ELi4EZNS0_15gpu_kernel_implINS0_11FillFunctorIbEEEEvRNS_18TensorIteratorBaseERKT_EUlibE0_EEviT1_
; %bb.0:
	s_clause 0x1
	s_load_b32 s11, s[0:1], 0x8
	s_load_b32 s39, s[0:1], 0x0
	v_lshl_or_b32 v11, s15, 9, v0
	s_or_b32 s0, s0, 8
	s_mov_b32 s26, -1
	s_mov_b32 s31, 0
	s_mov_b32 s6, 0
	v_or_b32_e32 v4, 0x180, v11
	s_mov_b32 s2, exec_lo
	s_waitcnt lgkmcnt(0)
	s_add_i32 s30, s11, -1
	s_delay_alu instid0(SALU_CYCLE_1)
	s_cmp_gt_u32 s30, 1
	s_cselect_b32 s33, -1, 0
	v_cmpx_le_i32_e64 s39, v4
	s_xor_b32 s34, exec_lo, s2
	s_cbranch_execz .LBB95_159
; %bb.1:
	s_load_b32 s35, s[0:1], 0x110
	s_cmp_lg_u32 s11, 0
	s_clause 0x1
	s_load_b64 s[20:21], s[0:1], 0xc4
	s_load_b64 s[18:19], s[0:1], 0x108
	s_cselect_b32 s41, -1, 0
	s_add_u32 s24, s0, 0xc4
	s_addc_u32 s25, s1, 0
	s_min_u32 s40, s30, 15
	s_cmp_gt_u32 s11, 1
	s_clause 0x1
	s_load_b128 s[12:15], s[0:1], 0x4
	s_load_b64 s[22:23], s[0:1], 0x14
	s_cselect_b32 s38, -1, 0
	s_mov_b32 s44, 0
	s_mov_b32 s42, 0
	;; [unrolled: 1-line block ×3, first 2 shown]
	s_mov_b32 s43, exec_lo
	s_waitcnt lgkmcnt(0)
	s_bitcmp1_b32 s35, 0
	v_lshrrev_b16 v8, 8, s35
	s_cselect_b32 s2, -1, 0
	s_and_b32 s16, s35, 0xff
	v_cndmask_b32_e64 v4, 0, 1.0, s2
	v_cndmask_b32_e64 v0, 0, 1, s2
	v_and_b32_e64 v9, 0xff, s35
	s_delay_alu instid0(VALU_DEP_3)
	v_lshrrev_b32_e32 v2, 23, v4
	v_and_b32_e32 v5, 0x3fffff, v4
	v_and_b32_e32 v3, 0x400000, v4
	v_bfe_u32 v6, v4, 20, 1
	v_bfe_u32 v7, v4, 21, 1
	v_cvt_f64_u32_e32 v[0:1], v0
	v_or_b32_e32 v5, v2, v5
	v_cmp_ne_u32_e32 vcc_lo, 0, v3
	v_dual_add_f32 v22, 0x46000000, v4 :: v_dual_add_nc_u32 v3, v4, v6
	v_add_f32_e32 v14, 0x42800000, v4
	s_delay_alu instid0(VALU_DEP_4)
	v_cmp_ne_u32_e64 s3, 0, v5
	v_add_nc_u32_e32 v5, v4, v7
	v_cmp_eq_u32_e64 s10, 0xff, v2
	v_add_nc_u32_e32 v6, 0x487ffff, v3
	v_readfirstlane_b32 s4, v22
	s_and_b32 s3, vcc_lo, s3
	v_add_nc_u32_e32 v10, 0x88fffff, v5
	v_cndmask_b32_e64 v7, 0, 1, s3
	v_lshrrev_b32_e32 v23, 20, v6
	v_bfe_u32 v6, v4, 16, 1
	v_readfirstlane_b32 s5, v14
	s_and_b32 s4, s4, 0xff
	v_dual_add_f32 v19, 0x46800000, v4 :: v_dual_add_nc_u32 v24, v2, v7
	v_add_nc_u32_e32 v2, 0x407ffff, v3
	v_lshrrev_b32_e32 v21, 21, v10
	v_cvt_f16_f32_e32 v10, v4
	s_cmp_lg_u32 s4, 0
	v_cmp_gt_u32_e64 s9, 0x43800000, v4
	v_and_b32_e32 v3, 0xff00000, v2
	v_lshrrev_b32_e32 v2, 20, v2
	s_cselect_b32 s37, -1, 0
	s_and_b32 s3, s5, 0xff
	v_cmp_lt_u32_e64 s8, 0x3bffffff, v4
	v_cmp_ne_u32_e32 vcc_lo, 0x7f00000, v3
	v_cmp_lt_u32_e64 s2, 0x477fffff, v4
	v_cmp_gt_u32_e64 s7, 0x47800000, v4
	v_cmp_lt_u32_e64 s6, 0x37ffffff, v4
	s_cmp_lg_u32 s3, 0
	v_cndmask_b32_e32 v18, 0x7e, v2, vcc_lo
	v_add_nc_u32_e32 v2, 0x80fffff, v5
	v_mov_b32_e32 v5, 0x7f
	v_cmp_lt_u32_e32 vcc_lo, 0x7f800000, v4
	v_add_nc_u32_e32 v3, v4, v6
	v_cmp_lt_u32_e64 s4, 0x43efffff, v4
	v_lshrrev_b32_e32 v15, 21, v2
	v_cmp_gt_u32_e64 s5, 0x3c800000, v4
	v_cndmask_b32_e32 v20, 0x7e, v5, vcc_lo
	v_add_nc_u32_e32 v2, 0x7fff, v3
	v_cmp_gt_u32_e64 s3, 0x38800000, v4
	v_add_f32_e32 v16, 0x43000000, v4
	v_cndmask_b32_e32 v17, 0x7c, v5, vcc_lo
	v_and_b32_e32 v12, 0xffff, v10
	v_lshrrev_b32_e32 v13, 16, v2
	s_cselect_b32 s36, -1, 0
	v_cmpx_gt_i32_e64 s39, v11
	s_cbranch_execz .LBB95_110
; %bb.2:
	s_and_not1_b32 vcc_lo, exec_lo, s33
	s_cbranch_vccnz .LBB95_7
; %bb.3:
	v_mov_b32_e32 v2, 0
	s_and_not1_b32 vcc_lo, exec_lo, s41
	s_cbranch_vccnz .LBB95_12
; %bb.4:
	s_add_i32 s45, s40, 1
	s_cmp_eq_u32 s30, 2
	s_cbranch_scc1 .LBB95_8
; %bb.5:
	v_dual_mov_b32 v2, 0 :: v_dual_mov_b32 v3, v11
	s_and_b32 s42, s45, 28
	s_mov_b32 s46, 0
	s_mov_b64 s[26:27], s[0:1]
	s_mov_b64 s[28:29], s[24:25]
.LBB95_6:                               ; =>This Inner Loop Header: Depth=1
	s_clause 0x1
	s_load_b256 s[48:55], s[26:27], 0x4
	s_load_b128 s[56:59], s[26:27], 0x24
	s_load_b128 s[60:63], s[28:29], 0x0
	s_add_u32 s26, s26, 48
	s_addc_u32 s27, s27, 0
	s_add_i32 s46, s46, 4
	s_add_u32 s28, s28, 16
	s_addc_u32 s29, s29, 0
	s_cmp_lg_u32 s42, s46
	s_waitcnt lgkmcnt(0)
	v_mul_hi_u32 v5, s49, v3
	s_delay_alu instid0(VALU_DEP_1) | instskip(NEXT) | instid1(VALU_DEP_1)
	v_add_nc_u32_e32 v5, v3, v5
	v_lshrrev_b32_e32 v5, s50, v5
	s_delay_alu instid0(VALU_DEP_1) | instskip(SKIP_1) | instid1(VALU_DEP_2)
	v_mul_hi_u32 v6, s52, v5
	v_mul_lo_u32 v26, v5, s48
	v_add_nc_u32_e32 v6, v5, v6
	s_delay_alu instid0(VALU_DEP_2) | instskip(NEXT) | instid1(VALU_DEP_2)
	v_sub_nc_u32_e32 v26, v3, v26
	v_lshrrev_b32_e32 v6, s53, v6
	s_delay_alu instid0(VALU_DEP_2) | instskip(NEXT) | instid1(VALU_DEP_2)
	v_mul_lo_u32 v26, v26, s60
	v_mul_hi_u32 v7, s55, v6
	v_mul_lo_u32 v27, v6, s51
	s_delay_alu instid0(VALU_DEP_2) | instskip(NEXT) | instid1(VALU_DEP_2)
	v_add_nc_u32_e32 v7, v6, v7
	v_sub_nc_u32_e32 v5, v5, v27
	s_delay_alu instid0(VALU_DEP_2) | instskip(NEXT) | instid1(VALU_DEP_2)
	v_lshrrev_b32_e32 v7, s56, v7
	v_mul_lo_u32 v5, v5, s61
	s_delay_alu instid0(VALU_DEP_2) | instskip(NEXT) | instid1(VALU_DEP_2)
	v_mul_hi_u32 v25, s58, v7
	v_add3_u32 v2, v26, v2, v5
	s_delay_alu instid0(VALU_DEP_2) | instskip(NEXT) | instid1(VALU_DEP_1)
	v_add_nc_u32_e32 v25, v7, v25
	v_lshrrev_b32_e32 v3, s59, v25
	v_mul_lo_u32 v25, v7, s54
	s_delay_alu instid0(VALU_DEP_2) | instskip(NEXT) | instid1(VALU_DEP_2)
	v_mul_lo_u32 v28, v3, s57
	v_sub_nc_u32_e32 v6, v6, v25
	s_delay_alu instid0(VALU_DEP_2) | instskip(NEXT) | instid1(VALU_DEP_2)
	v_sub_nc_u32_e32 v7, v7, v28
	v_mul_lo_u32 v6, v6, s62
	s_delay_alu instid0(VALU_DEP_2) | instskip(NEXT) | instid1(VALU_DEP_1)
	v_mul_lo_u32 v7, v7, s63
	v_add3_u32 v2, v6, v2, v7
	s_cbranch_scc1 .LBB95_6
	s_branch .LBB95_9
.LBB95_7:
                                        ; implicit-def: $vgpr2
	s_and_not1_b32 vcc_lo, exec_lo, s26
	s_cbranch_vccz .LBB95_13
	s_branch .LBB95_15
.LBB95_8:
	v_mov_b32_e32 v3, v11
.LBB95_9:
	s_and_b32 s45, s45, 3
	s_delay_alu instid0(SALU_CYCLE_1)
	s_cmp_eq_u32 s45, 0
	s_cbranch_scc1 .LBB95_12
; %bb.10:
	s_lshl_b32 s26, s42, 2
	s_mul_i32 s28, s42, 12
	s_add_u32 s26, s26, s0
	s_addc_u32 s27, s1, 0
	s_add_u32 s26, s26, 0xc4
	s_addc_u32 s27, s27, 0
	;; [unrolled: 2-line block ×3, first 2 shown]
	.p2align	6
.LBB95_11:                              ; =>This Inner Loop Header: Depth=1
	s_clause 0x1
	s_load_b64 s[46:47], s[28:29], 0x4
	s_load_b32 s42, s[28:29], 0xc
	s_add_u32 s28, s28, 12
	s_addc_u32 s29, s29, 0
	s_waitcnt lgkmcnt(0)
	v_mul_hi_u32 v5, s47, v3
	s_load_b32 s47, s[26:27], 0x0
	s_add_u32 s26, s26, 4
	s_addc_u32 s27, s27, 0
	s_add_i32 s45, s45, -1
	s_delay_alu instid0(SALU_CYCLE_1) | instskip(NEXT) | instid1(VALU_DEP_1)
	s_cmp_lg_u32 s45, 0
	v_add_nc_u32_e32 v5, v3, v5
	s_delay_alu instid0(VALU_DEP_1) | instskip(NEXT) | instid1(VALU_DEP_1)
	v_lshrrev_b32_e32 v7, s42, v5
	v_mul_lo_u32 v5, v7, s46
	s_delay_alu instid0(VALU_DEP_1) | instskip(SKIP_1) | instid1(VALU_DEP_1)
	v_sub_nc_u32_e32 v3, v3, v5
	s_waitcnt lgkmcnt(0)
	v_mad_u64_u32 v[5:6], null, v3, s47, v[2:3]
	s_delay_alu instid0(VALU_DEP_1)
	v_dual_mov_b32 v3, v7 :: v_dual_mov_b32 v2, v5
	s_cbranch_scc1 .LBB95_11
.LBB95_12:
	s_cbranch_execnz .LBB95_15
.LBB95_13:
	v_mul_hi_u32 v2, s13, v11
	s_and_not1_b32 vcc_lo, exec_lo, s38
	s_delay_alu instid0(VALU_DEP_1) | instskip(NEXT) | instid1(VALU_DEP_1)
	v_add_nc_u32_e32 v2, v11, v2
	v_lshrrev_b32_e32 v3, s14, v2
	s_delay_alu instid0(VALU_DEP_1) | instskip(NEXT) | instid1(VALU_DEP_1)
	v_mul_lo_u32 v2, v3, s12
	v_sub_nc_u32_e32 v2, v11, v2
	s_delay_alu instid0(VALU_DEP_1)
	v_mul_lo_u32 v2, v2, s20
	s_cbranch_vccnz .LBB95_15
; %bb.14:
	v_mul_hi_u32 v5, s22, v3
	s_delay_alu instid0(VALU_DEP_1) | instskip(NEXT) | instid1(VALU_DEP_1)
	v_add_nc_u32_e32 v5, v3, v5
	v_lshrrev_b32_e32 v5, s23, v5
	s_delay_alu instid0(VALU_DEP_1) | instskip(NEXT) | instid1(VALU_DEP_1)
	v_mul_lo_u32 v5, v5, s15
	v_sub_nc_u32_e32 v3, v3, v5
	s_delay_alu instid0(VALU_DEP_1) | instskip(NEXT) | instid1(VALU_DEP_1)
	v_mad_u64_u32 v[5:6], null, v3, s21, v[2:3]
	v_mov_b32_e32 v2, v5
.LBB95_15:
	v_cmp_gt_i16_e32 vcc_lo, 11, v8
	s_delay_alu instid0(VALU_DEP_2) | instskip(NEXT) | instid1(VALU_DEP_1)
	v_add_co_u32 v6, s27, s18, v2
	v_add_co_ci_u32_e64 v7, null, s19, 0, s27
	s_mov_b32 s26, 0
	s_mov_b32 s28, -1
	s_mov_b32 s27, 0
	s_cbranch_vccnz .LBB95_69
; %bb.16:
	v_cmp_lt_i16_e32 vcc_lo, 25, v8
	s_cbranch_vccz .LBB95_44
; %bb.17:
	v_cmp_lt_i16_e32 vcc_lo, 28, v8
	s_cbranch_vccz .LBB95_30
	;; [unrolled: 3-line block ×4, first 2 shown]
; %bb.20:
	v_cmp_eq_u16_e32 vcc_lo, 46, v8
	s_mov_b32 s28, 0
	s_mov_b32 s26, -1
	s_cbranch_vccz .LBB95_22
; %bb.21:
	s_mov_b32 s27, -1
	s_mov_b32 s26, 0
	global_store_b32 v[6:7], v13, off
.LBB95_22:
	s_and_b32 vcc_lo, exec_lo, s28
	s_cbranch_vccz .LBB95_25
; %bb.23:
	v_cmp_eq_u16_e32 vcc_lo, 44, v8
	s_mov_b32 s26, -1
	s_cbranch_vccz .LBB95_25
; %bb.24:
	v_cndmask_b32_e64 v2, v24, 0xff, s10
	s_mov_b32 s27, -1
	s_mov_b32 s26, 0
	global_store_b8 v[6:7], v2, off
.LBB95_25:
	s_mov_b32 s28, 0
.LBB95_26:
	s_delay_alu instid0(SALU_CYCLE_1)
	s_and_b32 vcc_lo, exec_lo, s28
	s_cbranch_vccz .LBB95_29
; %bb.27:
	v_cmp_eq_u16_e32 vcc_lo, 29, v8
	s_mov_b32 s26, -1
	s_cbranch_vccz .LBB95_29
; %bb.28:
	v_dual_mov_b32 v2, s16 :: v_dual_mov_b32 v3, s17
	s_mov_b32 s27, -1
	s_mov_b32 s26, 0
	global_store_b64 v[6:7], v[2:3], off
.LBB95_29:
	s_mov_b32 s28, 0
.LBB95_30:
	s_delay_alu instid0(SALU_CYCLE_1)
	s_and_b32 vcc_lo, exec_lo, s28
	s_cbranch_vccz .LBB95_43
; %bb.31:
	v_cmp_gt_i16_e32 vcc_lo, 27, v8
	s_mov_b32 s27, -1
	s_cbranch_vccnz .LBB95_37
; %bb.32:
	v_cmp_lt_i16_e32 vcc_lo, 27, v8
	s_cbranch_vccz .LBB95_34
; %bb.33:
	v_mov_b32_e32 v2, s16
	s_mov_b32 s27, 0
	global_store_b32 v[6:7], v2, off
.LBB95_34:
	s_and_not1_b32 vcc_lo, exec_lo, s27
	s_cbranch_vccnz .LBB95_36
; %bb.35:
	global_store_b16 v[6:7], v9, off
.LBB95_36:
	s_mov_b32 s27, 0
.LBB95_37:
	s_delay_alu instid0(SALU_CYCLE_1)
	s_and_not1_b32 vcc_lo, exec_lo, s27
	s_cbranch_vccnz .LBB95_42
; %bb.38:
	v_mov_b32_e32 v2, 0x80
	s_and_not1_b32 vcc_lo, exec_lo, s9
	s_cbranch_vccnz .LBB95_41
; %bb.39:
	v_mov_b32_e32 v2, 0
	s_or_b32 s27, s8, s37
	s_delay_alu instid0(SALU_CYCLE_1)
	s_and_not1_b32 vcc_lo, exec_lo, s27
	s_cbranch_vccnz .LBB95_41
; %bb.40:
	v_cndmask_b32_e64 v2, v22, v23, s8
.LBB95_41:
	global_store_b8 v[6:7], v2, off
.LBB95_42:
	s_mov_b32 s27, -1
.LBB95_43:
	s_mov_b32 s28, 0
.LBB95_44:
	s_delay_alu instid0(SALU_CYCLE_1)
	s_and_b32 vcc_lo, exec_lo, s28
	s_cbranch_vccz .LBB95_66
; %bb.45:
	v_cmp_lt_i16_e32 vcc_lo, 22, v8
	s_mov_b32 s28, -1
	s_cbranch_vccz .LBB95_58
; %bb.46:
	v_cmp_gt_i16_e32 vcc_lo, 24, v8
	s_mov_b32 s27, -1
	s_cbranch_vccnz .LBB95_55
; %bb.47:
	v_cmp_lt_i16_e32 vcc_lo, 24, v8
	s_cbranch_vccz .LBB95_52
; %bb.48:
	v_mov_b32_e32 v2, 0x80
	s_and_not1_b32 vcc_lo, exec_lo, s7
	s_cbranch_vccnz .LBB95_51
; %bb.49:
	v_mov_b32_e32 v2, 0
	s_or_b32 s27, s6, s36
	s_delay_alu instid0(SALU_CYCLE_1)
	s_and_not1_b32 vcc_lo, exec_lo, s27
	s_cbranch_vccnz .LBB95_51
; %bb.50:
	v_cndmask_b32_e64 v2, v14, v21, s6
.LBB95_51:
	s_mov_b32 s27, 0
	global_store_b8 v[6:7], v2, off
.LBB95_52:
	s_and_b32 vcc_lo, exec_lo, s27
	s_cbranch_vccz .LBB95_54
; %bb.53:
	v_cndmask_b32_e64 v2, v18, v19, s5
	s_delay_alu instid0(VALU_DEP_1)
	v_cndmask_b32_e64 v2, v2, v20, s4
	global_store_b8 v[6:7], v2, off
.LBB95_54:
	s_mov_b32 s27, 0
.LBB95_55:
	s_delay_alu instid0(SALU_CYCLE_1)
	s_and_not1_b32 vcc_lo, exec_lo, s27
	s_cbranch_vccnz .LBB95_57
; %bb.56:
	v_cndmask_b32_e64 v2, v15, v16, s3
	s_delay_alu instid0(VALU_DEP_1)
	v_cndmask_b32_e64 v2, v2, v17, s2
	global_store_b8 v[6:7], v2, off
.LBB95_57:
	s_mov_b32 s28, 0
	s_mov_b32 s27, -1
.LBB95_58:
	s_and_not1_b32 vcc_lo, exec_lo, s28
	s_cbranch_vccnz .LBB95_66
; %bb.59:
	v_cmp_lt_i16_e32 vcc_lo, 14, v8
	s_mov_b32 s28, -1
	s_cbranch_vccz .LBB95_63
; %bb.60:
	v_cmp_eq_u16_e32 vcc_lo, 15, v8
	s_mov_b32 s26, -1
	s_cbranch_vccz .LBB95_62
; %bb.61:
	s_mov_b32 s27, -1
	s_mov_b32 s26, 0
	global_store_b16 v[6:7], v13, off
.LBB95_62:
	s_mov_b32 s28, 0
.LBB95_63:
	s_delay_alu instid0(SALU_CYCLE_1)
	s_and_b32 vcc_lo, exec_lo, s28
	s_cbranch_vccz .LBB95_66
; %bb.64:
	v_cmp_eq_u16_e32 vcc_lo, 11, v8
	s_mov_b32 s26, -1
	s_cbranch_vccz .LBB95_66
; %bb.65:
	v_mov_b32_e32 v2, s35
	s_mov_b32 s27, -1
	s_mov_b32 s26, 0
	global_store_b8 v[6:7], v2, off
.LBB95_66:
.LBB95_67:
	s_and_not1_b32 vcc_lo, exec_lo, s27
	s_cbranch_vccnz .LBB95_108
.LBB95_68:
	v_add_nc_u32_e32 v11, 0x80, v11
	s_mov_b32 s27, -1
	s_branch .LBB95_109
.LBB95_69:
	s_and_b32 vcc_lo, exec_lo, s28
	s_cbranch_vccz .LBB95_67
; %bb.70:
	v_cmp_gt_i16_e32 vcc_lo, 5, v8
	s_mov_b32 s27, -1
	s_cbranch_vccnz .LBB95_91
; %bb.71:
	v_cmp_gt_i16_e32 vcc_lo, 8, v8
	s_cbranch_vccnz .LBB95_81
; %bb.72:
	v_cmp_gt_i16_e32 vcc_lo, 9, v8
	s_cbranch_vccnz .LBB95_78
; %bb.73:
	v_cmp_lt_i16_e32 vcc_lo, 9, v8
	s_cbranch_vccz .LBB95_75
; %bb.74:
	v_mov_b32_e32 v2, 0
	s_mov_b32 s27, 0
	s_delay_alu instid0(VALU_DEP_1)
	v_mov_b32_e32 v3, v2
	global_store_b128 v[6:7], v[0:3], off
.LBB95_75:
	s_and_not1_b32 vcc_lo, exec_lo, s27
	s_cbranch_vccnz .LBB95_77
; %bb.76:
	v_mov_b32_e32 v5, 0
	global_store_b64 v[6:7], v[4:5], off
.LBB95_77:
	s_mov_b32 s27, 0
.LBB95_78:
	s_delay_alu instid0(SALU_CYCLE_1)
	s_and_not1_b32 vcc_lo, exec_lo, s27
	s_cbranch_vccnz .LBB95_80
; %bb.79:
	global_store_b32 v[6:7], v12, off
.LBB95_80:
	s_mov_b32 s27, 0
.LBB95_81:
	s_delay_alu instid0(SALU_CYCLE_1)
	s_and_not1_b32 vcc_lo, exec_lo, s27
	s_cbranch_vccnz .LBB95_90
; %bb.82:
	v_cmp_gt_i16_e32 vcc_lo, 6, v8
	s_mov_b32 s27, -1
	s_cbranch_vccnz .LBB95_88
; %bb.83:
	v_cmp_lt_i16_e32 vcc_lo, 6, v8
	s_cbranch_vccz .LBB95_85
; %bb.84:
	s_mov_b32 s27, 0
	global_store_b64 v[6:7], v[0:1], off
.LBB95_85:
	s_and_not1_b32 vcc_lo, exec_lo, s27
	s_cbranch_vccnz .LBB95_87
; %bb.86:
	global_store_b32 v[6:7], v4, off
.LBB95_87:
	s_mov_b32 s27, 0
.LBB95_88:
	s_delay_alu instid0(SALU_CYCLE_1)
	s_and_not1_b32 vcc_lo, exec_lo, s27
	s_cbranch_vccnz .LBB95_90
; %bb.89:
	global_store_b16 v[6:7], v10, off
.LBB95_90:
	s_mov_b32 s27, 0
.LBB95_91:
	s_delay_alu instid0(SALU_CYCLE_1)
	s_and_not1_b32 vcc_lo, exec_lo, s27
	s_cbranch_vccnz .LBB95_107
; %bb.92:
	v_cmp_gt_i16_e32 vcc_lo, 2, v8
	s_mov_b32 s27, -1
	s_cbranch_vccnz .LBB95_102
; %bb.93:
	v_cmp_gt_i16_e32 vcc_lo, 3, v8
	s_cbranch_vccnz .LBB95_99
; %bb.94:
	v_cmp_lt_i16_e32 vcc_lo, 3, v8
	s_cbranch_vccz .LBB95_96
; %bb.95:
	v_dual_mov_b32 v2, s16 :: v_dual_mov_b32 v3, s17
	s_mov_b32 s27, 0
	global_store_b64 v[6:7], v[2:3], off
.LBB95_96:
	s_and_not1_b32 vcc_lo, exec_lo, s27
	s_cbranch_vccnz .LBB95_98
; %bb.97:
	v_mov_b32_e32 v2, s16
	global_store_b32 v[6:7], v2, off
.LBB95_98:
	s_mov_b32 s27, 0
.LBB95_99:
	s_delay_alu instid0(SALU_CYCLE_1)
	s_and_not1_b32 vcc_lo, exec_lo, s27
	s_cbranch_vccnz .LBB95_101
; %bb.100:
	global_store_b16 v[6:7], v9, off
.LBB95_101:
	s_mov_b32 s27, 0
.LBB95_102:
	s_delay_alu instid0(SALU_CYCLE_1)
	s_and_not1_b32 vcc_lo, exec_lo, s27
	s_cbranch_vccnz .LBB95_107
; %bb.103:
	v_cmp_lt_i16_e32 vcc_lo, 0, v8
	s_mov_b32 s27, -1
	s_cbranch_vccz .LBB95_105
; %bb.104:
	v_mov_b32_e32 v2, s35
	s_mov_b32 s27, 0
	global_store_b8 v[6:7], v2, off
.LBB95_105:
	s_and_not1_b32 vcc_lo, exec_lo, s27
	s_cbranch_vccnz .LBB95_107
; %bb.106:
	v_mov_b32_e32 v2, s35
	global_store_b8 v[6:7], v2, off
.LBB95_107:
	s_branch .LBB95_68
.LBB95_108:
	s_mov_b32 s27, 0
                                        ; implicit-def: $vgpr11
.LBB95_109:
	s_and_b32 s42, s26, exec_lo
	s_or_not1_b32 s26, s27, exec_lo
.LBB95_110:
	s_or_b32 exec_lo, exec_lo, s43
	s_mov_b32 s27, 0
                                        ; implicit-def: $vgpr6_vgpr7
	s_and_saveexec_b32 s43, s26
	s_cbranch_execz .LBB95_117
; %bb.111:
	s_mov_b32 s28, -1
	s_mov_b32 s44, s42
	s_mov_b32 s45, exec_lo
	v_cmpx_gt_i32_e64 s39, v11
	s_cbranch_execz .LBB95_362
; %bb.112:
	s_and_not1_b32 vcc_lo, exec_lo, s33
	s_cbranch_vccnz .LBB95_240
; %bb.113:
	v_mov_b32_e32 v2, 0
	s_and_not1_b32 vcc_lo, exec_lo, s41
	s_cbranch_vccnz .LBB95_245
; %bb.114:
	s_add_i32 s46, s40, 1
	s_cmp_eq_u32 s30, 2
	s_mov_b32 s44, 0
	s_cbranch_scc1 .LBB95_241
; %bb.115:
	v_dual_mov_b32 v2, 0 :: v_dual_mov_b32 v3, v11
	s_and_b32 s44, s46, 28
	s_mov_b32 s47, 0
	s_mov_b64 s[26:27], s[0:1]
	s_mov_b64 s[28:29], s[24:25]
.LBB95_116:                             ; =>This Inner Loop Header: Depth=1
	s_clause 0x1
	s_load_b256 s[48:55], s[26:27], 0x4
	s_load_b128 s[56:59], s[26:27], 0x24
	s_load_b128 s[60:63], s[28:29], 0x0
	s_add_u32 s26, s26, 48
	s_addc_u32 s27, s27, 0
	s_add_i32 s47, s47, 4
	s_add_u32 s28, s28, 16
	s_addc_u32 s29, s29, 0
	s_cmp_eq_u32 s44, s47
	s_waitcnt lgkmcnt(0)
	v_mul_hi_u32 v5, s49, v3
	s_delay_alu instid0(VALU_DEP_1) | instskip(NEXT) | instid1(VALU_DEP_1)
	v_add_nc_u32_e32 v5, v3, v5
	v_lshrrev_b32_e32 v5, s50, v5
	s_delay_alu instid0(VALU_DEP_1) | instskip(SKIP_1) | instid1(VALU_DEP_2)
	v_mul_hi_u32 v6, s52, v5
	v_mul_lo_u32 v26, v5, s48
	v_add_nc_u32_e32 v6, v5, v6
	s_delay_alu instid0(VALU_DEP_2) | instskip(NEXT) | instid1(VALU_DEP_2)
	v_sub_nc_u32_e32 v26, v3, v26
	v_lshrrev_b32_e32 v6, s53, v6
	s_delay_alu instid0(VALU_DEP_2) | instskip(NEXT) | instid1(VALU_DEP_2)
	v_mul_lo_u32 v26, v26, s60
	v_mul_hi_u32 v7, s55, v6
	v_mul_lo_u32 v27, v6, s51
	s_delay_alu instid0(VALU_DEP_2) | instskip(NEXT) | instid1(VALU_DEP_2)
	v_add_nc_u32_e32 v7, v6, v7
	v_sub_nc_u32_e32 v5, v5, v27
	s_delay_alu instid0(VALU_DEP_2) | instskip(NEXT) | instid1(VALU_DEP_2)
	v_lshrrev_b32_e32 v7, s56, v7
	v_mul_lo_u32 v5, v5, s61
	s_delay_alu instid0(VALU_DEP_2) | instskip(NEXT) | instid1(VALU_DEP_2)
	v_mul_hi_u32 v25, s58, v7
	v_add3_u32 v2, v26, v2, v5
	s_delay_alu instid0(VALU_DEP_2) | instskip(NEXT) | instid1(VALU_DEP_1)
	v_add_nc_u32_e32 v25, v7, v25
	v_lshrrev_b32_e32 v3, s59, v25
	v_mul_lo_u32 v25, v7, s54
	s_delay_alu instid0(VALU_DEP_2) | instskip(NEXT) | instid1(VALU_DEP_2)
	v_mul_lo_u32 v28, v3, s57
	v_sub_nc_u32_e32 v6, v6, v25
	s_delay_alu instid0(VALU_DEP_2) | instskip(NEXT) | instid1(VALU_DEP_2)
	v_sub_nc_u32_e32 v7, v7, v28
	v_mul_lo_u32 v6, v6, s62
	s_delay_alu instid0(VALU_DEP_2) | instskip(NEXT) | instid1(VALU_DEP_1)
	v_mul_lo_u32 v7, v7, s63
	v_add3_u32 v2, v6, v2, v7
	s_cbranch_scc0 .LBB95_116
	s_branch .LBB95_242
.LBB95_117:
	s_or_b32 exec_lo, exec_lo, s43
	s_mov_b32 s2, 0
	s_and_saveexec_b32 s3, s42
	s_cbranch_execnz .LBB95_677
.LBB95_118:
	s_or_b32 exec_lo, exec_lo, s3
	s_and_saveexec_b32 s3, s44
	s_delay_alu instid0(SALU_CYCLE_1)
	s_xor_b32 s3, exec_lo, s3
	s_cbranch_execz .LBB95_120
.LBB95_119:
	v_mov_b32_e32 v2, s35
	global_store_b8 v[6:7], v2, off
.LBB95_120:
	s_or_b32 exec_lo, exec_lo, s3
	s_and_saveexec_b32 s3, s27
	s_delay_alu instid0(SALU_CYCLE_1)
	s_xor_b32 s3, exec_lo, s3
	s_cbranch_execz .LBB95_158
; %bb.121:
	v_cmp_gt_i16_e32 vcc_lo, 5, v8
	s_mov_b32 s4, -1
	s_cbranch_vccnz .LBB95_142
; %bb.122:
	v_cmp_gt_i16_e32 vcc_lo, 8, v8
	s_cbranch_vccnz .LBB95_132
; %bb.123:
	v_cmp_gt_i16_e32 vcc_lo, 9, v8
	s_cbranch_vccnz .LBB95_129
; %bb.124:
	v_cmp_lt_i16_e32 vcc_lo, 9, v8
	s_cbranch_vccz .LBB95_126
; %bb.125:
	v_mov_b32_e32 v2, 0
	s_mov_b32 s4, 0
	s_delay_alu instid0(VALU_DEP_1)
	v_mov_b32_e32 v3, v2
	global_store_b128 v[6:7], v[0:3], off
.LBB95_126:
	s_and_not1_b32 vcc_lo, exec_lo, s4
	s_cbranch_vccnz .LBB95_128
; %bb.127:
	v_mov_b32_e32 v5, 0
	global_store_b64 v[6:7], v[4:5], off
.LBB95_128:
	s_mov_b32 s4, 0
.LBB95_129:
	s_delay_alu instid0(SALU_CYCLE_1)
	s_and_not1_b32 vcc_lo, exec_lo, s4
	s_cbranch_vccnz .LBB95_131
; %bb.130:
	global_store_b32 v[6:7], v12, off
.LBB95_131:
	s_mov_b32 s4, 0
.LBB95_132:
	s_delay_alu instid0(SALU_CYCLE_1)
	s_and_not1_b32 vcc_lo, exec_lo, s4
	s_cbranch_vccnz .LBB95_141
; %bb.133:
	v_cmp_gt_i16_e32 vcc_lo, 6, v8
	s_mov_b32 s4, -1
	s_cbranch_vccnz .LBB95_139
; %bb.134:
	v_cmp_lt_i16_e32 vcc_lo, 6, v8
	s_cbranch_vccz .LBB95_136
; %bb.135:
	s_mov_b32 s4, 0
	global_store_b64 v[6:7], v[0:1], off
.LBB95_136:
	s_and_not1_b32 vcc_lo, exec_lo, s4
	s_cbranch_vccnz .LBB95_138
; %bb.137:
	global_store_b32 v[6:7], v4, off
.LBB95_138:
	s_mov_b32 s4, 0
.LBB95_139:
	s_delay_alu instid0(SALU_CYCLE_1)
	s_and_not1_b32 vcc_lo, exec_lo, s4
	s_cbranch_vccnz .LBB95_141
; %bb.140:
	global_store_b16 v[6:7], v10, off
.LBB95_141:
	s_mov_b32 s4, 0
.LBB95_142:
	s_delay_alu instid0(SALU_CYCLE_1)
	s_and_not1_b32 vcc_lo, exec_lo, s4
	s_cbranch_vccnz .LBB95_158
; %bb.143:
	v_cmp_gt_i16_e32 vcc_lo, 2, v8
	s_mov_b32 s4, -1
	s_cbranch_vccnz .LBB95_153
; %bb.144:
	v_cmp_gt_i16_e32 vcc_lo, 3, v8
	s_cbranch_vccnz .LBB95_150
; %bb.145:
	v_cmp_lt_i16_e32 vcc_lo, 3, v8
	s_cbranch_vccz .LBB95_147
; %bb.146:
	v_dual_mov_b32 v0, s16 :: v_dual_mov_b32 v1, s17
	s_mov_b32 s4, 0
	global_store_b64 v[6:7], v[0:1], off
.LBB95_147:
	s_and_not1_b32 vcc_lo, exec_lo, s4
	s_cbranch_vccnz .LBB95_149
; %bb.148:
	v_mov_b32_e32 v0, s16
	global_store_b32 v[6:7], v0, off
.LBB95_149:
	s_mov_b32 s4, 0
.LBB95_150:
	s_delay_alu instid0(SALU_CYCLE_1)
	s_and_not1_b32 vcc_lo, exec_lo, s4
	s_cbranch_vccnz .LBB95_152
; %bb.151:
	global_store_b16 v[6:7], v9, off
.LBB95_152:
	s_mov_b32 s4, 0
.LBB95_153:
	s_delay_alu instid0(SALU_CYCLE_1)
	s_and_not1_b32 vcc_lo, exec_lo, s4
	s_cbranch_vccnz .LBB95_158
; %bb.154:
	v_cmp_lt_i16_e32 vcc_lo, 0, v8
	s_mov_b32 s4, -1
	s_cbranch_vccz .LBB95_156
; %bb.155:
	v_mov_b32_e32 v0, s35
	s_mov_b32 s4, 0
	global_store_b8 v[6:7], v0, off
.LBB95_156:
	s_and_not1_b32 vcc_lo, exec_lo, s4
	s_cbranch_vccnz .LBB95_158
; %bb.157:
	v_mov_b32_e32 v0, s35
	global_store_b8 v[6:7], v0, off
.LBB95_158:
	s_or_b32 exec_lo, exec_lo, s3
	s_delay_alu instid0(SALU_CYCLE_1)
	s_and_b32 s6, s2, exec_lo
                                        ; implicit-def: $vgpr4
                                        ; implicit-def: $vgpr11
.LBB95_159:
	s_or_saveexec_b32 s7, s34
	s_mov_b32 s8, 0
                                        ; implicit-def: $vgpr5
                                        ; implicit-def: $vgpr0_vgpr1
                                        ; implicit-def: $sgpr3
                                        ; implicit-def: $sgpr2
	s_xor_b32 exec_lo, exec_lo, s7
	s_cbranch_execz .LBB95_925
; %bb.160:
	v_cndmask_b32_e64 v0, 0, 1, s33
	s_and_not1_b32 vcc_lo, exec_lo, s33
	s_cbranch_vccnz .LBB95_166
; %bb.161:
	v_mov_b32_e32 v3, 0
	s_cmp_eq_u32 s11, 0
	s_cbranch_scc1 .LBB95_170
; %bb.162:
	s_min_u32 s9, s30, 15
	v_mov_b32_e32 v3, 0
	s_add_i32 s9, s9, 1
	s_cmp_eq_u32 s30, 2
	s_mov_b32 s10, 0
	s_cbranch_scc1 .LBB95_167
; %bb.163:
	v_mov_b32_e32 v3, 0
	v_mov_b32_e32 v1, v11
	s_add_u32 s2, s0, 0xc4
	s_addc_u32 s3, s1, 0
	s_and_b32 s10, s9, 28
	s_mov_b32 s12, 0
	s_mov_b64 s[4:5], s[0:1]
.LBB95_164:                             ; =>This Inner Loop Header: Depth=1
	s_clause 0x1
	s_load_b256 s[16:23], s[4:5], 0x4
	s_load_b128 s[24:27], s[4:5], 0x24
	s_load_b128 s[36:39], s[2:3], 0x0
	s_add_u32 s4, s4, 48
	s_addc_u32 s5, s5, 0
	s_add_i32 s12, s12, 4
	s_add_u32 s2, s2, 16
	s_addc_u32 s3, s3, 0
	s_cmp_lg_u32 s10, s12
	s_waitcnt lgkmcnt(0)
	v_mul_hi_u32 v2, s17, v1
	s_delay_alu instid0(VALU_DEP_1) | instskip(NEXT) | instid1(VALU_DEP_1)
	v_add_nc_u32_e32 v2, v1, v2
	v_lshrrev_b32_e32 v2, s18, v2
	s_delay_alu instid0(VALU_DEP_1) | instskip(SKIP_1) | instid1(VALU_DEP_2)
	v_mul_hi_u32 v5, s20, v2
	v_mul_lo_u32 v8, v2, s16
	v_add_nc_u32_e32 v5, v2, v5
	s_delay_alu instid0(VALU_DEP_2) | instskip(NEXT) | instid1(VALU_DEP_2)
	v_sub_nc_u32_e32 v8, v1, v8
	v_lshrrev_b32_e32 v5, s21, v5
	s_delay_alu instid0(VALU_DEP_2) | instskip(NEXT) | instid1(VALU_DEP_2)
	v_mul_lo_u32 v8, v8, s36
	v_mul_hi_u32 v6, s23, v5
	v_mul_lo_u32 v9, v5, s19
	s_delay_alu instid0(VALU_DEP_2) | instskip(NEXT) | instid1(VALU_DEP_2)
	v_add_nc_u32_e32 v6, v5, v6
	v_sub_nc_u32_e32 v2, v2, v9
	s_delay_alu instid0(VALU_DEP_2) | instskip(NEXT) | instid1(VALU_DEP_2)
	v_lshrrev_b32_e32 v6, s24, v6
	v_mul_lo_u32 v2, v2, s37
	s_delay_alu instid0(VALU_DEP_2) | instskip(NEXT) | instid1(VALU_DEP_2)
	v_mul_hi_u32 v7, s26, v6
	v_add3_u32 v2, v8, v3, v2
	s_delay_alu instid0(VALU_DEP_2) | instskip(NEXT) | instid1(VALU_DEP_1)
	v_add_nc_u32_e32 v7, v6, v7
	v_lshrrev_b32_e32 v1, s27, v7
	v_mul_lo_u32 v7, v6, s22
	s_delay_alu instid0(VALU_DEP_2) | instskip(NEXT) | instid1(VALU_DEP_2)
	v_mul_lo_u32 v10, v1, s25
	v_sub_nc_u32_e32 v5, v5, v7
	s_delay_alu instid0(VALU_DEP_2) | instskip(NEXT) | instid1(VALU_DEP_2)
	v_sub_nc_u32_e32 v6, v6, v10
	v_mul_lo_u32 v5, v5, s38
	s_delay_alu instid0(VALU_DEP_2) | instskip(NEXT) | instid1(VALU_DEP_1)
	v_mul_lo_u32 v6, v6, s39
	v_add3_u32 v3, v5, v2, v6
	s_cbranch_scc1 .LBB95_164
; %bb.165:
	s_and_b32 s9, s9, 3
	s_delay_alu instid0(SALU_CYCLE_1)
	s_cmp_eq_u32 s9, 0
	s_cbranch_scc0 .LBB95_168
	s_branch .LBB95_170
.LBB95_166:
	s_mov_b32 s8, -1
                                        ; implicit-def: $vgpr3
	s_branch .LBB95_170
.LBB95_167:
	v_mov_b32_e32 v1, v11
	s_and_b32 s9, s9, 3
	s_delay_alu instid0(SALU_CYCLE_1)
	s_cmp_eq_u32 s9, 0
	s_cbranch_scc1 .LBB95_170
.LBB95_168:
	s_lshl_b32 s2, s10, 2
	s_mul_i32 s4, s10, 12
	s_add_u32 s2, s2, s0
	s_addc_u32 s3, 0, s1
	s_add_u32 s2, s2, 0xc4
	s_addc_u32 s3, s3, 0
	;; [unrolled: 2-line block ×3, first 2 shown]
	.p2align	6
.LBB95_169:                             ; =>This Inner Loop Header: Depth=1
	s_clause 0x1
	s_load_b64 s[12:13], s[4:5], 0x4
	s_load_b32 s10, s[4:5], 0xc
	s_add_u32 s4, s4, 12
	s_addc_u32 s5, s5, 0
	s_waitcnt lgkmcnt(0)
	v_mul_hi_u32 v2, s13, v1
	s_load_b32 s13, s[2:3], 0x0
	s_add_u32 s2, s2, 4
	s_addc_u32 s3, s3, 0
	s_add_i32 s9, s9, -1
	s_delay_alu instid0(SALU_CYCLE_1) | instskip(NEXT) | instid1(VALU_DEP_1)
	s_cmp_lg_u32 s9, 0
	v_add_nc_u32_e32 v2, v1, v2
	s_delay_alu instid0(VALU_DEP_1) | instskip(NEXT) | instid1(VALU_DEP_1)
	v_lshrrev_b32_e32 v2, s10, v2
	v_mul_lo_u32 v5, v2, s12
	s_delay_alu instid0(VALU_DEP_1) | instskip(SKIP_1) | instid1(VALU_DEP_1)
	v_sub_nc_u32_e32 v1, v1, v5
	s_waitcnt lgkmcnt(0)
	v_mad_u64_u32 v[5:6], null, v1, s13, v[3:4]
	v_mov_b32_e32 v1, v2
	s_delay_alu instid0(VALU_DEP_2)
	v_mov_b32_e32 v3, v5
	s_cbranch_scc1 .LBB95_169
.LBB95_170:
	s_and_not1_b32 vcc_lo, exec_lo, s8
	s_cbranch_vccnz .LBB95_173
; %bb.171:
	s_clause 0x1
	s_load_b128 s[12:15], s[0:1], 0x4
	s_load_b32 s2, s[0:1], 0xc4
	s_cmp_lt_u32 s11, 2
	s_waitcnt lgkmcnt(0)
	v_mul_hi_u32 v1, s13, v11
	s_delay_alu instid0(VALU_DEP_1) | instskip(NEXT) | instid1(VALU_DEP_1)
	v_add_nc_u32_e32 v1, v11, v1
	v_lshrrev_b32_e32 v1, s14, v1
	s_delay_alu instid0(VALU_DEP_1) | instskip(NEXT) | instid1(VALU_DEP_1)
	v_mul_lo_u32 v2, v1, s12
	v_sub_nc_u32_e32 v2, v11, v2
	s_delay_alu instid0(VALU_DEP_1)
	v_mul_lo_u32 v3, v2, s2
	s_cbranch_scc1 .LBB95_173
; %bb.172:
	s_clause 0x1
	s_load_b128 s[12:15], s[0:1], 0x10
	s_load_b32 s2, s[0:1], 0xc8
	s_waitcnt lgkmcnt(0)
	v_mul_hi_u32 v2, s13, v1
	s_delay_alu instid0(VALU_DEP_1) | instskip(NEXT) | instid1(VALU_DEP_1)
	v_add_nc_u32_e32 v2, v1, v2
	v_lshrrev_b32_e32 v2, s14, v2
	s_delay_alu instid0(VALU_DEP_1) | instskip(NEXT) | instid1(VALU_DEP_1)
	v_mul_lo_u32 v2, v2, s12
	v_sub_nc_u32_e32 v5, v1, v2
	s_delay_alu instid0(VALU_DEP_1) | instskip(NEXT) | instid1(VALU_DEP_1)
	v_mad_u64_u32 v[1:2], null, v5, s2, v[3:4]
	v_mov_b32_e32 v3, v1
.LBB95_173:
	v_cmp_ne_u32_e32 vcc_lo, 1, v0
	v_add_nc_u32_e32 v1, 0x80, v11
	s_cbranch_vccnz .LBB95_179
; %bb.174:
	v_mov_b32_e32 v2, 0
	s_cmp_eq_u32 s11, 0
	s_mov_b32 s8, 0
	s_cbranch_scc1 .LBB95_183
; %bb.175:
	s_min_u32 s9, s30, 15
	v_mov_b32_e32 v2, 0
	s_add_i32 s9, s9, 1
	s_cmp_eq_u32 s30, 2
	s_mov_b32 s10, 0
	s_cbranch_scc1 .LBB95_180
; %bb.176:
	v_dual_mov_b32 v2, 0 :: v_dual_mov_b32 v5, v1
	s_add_u32 s2, s0, 0xc4
	s_addc_u32 s3, s1, 0
	s_and_b32 s10, s9, 28
	s_mov_b32 s12, 0
	s_mov_b64 s[4:5], s[0:1]
.LBB95_177:                             ; =>This Inner Loop Header: Depth=1
	s_clause 0x1
	s_load_b256 s[16:23], s[4:5], 0x4
	s_load_b128 s[24:27], s[4:5], 0x24
	s_load_b128 s[36:39], s[2:3], 0x0
	s_add_u32 s4, s4, 48
	s_addc_u32 s5, s5, 0
	s_add_i32 s12, s12, 4
	s_add_u32 s2, s2, 16
	s_addc_u32 s3, s3, 0
	s_cmp_lg_u32 s10, s12
	s_waitcnt lgkmcnt(0)
	v_mul_hi_u32 v6, s17, v5
	s_delay_alu instid0(VALU_DEP_1) | instskip(NEXT) | instid1(VALU_DEP_1)
	v_add_nc_u32_e32 v6, v5, v6
	v_lshrrev_b32_e32 v6, s18, v6
	s_delay_alu instid0(VALU_DEP_1) | instskip(SKIP_1) | instid1(VALU_DEP_2)
	v_mul_hi_u32 v7, s20, v6
	v_mul_lo_u32 v10, v6, s16
	v_add_nc_u32_e32 v7, v6, v7
	s_delay_alu instid0(VALU_DEP_2) | instskip(NEXT) | instid1(VALU_DEP_2)
	v_sub_nc_u32_e32 v10, v5, v10
	v_lshrrev_b32_e32 v7, s21, v7
	s_delay_alu instid0(VALU_DEP_2) | instskip(NEXT) | instid1(VALU_DEP_2)
	v_mul_lo_u32 v10, v10, s36
	v_mul_hi_u32 v8, s23, v7
	v_mul_lo_u32 v12, v7, s19
	s_delay_alu instid0(VALU_DEP_2) | instskip(NEXT) | instid1(VALU_DEP_2)
	v_add_nc_u32_e32 v8, v7, v8
	v_sub_nc_u32_e32 v6, v6, v12
	s_delay_alu instid0(VALU_DEP_2) | instskip(NEXT) | instid1(VALU_DEP_2)
	v_lshrrev_b32_e32 v8, s24, v8
	v_mul_lo_u32 v6, v6, s37
	s_delay_alu instid0(VALU_DEP_2) | instskip(NEXT) | instid1(VALU_DEP_2)
	v_mul_hi_u32 v9, s26, v8
	v_add3_u32 v2, v10, v2, v6
	s_delay_alu instid0(VALU_DEP_2) | instskip(NEXT) | instid1(VALU_DEP_1)
	v_add_nc_u32_e32 v9, v8, v9
	v_lshrrev_b32_e32 v5, s27, v9
	v_mul_lo_u32 v9, v8, s22
	s_delay_alu instid0(VALU_DEP_2) | instskip(NEXT) | instid1(VALU_DEP_2)
	v_mul_lo_u32 v13, v5, s25
	v_sub_nc_u32_e32 v7, v7, v9
	s_delay_alu instid0(VALU_DEP_2) | instskip(NEXT) | instid1(VALU_DEP_2)
	v_sub_nc_u32_e32 v8, v8, v13
	v_mul_lo_u32 v7, v7, s38
	s_delay_alu instid0(VALU_DEP_2) | instskip(NEXT) | instid1(VALU_DEP_1)
	v_mul_lo_u32 v8, v8, s39
	v_add3_u32 v2, v7, v2, v8
	s_cbranch_scc1 .LBB95_177
; %bb.178:
	s_and_b32 s9, s9, 3
	s_delay_alu instid0(SALU_CYCLE_1)
	s_cmp_eq_u32 s9, 0
	s_cbranch_scc0 .LBB95_181
	s_branch .LBB95_183
.LBB95_179:
	s_mov_b32 s8, -1
                                        ; implicit-def: $vgpr2
	s_branch .LBB95_183
.LBB95_180:
	v_mov_b32_e32 v5, v1
	s_and_b32 s9, s9, 3
	s_delay_alu instid0(SALU_CYCLE_1)
	s_cmp_eq_u32 s9, 0
	s_cbranch_scc1 .LBB95_183
.LBB95_181:
	s_lshl_b32 s2, s10, 2
	s_mul_i32 s4, s10, 12
	s_add_u32 s2, s2, s0
	s_addc_u32 s3, 0, s1
	s_add_u32 s2, s2, 0xc4
	s_addc_u32 s3, s3, 0
	;; [unrolled: 2-line block ×3, first 2 shown]
	.p2align	6
.LBB95_182:                             ; =>This Inner Loop Header: Depth=1
	s_clause 0x1
	s_load_b64 s[12:13], s[4:5], 0x4
	s_load_b32 s10, s[4:5], 0xc
	s_add_u32 s4, s4, 12
	s_addc_u32 s5, s5, 0
	s_waitcnt lgkmcnt(0)
	v_mul_hi_u32 v6, s13, v5
	s_load_b32 s13, s[2:3], 0x0
	s_add_u32 s2, s2, 4
	s_addc_u32 s3, s3, 0
	s_add_i32 s9, s9, -1
	s_delay_alu instid0(SALU_CYCLE_1) | instskip(NEXT) | instid1(VALU_DEP_1)
	s_cmp_lg_u32 s9, 0
	v_add_nc_u32_e32 v6, v5, v6
	s_delay_alu instid0(VALU_DEP_1) | instskip(NEXT) | instid1(VALU_DEP_1)
	v_lshrrev_b32_e32 v8, s10, v6
	v_mul_lo_u32 v6, v8, s12
	s_delay_alu instid0(VALU_DEP_1) | instskip(SKIP_1) | instid1(VALU_DEP_1)
	v_sub_nc_u32_e32 v5, v5, v6
	s_waitcnt lgkmcnt(0)
	v_mad_u64_u32 v[6:7], null, v5, s13, v[2:3]
	s_delay_alu instid0(VALU_DEP_1)
	v_dual_mov_b32 v5, v8 :: v_dual_mov_b32 v2, v6
	s_cbranch_scc1 .LBB95_182
.LBB95_183:
	s_and_not1_b32 vcc_lo, exec_lo, s8
	s_cbranch_vccnz .LBB95_186
; %bb.184:
	s_clause 0x1
	s_load_b128 s[12:15], s[0:1], 0x4
	s_load_b32 s2, s[0:1], 0xc4
	s_cmp_lt_u32 s11, 2
	s_waitcnt lgkmcnt(0)
	v_mul_hi_u32 v2, s13, v1
	s_delay_alu instid0(VALU_DEP_1) | instskip(NEXT) | instid1(VALU_DEP_1)
	v_add_nc_u32_e32 v2, v1, v2
	v_lshrrev_b32_e32 v5, s14, v2
	s_delay_alu instid0(VALU_DEP_1) | instskip(NEXT) | instid1(VALU_DEP_1)
	v_mul_lo_u32 v2, v5, s12
	v_sub_nc_u32_e32 v1, v1, v2
	s_delay_alu instid0(VALU_DEP_1)
	v_mul_lo_u32 v2, v1, s2
	s_cbranch_scc1 .LBB95_186
; %bb.185:
	s_clause 0x1
	s_load_b128 s[12:15], s[0:1], 0x10
	s_load_b32 s2, s[0:1], 0xc8
	s_waitcnt lgkmcnt(0)
	v_mul_hi_u32 v1, s13, v5
	s_delay_alu instid0(VALU_DEP_1) | instskip(NEXT) | instid1(VALU_DEP_1)
	v_add_nc_u32_e32 v1, v5, v1
	v_lshrrev_b32_e32 v1, s14, v1
	s_delay_alu instid0(VALU_DEP_1) | instskip(NEXT) | instid1(VALU_DEP_1)
	v_mul_lo_u32 v1, v1, s12
	v_sub_nc_u32_e32 v1, v5, v1
	s_delay_alu instid0(VALU_DEP_1) | instskip(NEXT) | instid1(VALU_DEP_1)
	v_mad_u64_u32 v[5:6], null, v1, s2, v[2:3]
	v_mov_b32_e32 v2, v5
.LBB95_186:
	v_cmp_ne_u32_e32 vcc_lo, 1, v0
	v_add_nc_u32_e32 v5, 0x100, v11
	s_cbranch_vccnz .LBB95_192
; %bb.187:
	v_mov_b32_e32 v1, 0
	s_cmp_eq_u32 s11, 0
	s_mov_b32 s8, 0
	s_cbranch_scc1 .LBB95_196
; %bb.188:
	s_min_u32 s9, s30, 15
	v_mov_b32_e32 v1, 0
	s_add_i32 s9, s9, 1
	s_cmp_eq_u32 s30, 2
	s_mov_b32 s10, 0
	s_cbranch_scc1 .LBB95_193
; %bb.189:
	v_dual_mov_b32 v1, 0 :: v_dual_mov_b32 v6, v5
	s_add_u32 s2, s0, 0xc4
	s_addc_u32 s3, s1, 0
	s_and_b32 s10, s9, 28
	s_mov_b32 s12, 0
	s_mov_b64 s[4:5], s[0:1]
.LBB95_190:                             ; =>This Inner Loop Header: Depth=1
	s_clause 0x1
	s_load_b256 s[16:23], s[4:5], 0x4
	s_load_b128 s[24:27], s[4:5], 0x24
	s_load_b128 s[36:39], s[2:3], 0x0
	s_add_u32 s4, s4, 48
	s_addc_u32 s5, s5, 0
	s_add_i32 s12, s12, 4
	s_add_u32 s2, s2, 16
	s_addc_u32 s3, s3, 0
	s_cmp_lg_u32 s10, s12
	s_waitcnt lgkmcnt(0)
	v_mul_hi_u32 v7, s17, v6
	s_delay_alu instid0(VALU_DEP_1) | instskip(NEXT) | instid1(VALU_DEP_1)
	v_add_nc_u32_e32 v7, v6, v7
	v_lshrrev_b32_e32 v7, s18, v7
	s_delay_alu instid0(VALU_DEP_1) | instskip(SKIP_1) | instid1(VALU_DEP_2)
	v_mul_hi_u32 v8, s20, v7
	v_mul_lo_u32 v11, v7, s16
	v_add_nc_u32_e32 v8, v7, v8
	s_delay_alu instid0(VALU_DEP_2) | instskip(NEXT) | instid1(VALU_DEP_2)
	v_sub_nc_u32_e32 v11, v6, v11
	v_lshrrev_b32_e32 v8, s21, v8
	s_delay_alu instid0(VALU_DEP_2) | instskip(NEXT) | instid1(VALU_DEP_2)
	v_mul_lo_u32 v11, v11, s36
	v_mul_hi_u32 v9, s23, v8
	v_mul_lo_u32 v12, v8, s19
	s_delay_alu instid0(VALU_DEP_2) | instskip(NEXT) | instid1(VALU_DEP_2)
	v_add_nc_u32_e32 v9, v8, v9
	v_sub_nc_u32_e32 v7, v7, v12
	s_delay_alu instid0(VALU_DEP_2) | instskip(NEXT) | instid1(VALU_DEP_2)
	v_lshrrev_b32_e32 v9, s24, v9
	v_mul_lo_u32 v7, v7, s37
	s_delay_alu instid0(VALU_DEP_2) | instskip(NEXT) | instid1(VALU_DEP_2)
	v_mul_hi_u32 v10, s26, v9
	v_add3_u32 v1, v11, v1, v7
	s_delay_alu instid0(VALU_DEP_2) | instskip(NEXT) | instid1(VALU_DEP_1)
	v_add_nc_u32_e32 v10, v9, v10
	v_lshrrev_b32_e32 v6, s27, v10
	v_mul_lo_u32 v10, v9, s22
	s_delay_alu instid0(VALU_DEP_2) | instskip(NEXT) | instid1(VALU_DEP_2)
	v_mul_lo_u32 v13, v6, s25
	v_sub_nc_u32_e32 v8, v8, v10
	s_delay_alu instid0(VALU_DEP_2) | instskip(NEXT) | instid1(VALU_DEP_2)
	v_sub_nc_u32_e32 v9, v9, v13
	v_mul_lo_u32 v8, v8, s38
	s_delay_alu instid0(VALU_DEP_2) | instskip(NEXT) | instid1(VALU_DEP_1)
	v_mul_lo_u32 v9, v9, s39
	v_add3_u32 v1, v8, v1, v9
	s_cbranch_scc1 .LBB95_190
; %bb.191:
	s_and_b32 s9, s9, 3
	s_delay_alu instid0(SALU_CYCLE_1)
	s_cmp_eq_u32 s9, 0
	s_cbranch_scc0 .LBB95_194
	s_branch .LBB95_196
.LBB95_192:
	s_mov_b32 s8, -1
                                        ; implicit-def: $vgpr1
	s_branch .LBB95_196
.LBB95_193:
	v_mov_b32_e32 v6, v5
	s_and_b32 s9, s9, 3
	s_delay_alu instid0(SALU_CYCLE_1)
	s_cmp_eq_u32 s9, 0
	s_cbranch_scc1 .LBB95_196
.LBB95_194:
	s_lshl_b32 s2, s10, 2
	s_mul_i32 s4, s10, 12
	s_add_u32 s2, s2, s0
	s_addc_u32 s3, 0, s1
	s_add_u32 s2, s2, 0xc4
	s_addc_u32 s3, s3, 0
	;; [unrolled: 2-line block ×3, first 2 shown]
	.p2align	6
.LBB95_195:                             ; =>This Inner Loop Header: Depth=1
	s_clause 0x1
	s_load_b64 s[12:13], s[4:5], 0x4
	s_load_b32 s10, s[4:5], 0xc
	s_add_u32 s4, s4, 12
	s_addc_u32 s5, s5, 0
	s_waitcnt lgkmcnt(0)
	v_mul_hi_u32 v7, s13, v6
	s_load_b32 s13, s[2:3], 0x0
	s_add_u32 s2, s2, 4
	s_addc_u32 s3, s3, 0
	s_add_i32 s9, s9, -1
	s_delay_alu instid0(SALU_CYCLE_1) | instskip(NEXT) | instid1(VALU_DEP_1)
	s_cmp_lg_u32 s9, 0
	v_add_nc_u32_e32 v7, v6, v7
	s_delay_alu instid0(VALU_DEP_1) | instskip(NEXT) | instid1(VALU_DEP_1)
	v_lshrrev_b32_e32 v9, s10, v7
	v_mul_lo_u32 v7, v9, s12
	s_delay_alu instid0(VALU_DEP_1) | instskip(SKIP_1) | instid1(VALU_DEP_1)
	v_sub_nc_u32_e32 v6, v6, v7
	s_waitcnt lgkmcnt(0)
	v_mad_u64_u32 v[7:8], null, v6, s13, v[1:2]
	s_delay_alu instid0(VALU_DEP_1)
	v_dual_mov_b32 v6, v9 :: v_dual_mov_b32 v1, v7
	s_cbranch_scc1 .LBB95_195
.LBB95_196:
	s_and_not1_b32 vcc_lo, exec_lo, s8
	s_cbranch_vccnz .LBB95_199
; %bb.197:
	s_clause 0x1
	s_load_b128 s[12:15], s[0:1], 0x4
	s_load_b32 s2, s[0:1], 0xc4
	s_cmp_lt_u32 s11, 2
	s_waitcnt lgkmcnt(0)
	v_mul_hi_u32 v1, s13, v5
	s_delay_alu instid0(VALU_DEP_1) | instskip(NEXT) | instid1(VALU_DEP_1)
	v_add_nc_u32_e32 v1, v5, v1
	v_lshrrev_b32_e32 v6, s14, v1
	s_delay_alu instid0(VALU_DEP_1) | instskip(NEXT) | instid1(VALU_DEP_1)
	v_mul_lo_u32 v1, v6, s12
	v_sub_nc_u32_e32 v1, v5, v1
	s_delay_alu instid0(VALU_DEP_1)
	v_mul_lo_u32 v1, v1, s2
	s_cbranch_scc1 .LBB95_199
; %bb.198:
	s_clause 0x1
	s_load_b128 s[12:15], s[0:1], 0x10
	s_load_b32 s2, s[0:1], 0xc8
	s_waitcnt lgkmcnt(0)
	v_mul_hi_u32 v5, s13, v6
	s_delay_alu instid0(VALU_DEP_1) | instskip(NEXT) | instid1(VALU_DEP_1)
	v_add_nc_u32_e32 v5, v6, v5
	v_lshrrev_b32_e32 v5, s14, v5
	s_delay_alu instid0(VALU_DEP_1) | instskip(NEXT) | instid1(VALU_DEP_1)
	v_mul_lo_u32 v5, v5, s12
	v_sub_nc_u32_e32 v7, v6, v5
	s_delay_alu instid0(VALU_DEP_1) | instskip(NEXT) | instid1(VALU_DEP_1)
	v_mad_u64_u32 v[5:6], null, v7, s2, v[1:2]
	v_mov_b32_e32 v1, v5
.LBB95_199:
	v_cmp_ne_u32_e32 vcc_lo, 1, v0
	s_cbranch_vccnz .LBB95_205
; %bb.200:
	v_mov_b32_e32 v0, 0
	s_cmp_eq_u32 s11, 0
	s_mov_b32 s8, 0
	s_cbranch_scc1 .LBB95_209
; %bb.201:
	s_min_u32 s9, s30, 15
	v_mov_b32_e32 v0, 0
	s_add_i32 s9, s9, 1
	s_cmp_eq_u32 s30, 2
	s_mov_b32 s10, 0
	s_cbranch_scc1 .LBB95_206
; %bb.202:
	v_dual_mov_b32 v0, 0 :: v_dual_mov_b32 v5, v4
	s_add_u32 s2, s0, 0xc4
	s_addc_u32 s3, s1, 0
	s_and_b32 s10, s9, 28
	s_mov_b32 s12, 0
	s_mov_b64 s[4:5], s[0:1]
.LBB95_203:                             ; =>This Inner Loop Header: Depth=1
	s_clause 0x1
	s_load_b256 s[16:23], s[4:5], 0x4
	s_load_b128 s[24:27], s[4:5], 0x24
	s_load_b128 s[28:31], s[2:3], 0x0
	s_add_u32 s4, s4, 48
	s_addc_u32 s5, s5, 0
	s_add_i32 s12, s12, 4
	s_add_u32 s2, s2, 16
	s_addc_u32 s3, s3, 0
	s_cmp_lg_u32 s10, s12
	s_waitcnt lgkmcnt(0)
	v_mul_hi_u32 v6, s17, v5
	s_delay_alu instid0(VALU_DEP_1) | instskip(NEXT) | instid1(VALU_DEP_1)
	v_add_nc_u32_e32 v6, v5, v6
	v_lshrrev_b32_e32 v6, s18, v6
	s_delay_alu instid0(VALU_DEP_1) | instskip(SKIP_1) | instid1(VALU_DEP_2)
	v_mul_hi_u32 v7, s20, v6
	v_mul_lo_u32 v10, v6, s16
	v_add_nc_u32_e32 v7, v6, v7
	s_delay_alu instid0(VALU_DEP_2) | instskip(NEXT) | instid1(VALU_DEP_2)
	v_sub_nc_u32_e32 v10, v5, v10
	v_lshrrev_b32_e32 v7, s21, v7
	s_delay_alu instid0(VALU_DEP_2) | instskip(NEXT) | instid1(VALU_DEP_2)
	v_mul_lo_u32 v10, v10, s28
	v_mul_hi_u32 v8, s23, v7
	v_mul_lo_u32 v11, v7, s19
	s_delay_alu instid0(VALU_DEP_2) | instskip(NEXT) | instid1(VALU_DEP_2)
	v_add_nc_u32_e32 v8, v7, v8
	v_sub_nc_u32_e32 v6, v6, v11
	s_delay_alu instid0(VALU_DEP_2) | instskip(NEXT) | instid1(VALU_DEP_2)
	v_lshrrev_b32_e32 v8, s24, v8
	v_mul_lo_u32 v6, v6, s29
	s_delay_alu instid0(VALU_DEP_2) | instskip(NEXT) | instid1(VALU_DEP_2)
	v_mul_hi_u32 v9, s26, v8
	v_add3_u32 v0, v10, v0, v6
	s_delay_alu instid0(VALU_DEP_2) | instskip(NEXT) | instid1(VALU_DEP_1)
	v_add_nc_u32_e32 v9, v8, v9
	v_lshrrev_b32_e32 v5, s27, v9
	v_mul_lo_u32 v9, v8, s22
	s_delay_alu instid0(VALU_DEP_2) | instskip(NEXT) | instid1(VALU_DEP_2)
	v_mul_lo_u32 v12, v5, s25
	v_sub_nc_u32_e32 v7, v7, v9
	s_delay_alu instid0(VALU_DEP_2) | instskip(NEXT) | instid1(VALU_DEP_2)
	v_sub_nc_u32_e32 v8, v8, v12
	v_mul_lo_u32 v7, v7, s30
	s_delay_alu instid0(VALU_DEP_2) | instskip(NEXT) | instid1(VALU_DEP_1)
	v_mul_lo_u32 v8, v8, s31
	v_add3_u32 v0, v7, v0, v8
	s_cbranch_scc1 .LBB95_203
; %bb.204:
	s_and_b32 s9, s9, 3
	s_delay_alu instid0(SALU_CYCLE_1)
	s_cmp_eq_u32 s9, 0
	s_cbranch_scc0 .LBB95_207
	s_branch .LBB95_209
.LBB95_205:
	s_mov_b32 s8, -1
                                        ; implicit-def: $vgpr0
	s_branch .LBB95_209
.LBB95_206:
	v_mov_b32_e32 v5, v4
	s_and_b32 s9, s9, 3
	s_delay_alu instid0(SALU_CYCLE_1)
	s_cmp_eq_u32 s9, 0
	s_cbranch_scc1 .LBB95_209
.LBB95_207:
	s_lshl_b32 s2, s10, 2
	s_mul_i32 s4, s10, 12
	s_add_u32 s2, s2, s0
	s_addc_u32 s3, 0, s1
	s_add_u32 s2, s2, 0xc4
	s_addc_u32 s3, s3, 0
	s_add_u32 s4, s0, s4
	s_addc_u32 s5, 0, s1
	.p2align	6
.LBB95_208:                             ; =>This Inner Loop Header: Depth=1
	s_clause 0x1
	s_load_b64 s[12:13], s[4:5], 0x4
	s_load_b32 s10, s[4:5], 0xc
	s_add_u32 s4, s4, 12
	s_addc_u32 s5, s5, 0
	s_waitcnt lgkmcnt(0)
	v_mul_hi_u32 v6, s13, v5
	s_load_b32 s13, s[2:3], 0x0
	s_add_u32 s2, s2, 4
	s_addc_u32 s3, s3, 0
	s_add_i32 s9, s9, -1
	s_delay_alu instid0(SALU_CYCLE_1) | instskip(NEXT) | instid1(VALU_DEP_1)
	s_cmp_lg_u32 s9, 0
	v_add_nc_u32_e32 v6, v5, v6
	s_delay_alu instid0(VALU_DEP_1) | instskip(NEXT) | instid1(VALU_DEP_1)
	v_lshrrev_b32_e32 v8, s10, v6
	v_mul_lo_u32 v6, v8, s12
	s_delay_alu instid0(VALU_DEP_1) | instskip(SKIP_1) | instid1(VALU_DEP_1)
	v_sub_nc_u32_e32 v5, v5, v6
	s_waitcnt lgkmcnt(0)
	v_mad_u64_u32 v[6:7], null, v5, s13, v[0:1]
	s_delay_alu instid0(VALU_DEP_1)
	v_dual_mov_b32 v5, v8 :: v_dual_mov_b32 v0, v6
	s_cbranch_scc1 .LBB95_208
.LBB95_209:
	s_and_not1_b32 vcc_lo, exec_lo, s8
	s_cbranch_vccnz .LBB95_212
; %bb.210:
	s_clause 0x1
	s_load_b128 s[12:15], s[0:1], 0x4
	s_load_b32 s2, s[0:1], 0xc4
	s_cmp_lt_u32 s11, 2
	s_waitcnt lgkmcnt(0)
	v_mul_hi_u32 v0, s13, v4
	s_delay_alu instid0(VALU_DEP_1) | instskip(NEXT) | instid1(VALU_DEP_1)
	v_add_nc_u32_e32 v0, v4, v0
	v_lshrrev_b32_e32 v5, s14, v0
	s_delay_alu instid0(VALU_DEP_1) | instskip(NEXT) | instid1(VALU_DEP_1)
	v_mul_lo_u32 v0, v5, s12
	v_sub_nc_u32_e32 v0, v4, v0
	s_delay_alu instid0(VALU_DEP_1)
	v_mul_lo_u32 v0, v0, s2
	s_cbranch_scc1 .LBB95_212
; %bb.211:
	s_clause 0x1
	s_load_b128 s[8:11], s[0:1], 0x10
	s_load_b32 s2, s[0:1], 0xc8
	s_waitcnt lgkmcnt(0)
	v_mul_hi_u32 v4, s9, v5
	s_delay_alu instid0(VALU_DEP_1) | instskip(NEXT) | instid1(VALU_DEP_1)
	v_add_nc_u32_e32 v4, v5, v4
	v_lshrrev_b32_e32 v4, s10, v4
	s_delay_alu instid0(VALU_DEP_1) | instskip(NEXT) | instid1(VALU_DEP_1)
	v_mul_lo_u32 v4, v4, s8
	v_sub_nc_u32_e32 v6, v5, v4
	s_delay_alu instid0(VALU_DEP_1) | instskip(NEXT) | instid1(VALU_DEP_1)
	v_mad_u64_u32 v[4:5], null, v6, s2, v[0:1]
	v_mov_b32_e32 v0, v4
.LBB95_212:
	s_clause 0x1
	s_load_b32 s2, s[0:1], 0x110
	s_load_b64 s[0:1], s[0:1], 0x108
	s_mov_b32 s8, 0
	s_mov_b32 s5, -1
	s_mov_b32 s4, s6
	s_waitcnt lgkmcnt(0)
	v_lshrrev_b16 v5, 8, s2
	v_add_co_u32 v3, s3, s0, v3
	s_delay_alu instid0(VALU_DEP_1) | instskip(NEXT) | instid1(VALU_DEP_3)
	v_add_co_ci_u32_e64 v4, null, s1, 0, s3
	v_cmp_gt_i16_e32 vcc_lo, 11, v5
	s_bitcmp1_b32 s2, 0
	s_cselect_b32 s3, -1, 0
	s_cbranch_vccnz .LBB95_471
; %bb.213:
	v_cmp_lt_i16_e32 vcc_lo, 25, v5
	s_mov_b32 s9, -1
	s_mov_b32 s5, 0
	s_mov_b32 s4, 0
	s_cbranch_vccz .LBB95_306
; %bb.214:
	v_cmp_lt_i16_e32 vcc_lo, 28, v5
	s_cbranch_vccz .LBB95_229
; %bb.215:
	v_cmp_lt_i16_e32 vcc_lo, 43, v5
	;; [unrolled: 3-line block ×3, first 2 shown]
	s_cbranch_vccz .LBB95_219
; %bb.217:
	v_cmp_eq_u16_e32 vcc_lo, 46, v5
	s_mov_b32 s4, -1
	s_mov_b32 s9, 0
	s_cbranch_vccz .LBB95_219
; %bb.218:
	v_cndmask_b32_e64 v6, 0, 1.0, s3
	s_mov_b32 s4, 0
	s_mov_b32 s8, -1
	s_delay_alu instid0(VALU_DEP_1) | instskip(NEXT) | instid1(VALU_DEP_1)
	v_bfe_u32 v7, v6, 16, 1
	v_add_nc_u32_e32 v6, v6, v7
	s_delay_alu instid0(VALU_DEP_1) | instskip(NEXT) | instid1(VALU_DEP_1)
	v_add_nc_u32_e32 v6, 0x7fff, v6
	v_lshrrev_b32_e32 v6, 16, v6
	global_store_b32 v[3:4], v6, off
.LBB95_219:
	s_and_b32 vcc_lo, exec_lo, s9
	s_cbranch_vccz .LBB95_224
; %bb.220:
	v_cmp_eq_u16_e32 vcc_lo, 44, v5
	s_mov_b32 s4, -1
	s_cbranch_vccz .LBB95_224
; %bb.221:
	v_cndmask_b32_e64 v6, 0, 1.0, s3
	s_delay_alu instid0(VALU_DEP_1) | instskip(SKIP_1) | instid1(VALU_DEP_2)
	v_readfirstlane_b32 s8, v6
	v_mov_b32_e32 v6, 0xff
	s_lshr_b32 s4, s8, 23
	s_delay_alu instid0(SALU_CYCLE_1)
	s_cmpk_eq_i32 s4, 0xff
	s_cbranch_scc1 .LBB95_223
; %bb.222:
	s_bitcmp1_b32 s8, 22
	s_cselect_b32 s9, -1, 0
	s_and_b32 s8, s8, 0x3fffff
	s_delay_alu instid0(SALU_CYCLE_1) | instskip(NEXT) | instid1(SALU_CYCLE_1)
	s_or_b32 s8, s4, s8
	s_cmp_lg_u32 s8, 0
	s_cselect_b32 s8, -1, 0
	s_delay_alu instid0(SALU_CYCLE_1) | instskip(NEXT) | instid1(SALU_CYCLE_1)
	s_and_b32 s8, s9, s8
	v_cndmask_b32_e64 v6, 0, 1, s8
	s_delay_alu instid0(VALU_DEP_1)
	v_add_nc_u32_e32 v6, s4, v6
.LBB95_223:
	s_mov_b32 s4, 0
	s_mov_b32 s8, -1
	global_store_b8 v[3:4], v6, off
.LBB95_224:
	s_mov_b32 s9, 0
.LBB95_225:
	s_delay_alu instid0(SALU_CYCLE_1)
	s_and_b32 vcc_lo, exec_lo, s9
	s_cbranch_vccz .LBB95_228
; %bb.226:
	v_cmp_eq_u16_e32 vcc_lo, 29, v5
	s_mov_b32 s4, -1
	s_cbranch_vccz .LBB95_228
; %bb.227:
	s_and_b32 s4, s2, 0xff
	s_mov_b32 s8, -1
	v_dual_mov_b32 v6, s4 :: v_dual_mov_b32 v7, 0
	s_mov_b32 s4, 0
	global_store_b64 v[3:4], v[6:7], off
.LBB95_228:
	s_mov_b32 s9, 0
.LBB95_229:
	s_delay_alu instid0(SALU_CYCLE_1)
	s_and_b32 vcc_lo, exec_lo, s9
	s_cbranch_vccz .LBB95_305
; %bb.230:
	v_cmp_gt_i16_e32 vcc_lo, 27, v5
	s_mov_b32 s8, -1
	s_cbranch_vccnz .LBB95_236
; %bb.231:
	v_cmp_lt_i16_e32 vcc_lo, 27, v5
	s_cbranch_vccz .LBB95_233
; %bb.232:
	s_and_b32 s8, s2, 0xff
	s_delay_alu instid0(SALU_CYCLE_1)
	v_mov_b32_e32 v6, s8
	s_mov_b32 s8, 0
	global_store_b32 v[3:4], v6, off
.LBB95_233:
	s_and_not1_b32 vcc_lo, exec_lo, s8
	s_cbranch_vccnz .LBB95_235
; %bb.234:
	v_and_b32_e64 v6, 0xff, s2
	global_store_b16 v[3:4], v6, off
.LBB95_235:
	s_mov_b32 s8, 0
.LBB95_236:
	s_delay_alu instid0(SALU_CYCLE_1)
	s_and_not1_b32 vcc_lo, exec_lo, s8
	s_cbranch_vccnz .LBB95_304
; %bb.237:
	v_cndmask_b32_e64 v6, 0, 1.0, s3
	v_mov_b32_e32 v8, 0x80
	s_delay_alu instid0(VALU_DEP_2)
	v_cmp_lt_u32_e32 vcc_lo, 0x437fffff, v6
	v_readfirstlane_b32 s8, v6
	s_cbranch_vccnz .LBB95_303
; %bb.238:
	s_delay_alu instid0(VALU_DEP_1)
	s_cmp_gt_u32 s8, 0x3bffffff
	s_cbranch_scc0 .LBB95_298
; %bb.239:
	s_bfe_u32 s9, s8, 0x10014
	s_delay_alu instid0(SALU_CYCLE_1) | instskip(SKIP_2) | instid1(SALU_CYCLE_1)
	s_add_i32 s8, s8, s9
	s_mov_b32 s9, 0
	s_add_i32 s8, s8, 0x487ffff
	s_lshr_b32 s10, s8, 20
	s_mov_b32 s8, -1
	s_branch .LBB95_299
.LBB95_240:
                                        ; implicit-def: $vgpr2
	s_branch .LBB95_246
.LBB95_241:
	v_mov_b32_e32 v3, v11
.LBB95_242:
	s_and_b32 s46, s46, 3
	s_delay_alu instid0(SALU_CYCLE_1)
	s_cmp_eq_u32 s46, 0
	s_cbranch_scc1 .LBB95_245
; %bb.243:
	s_lshl_b32 s26, s44, 2
	s_mul_i32 s28, s44, 12
	s_add_u32 s26, s26, s0
	s_addc_u32 s27, s1, 0
	s_add_u32 s26, s26, 0xc4
	s_addc_u32 s27, s27, 0
	s_add_u32 s28, s0, s28
	s_addc_u32 s29, s1, 0
	.p2align	6
.LBB95_244:                             ; =>This Inner Loop Header: Depth=1
	s_clause 0x1
	s_load_b64 s[48:49], s[28:29], 0x4
	s_load_b32 s44, s[28:29], 0xc
	s_load_b32 s47, s[26:27], 0x0
	s_add_u32 s28, s28, 12
	s_addc_u32 s29, s29, 0
	s_add_u32 s26, s26, 4
	s_addc_u32 s27, s27, 0
	s_add_i32 s46, s46, -1
	s_delay_alu instid0(SALU_CYCLE_1) | instskip(SKIP_2) | instid1(VALU_DEP_1)
	s_cmp_lg_u32 s46, 0
	s_waitcnt lgkmcnt(0)
	v_mul_hi_u32 v5, s49, v3
	v_add_nc_u32_e32 v5, v3, v5
	s_delay_alu instid0(VALU_DEP_1) | instskip(NEXT) | instid1(VALU_DEP_1)
	v_lshrrev_b32_e32 v7, s44, v5
	v_mul_lo_u32 v5, v7, s48
	s_delay_alu instid0(VALU_DEP_1) | instskip(NEXT) | instid1(VALU_DEP_1)
	v_sub_nc_u32_e32 v3, v3, v5
	v_mad_u64_u32 v[5:6], null, v3, s47, v[2:3]
	s_delay_alu instid0(VALU_DEP_1)
	v_dual_mov_b32 v3, v7 :: v_dual_mov_b32 v2, v5
	s_cbranch_scc1 .LBB95_244
.LBB95_245:
	s_cbranch_execnz .LBB95_248
.LBB95_246:
	v_mul_hi_u32 v2, s13, v11
	s_and_not1_b32 vcc_lo, exec_lo, s38
	s_delay_alu instid0(VALU_DEP_1) | instskip(NEXT) | instid1(VALU_DEP_1)
	v_add_nc_u32_e32 v2, v11, v2
	v_lshrrev_b32_e32 v3, s14, v2
	s_delay_alu instid0(VALU_DEP_1) | instskip(NEXT) | instid1(VALU_DEP_1)
	v_mul_lo_u32 v2, v3, s12
	v_sub_nc_u32_e32 v2, v11, v2
	s_delay_alu instid0(VALU_DEP_1)
	v_mul_lo_u32 v2, v2, s20
	s_cbranch_vccnz .LBB95_248
; %bb.247:
	v_mul_hi_u32 v5, s22, v3
	s_delay_alu instid0(VALU_DEP_1) | instskip(NEXT) | instid1(VALU_DEP_1)
	v_add_nc_u32_e32 v5, v3, v5
	v_lshrrev_b32_e32 v5, s23, v5
	s_delay_alu instid0(VALU_DEP_1) | instskip(NEXT) | instid1(VALU_DEP_1)
	v_mul_lo_u32 v5, v5, s15
	v_sub_nc_u32_e32 v3, v3, v5
	s_delay_alu instid0(VALU_DEP_1) | instskip(NEXT) | instid1(VALU_DEP_1)
	v_mad_u64_u32 v[5:6], null, v3, s21, v[2:3]
	v_mov_b32_e32 v2, v5
.LBB95_248:
	v_cmp_gt_i16_e32 vcc_lo, 11, v8
	s_delay_alu instid0(VALU_DEP_2) | instskip(NEXT) | instid1(VALU_DEP_1)
	v_add_co_u32 v6, s26, s18, v2
	v_add_co_ci_u32_e64 v7, null, s19, 0, s26
	s_mov_b32 s27, 0
	s_mov_b32 s28, -1
	s_mov_b32 s26, s42
	s_cbranch_vccnz .LBB95_255
; %bb.249:
	v_cmp_lt_i16_e32 vcc_lo, 25, v8
	s_cbranch_vccz .LBB95_295
; %bb.250:
	v_cmp_lt_i16_e32 vcc_lo, 28, v8
	s_cbranch_vccz .LBB95_296
	;; [unrolled: 3-line block ×4, first 2 shown]
; %bb.253:
	v_cmp_eq_u16_e32 vcc_lo, 46, v8
	s_mov_b32 s28, 0
	s_mov_b32 s26, -1
	s_cbranch_vccz .LBB95_314
; %bb.254:
	s_mov_b32 s27, -1
	s_mov_b32 s26, 0
	global_store_b32 v[6:7], v13, off
	s_branch .LBB95_314
.LBB95_255:
	s_and_b32 vcc_lo, exec_lo, s28
	s_cbranch_vccz .LBB95_359
; %bb.256:
	v_cmp_gt_i16_e32 vcc_lo, 5, v8
	s_mov_b32 s27, -1
	s_cbranch_vccnz .LBB95_277
; %bb.257:
	v_cmp_gt_i16_e32 vcc_lo, 8, v8
	s_cbranch_vccnz .LBB95_267
; %bb.258:
	v_cmp_gt_i16_e32 vcc_lo, 9, v8
	s_cbranch_vccnz .LBB95_264
; %bb.259:
	v_cmp_lt_i16_e32 vcc_lo, 9, v8
	s_cbranch_vccz .LBB95_261
; %bb.260:
	v_mov_b32_e32 v2, 0
	s_mov_b32 s27, 0
	s_delay_alu instid0(VALU_DEP_1)
	v_mov_b32_e32 v3, v2
	global_store_b128 v[6:7], v[0:3], off
.LBB95_261:
	s_and_not1_b32 vcc_lo, exec_lo, s27
	s_cbranch_vccnz .LBB95_263
; %bb.262:
	v_mov_b32_e32 v5, 0
	global_store_b64 v[6:7], v[4:5], off
.LBB95_263:
	s_mov_b32 s27, 0
.LBB95_264:
	s_delay_alu instid0(SALU_CYCLE_1)
	s_and_not1_b32 vcc_lo, exec_lo, s27
	s_cbranch_vccnz .LBB95_266
; %bb.265:
	global_store_b32 v[6:7], v12, off
.LBB95_266:
	s_mov_b32 s27, 0
.LBB95_267:
	s_delay_alu instid0(SALU_CYCLE_1)
	s_and_not1_b32 vcc_lo, exec_lo, s27
	s_cbranch_vccnz .LBB95_276
; %bb.268:
	v_cmp_gt_i16_e32 vcc_lo, 6, v8
	s_mov_b32 s27, -1
	s_cbranch_vccnz .LBB95_274
; %bb.269:
	v_cmp_lt_i16_e32 vcc_lo, 6, v8
	s_cbranch_vccz .LBB95_271
; %bb.270:
	s_mov_b32 s27, 0
	global_store_b64 v[6:7], v[0:1], off
.LBB95_271:
	s_and_not1_b32 vcc_lo, exec_lo, s27
	s_cbranch_vccnz .LBB95_273
; %bb.272:
	global_store_b32 v[6:7], v4, off
.LBB95_273:
	s_mov_b32 s27, 0
.LBB95_274:
	s_delay_alu instid0(SALU_CYCLE_1)
	s_and_not1_b32 vcc_lo, exec_lo, s27
	s_cbranch_vccnz .LBB95_276
; %bb.275:
	global_store_b16 v[6:7], v10, off
.LBB95_276:
	s_mov_b32 s27, 0
.LBB95_277:
	s_delay_alu instid0(SALU_CYCLE_1)
	s_and_not1_b32 vcc_lo, exec_lo, s27
	s_cbranch_vccnz .LBB95_293
; %bb.278:
	v_cmp_gt_i16_e32 vcc_lo, 2, v8
	s_mov_b32 s27, -1
	s_cbranch_vccnz .LBB95_288
; %bb.279:
	v_cmp_gt_i16_e32 vcc_lo, 3, v8
	s_cbranch_vccnz .LBB95_285
; %bb.280:
	v_cmp_lt_i16_e32 vcc_lo, 3, v8
	s_cbranch_vccz .LBB95_282
; %bb.281:
	v_dual_mov_b32 v2, s16 :: v_dual_mov_b32 v3, s17
	s_mov_b32 s27, 0
	global_store_b64 v[6:7], v[2:3], off
.LBB95_282:
	s_and_not1_b32 vcc_lo, exec_lo, s27
	s_cbranch_vccnz .LBB95_284
; %bb.283:
	v_mov_b32_e32 v2, s16
	global_store_b32 v[6:7], v2, off
.LBB95_284:
	s_mov_b32 s27, 0
.LBB95_285:
	s_delay_alu instid0(SALU_CYCLE_1)
	s_and_not1_b32 vcc_lo, exec_lo, s27
	s_cbranch_vccnz .LBB95_287
; %bb.286:
	global_store_b16 v[6:7], v9, off
.LBB95_287:
	s_mov_b32 s27, 0
.LBB95_288:
	s_delay_alu instid0(SALU_CYCLE_1)
	s_and_not1_b32 vcc_lo, exec_lo, s27
	s_cbranch_vccnz .LBB95_293
; %bb.289:
	v_cmp_lt_i16_e32 vcc_lo, 0, v8
	s_mov_b32 s27, -1
	s_cbranch_vccz .LBB95_291
; %bb.290:
	v_mov_b32_e32 v2, s35
	s_mov_b32 s27, 0
	global_store_b8 v[6:7], v2, off
.LBB95_291:
	s_and_not1_b32 vcc_lo, exec_lo, s27
	s_cbranch_vccnz .LBB95_293
; %bb.292:
	v_mov_b32_e32 v2, s35
	global_store_b8 v[6:7], v2, off
.LBB95_293:
	s_branch .LBB95_360
.LBB95_294:
	s_mov_b32 s27, 0
                                        ; implicit-def: $vgpr11
	s_branch .LBB95_361
.LBB95_295:
	s_mov_b32 s26, s42
	s_branch .LBB95_336
.LBB95_296:
	s_mov_b32 s26, s42
	s_branch .LBB95_322
.LBB95_297:
	s_mov_b32 s26, s42
	s_branch .LBB95_318
.LBB95_298:
	s_mov_b32 s9, -1
	s_mov_b32 s8, 0
                                        ; implicit-def: $sgpr10
.LBB95_299:
	v_mov_b32_e32 v7, s10
	s_and_not1_b32 vcc_lo, exec_lo, s9
                                        ; implicit-def: $sgpr9
	s_cbranch_vccnz .LBB95_301
; %bb.300:
	v_add_f32_e32 v6, 0x46000000, v6
	s_mov_b32 s9, 0
	s_delay_alu instid0(VALU_DEP_1) | instskip(NEXT) | instid1(VALU_DEP_1)
	v_and_b32_e32 v7, 0xff, v6
	v_cmp_ne_u32_e64 s8, 0, v7
.LBB95_301:
	v_mov_b32_e32 v8, s9
	s_delay_alu instid0(VALU_DEP_2)
	s_and_not1_b32 vcc_lo, exec_lo, s8
	s_cbranch_vccnz .LBB95_303
; %bb.302:
	v_mov_b32_e32 v8, v7
.LBB95_303:
	global_store_b8 v[3:4], v8, off
.LBB95_304:
	s_mov_b32 s8, -1
.LBB95_305:
	s_mov_b32 s9, 0
.LBB95_306:
	s_delay_alu instid0(SALU_CYCLE_1)
	s_and_b32 vcc_lo, exec_lo, s9
	s_cbranch_vccz .LBB95_467
; %bb.307:
	v_cmp_lt_i16_e32 vcc_lo, 22, v5
	s_mov_b32 s5, -1
	s_cbranch_vccz .LBB95_460
; %bb.308:
	v_cmp_gt_i16_e32 vcc_lo, 24, v5
	s_cbranch_vccnz .LBB95_447
; %bb.309:
	v_cmp_lt_i16_e32 vcc_lo, 24, v5
	s_cbranch_vccz .LBB95_434
; %bb.310:
	v_cndmask_b32_e64 v6, 0, 1.0, s3
	v_mov_b32_e32 v8, 0x80
	s_delay_alu instid0(VALU_DEP_2)
	v_cmp_lt_u32_e32 vcc_lo, 0x477fffff, v6
	v_readfirstlane_b32 s5, v6
	s_cbranch_vccnz .LBB95_433
; %bb.311:
	s_delay_alu instid0(VALU_DEP_1)
	s_cmp_gt_u32 s5, 0x37ffffff
	s_cbranch_scc0 .LBB95_428
; %bb.312:
	s_bfe_u32 s8, s5, 0x10015
	s_delay_alu instid0(SALU_CYCLE_1) | instskip(SKIP_2) | instid1(SALU_CYCLE_1)
	s_add_i32 s5, s5, s8
	s_mov_b32 s8, 0
	s_add_i32 s5, s5, 0x88fffff
	s_lshr_b32 s9, s5, 21
	s_mov_b32 s5, -1
	s_branch .LBB95_429
.LBB95_313:
	s_mov_b32 s26, s42
.LBB95_314:
	s_and_b32 vcc_lo, exec_lo, s28
	s_cbranch_vccz .LBB95_317
; %bb.315:
	v_cmp_eq_u16_e32 vcc_lo, 44, v8
	s_mov_b32 s26, -1
	s_cbranch_vccz .LBB95_317
; %bb.316:
	v_cndmask_b32_e64 v2, v24, 0xff, s10
	s_mov_b32 s27, -1
	s_mov_b32 s26, 0
	global_store_b8 v[6:7], v2, off
.LBB95_317:
	s_mov_b32 s28, 0
.LBB95_318:
	s_delay_alu instid0(SALU_CYCLE_1)
	s_and_b32 vcc_lo, exec_lo, s28
	s_cbranch_vccz .LBB95_321
; %bb.319:
	v_cmp_eq_u16_e32 vcc_lo, 29, v8
	s_mov_b32 s26, -1
	s_cbranch_vccz .LBB95_321
; %bb.320:
	v_dual_mov_b32 v2, s16 :: v_dual_mov_b32 v3, s17
	s_mov_b32 s27, -1
	s_mov_b32 s26, 0
	s_mov_b32 s28, 0
	global_store_b64 v[6:7], v[2:3], off
	s_branch .LBB95_322
.LBB95_321:
	s_mov_b32 s28, 0
.LBB95_322:
	s_delay_alu instid0(SALU_CYCLE_1)
	s_and_b32 vcc_lo, exec_lo, s28
	s_cbranch_vccz .LBB95_335
; %bb.323:
	v_cmp_gt_i16_e32 vcc_lo, 27, v8
	s_mov_b32 s27, -1
	s_cbranch_vccnz .LBB95_329
; %bb.324:
	v_cmp_lt_i16_e32 vcc_lo, 27, v8
	s_cbranch_vccz .LBB95_326
; %bb.325:
	v_mov_b32_e32 v2, s16
	s_mov_b32 s27, 0
	global_store_b32 v[6:7], v2, off
.LBB95_326:
	s_and_not1_b32 vcc_lo, exec_lo, s27
	s_cbranch_vccnz .LBB95_328
; %bb.327:
	global_store_b16 v[6:7], v9, off
.LBB95_328:
	s_mov_b32 s27, 0
.LBB95_329:
	s_delay_alu instid0(SALU_CYCLE_1)
	s_and_not1_b32 vcc_lo, exec_lo, s27
	s_cbranch_vccnz .LBB95_334
; %bb.330:
	v_mov_b32_e32 v2, 0x80
	s_and_not1_b32 vcc_lo, exec_lo, s9
	s_cbranch_vccnz .LBB95_333
; %bb.331:
	v_mov_b32_e32 v2, 0
	s_or_b32 s27, s8, s37
	s_delay_alu instid0(SALU_CYCLE_1)
	s_and_not1_b32 vcc_lo, exec_lo, s27
	s_cbranch_vccnz .LBB95_333
; %bb.332:
	v_cndmask_b32_e64 v2, v22, v23, s8
.LBB95_333:
	global_store_b8 v[6:7], v2, off
.LBB95_334:
	s_mov_b32 s27, -1
.LBB95_335:
	s_mov_b32 s28, 0
.LBB95_336:
	s_delay_alu instid0(SALU_CYCLE_1)
	s_and_b32 vcc_lo, exec_lo, s28
	s_cbranch_vccz .LBB95_358
; %bb.337:
	v_cmp_lt_i16_e32 vcc_lo, 22, v8
	s_mov_b32 s28, -1
	s_cbranch_vccz .LBB95_350
; %bb.338:
	v_cmp_gt_i16_e32 vcc_lo, 24, v8
	s_mov_b32 s27, -1
	s_cbranch_vccnz .LBB95_347
; %bb.339:
	v_cmp_lt_i16_e32 vcc_lo, 24, v8
	s_cbranch_vccz .LBB95_344
; %bb.340:
	v_mov_b32_e32 v2, 0x80
	s_and_not1_b32 vcc_lo, exec_lo, s7
	s_cbranch_vccnz .LBB95_343
; %bb.341:
	v_mov_b32_e32 v2, 0
	s_or_b32 s27, s6, s36
	s_delay_alu instid0(SALU_CYCLE_1)
	s_and_not1_b32 vcc_lo, exec_lo, s27
	s_cbranch_vccnz .LBB95_343
; %bb.342:
	v_cndmask_b32_e64 v2, v14, v21, s6
.LBB95_343:
	s_mov_b32 s27, 0
	global_store_b8 v[6:7], v2, off
.LBB95_344:
	s_and_b32 vcc_lo, exec_lo, s27
	s_cbranch_vccz .LBB95_346
; %bb.345:
	v_cndmask_b32_e64 v2, v18, v19, s5
	s_delay_alu instid0(VALU_DEP_1)
	v_cndmask_b32_e64 v2, v2, v20, s4
	global_store_b8 v[6:7], v2, off
.LBB95_346:
	s_mov_b32 s27, 0
.LBB95_347:
	s_delay_alu instid0(SALU_CYCLE_1)
	s_and_not1_b32 vcc_lo, exec_lo, s27
	s_cbranch_vccnz .LBB95_349
; %bb.348:
	v_cndmask_b32_e64 v2, v15, v16, s3
	s_delay_alu instid0(VALU_DEP_1)
	v_cndmask_b32_e64 v2, v2, v17, s2
	global_store_b8 v[6:7], v2, off
.LBB95_349:
	s_mov_b32 s28, 0
	s_mov_b32 s27, -1
.LBB95_350:
	s_and_not1_b32 vcc_lo, exec_lo, s28
	s_cbranch_vccnz .LBB95_358
; %bb.351:
	v_cmp_lt_i16_e32 vcc_lo, 14, v8
	s_mov_b32 s28, -1
	s_cbranch_vccz .LBB95_355
; %bb.352:
	v_cmp_eq_u16_e32 vcc_lo, 15, v8
	s_mov_b32 s26, -1
	s_cbranch_vccz .LBB95_354
; %bb.353:
	s_mov_b32 s27, -1
	s_mov_b32 s26, 0
	global_store_b16 v[6:7], v13, off
.LBB95_354:
	s_mov_b32 s28, 0
.LBB95_355:
	s_delay_alu instid0(SALU_CYCLE_1)
	s_and_b32 vcc_lo, exec_lo, s28
	s_cbranch_vccz .LBB95_358
; %bb.356:
	v_cmp_eq_u16_e32 vcc_lo, 11, v8
	s_mov_b32 s26, -1
	s_cbranch_vccz .LBB95_358
; %bb.357:
	v_mov_b32_e32 v2, s35
	s_mov_b32 s27, -1
	s_mov_b32 s26, 0
	global_store_b8 v[6:7], v2, off
.LBB95_358:
.LBB95_359:
	s_and_not1_b32 vcc_lo, exec_lo, s27
	s_cbranch_vccnz .LBB95_294
.LBB95_360:
	v_add_nc_u32_e32 v11, 0x80, v11
	s_mov_b32 s27, -1
.LBB95_361:
	s_and_not1_b32 s28, s42, exec_lo
	s_and_b32 s26, s26, exec_lo
	s_delay_alu instid0(SALU_CYCLE_1)
	s_or_b32 s44, s28, s26
	s_or_not1_b32 s28, s27, exec_lo
.LBB95_362:
	s_or_b32 exec_lo, exec_lo, s45
	s_mov_b32 s26, 0
	s_mov_b32 s27, 0
                                        ; implicit-def: $vgpr6_vgpr7
	s_and_saveexec_b32 s45, s28
	s_cbranch_execz .LBB95_676
; %bb.363:
	s_mov_b32 s47, -1
	s_mov_b32 s28, s44
	s_mov_b32 s46, exec_lo
	v_cmpx_gt_i32_e64 s39, v11
	s_cbranch_execz .LBB95_607
; %bb.364:
	s_and_not1_b32 vcc_lo, exec_lo, s33
	s_cbranch_vccnz .LBB95_369
; %bb.365:
	v_mov_b32_e32 v2, 0
	s_and_not1_b32 vcc_lo, exec_lo, s41
	s_cbranch_vccnz .LBB95_374
; %bb.366:
	s_add_i32 s48, s40, 1
	s_cmp_eq_u32 s30, 2
	s_mov_b32 s47, 0
	s_cbranch_scc1 .LBB95_370
; %bb.367:
	v_dual_mov_b32 v2, 0 :: v_dual_mov_b32 v3, v11
	s_and_b32 s47, s48, 28
	s_mov_b32 s49, 0
	s_mov_b64 s[26:27], s[0:1]
	s_mov_b64 s[28:29], s[24:25]
.LBB95_368:                             ; =>This Inner Loop Header: Depth=1
	s_clause 0x1
	s_load_b256 s[52:59], s[26:27], 0x4
	s_load_b128 s[60:63], s[26:27], 0x24
	s_load_b128 s[64:67], s[28:29], 0x0
	s_add_u32 s26, s26, 48
	s_addc_u32 s27, s27, 0
	s_add_i32 s49, s49, 4
	s_add_u32 s28, s28, 16
	s_addc_u32 s29, s29, 0
	s_cmp_eq_u32 s47, s49
	s_waitcnt lgkmcnt(0)
	v_mul_hi_u32 v5, s53, v3
	s_delay_alu instid0(VALU_DEP_1) | instskip(NEXT) | instid1(VALU_DEP_1)
	v_add_nc_u32_e32 v5, v3, v5
	v_lshrrev_b32_e32 v5, s54, v5
	s_delay_alu instid0(VALU_DEP_1) | instskip(SKIP_1) | instid1(VALU_DEP_2)
	v_mul_hi_u32 v6, s56, v5
	v_mul_lo_u32 v26, v5, s52
	v_add_nc_u32_e32 v6, v5, v6
	s_delay_alu instid0(VALU_DEP_2) | instskip(NEXT) | instid1(VALU_DEP_2)
	v_sub_nc_u32_e32 v26, v3, v26
	v_lshrrev_b32_e32 v6, s57, v6
	s_delay_alu instid0(VALU_DEP_2) | instskip(NEXT) | instid1(VALU_DEP_2)
	v_mul_lo_u32 v26, v26, s64
	v_mul_hi_u32 v7, s59, v6
	v_mul_lo_u32 v27, v6, s55
	s_delay_alu instid0(VALU_DEP_2) | instskip(NEXT) | instid1(VALU_DEP_2)
	v_add_nc_u32_e32 v7, v6, v7
	v_sub_nc_u32_e32 v5, v5, v27
	s_delay_alu instid0(VALU_DEP_2) | instskip(NEXT) | instid1(VALU_DEP_2)
	v_lshrrev_b32_e32 v7, s60, v7
	v_mul_lo_u32 v5, v5, s65
	s_delay_alu instid0(VALU_DEP_2) | instskip(NEXT) | instid1(VALU_DEP_2)
	v_mul_hi_u32 v25, s62, v7
	v_add3_u32 v2, v26, v2, v5
	s_delay_alu instid0(VALU_DEP_2) | instskip(NEXT) | instid1(VALU_DEP_1)
	v_add_nc_u32_e32 v25, v7, v25
	v_lshrrev_b32_e32 v3, s63, v25
	v_mul_lo_u32 v25, v7, s58
	s_delay_alu instid0(VALU_DEP_2) | instskip(NEXT) | instid1(VALU_DEP_2)
	v_mul_lo_u32 v28, v3, s61
	v_sub_nc_u32_e32 v6, v6, v25
	s_delay_alu instid0(VALU_DEP_2) | instskip(NEXT) | instid1(VALU_DEP_2)
	v_sub_nc_u32_e32 v7, v7, v28
	v_mul_lo_u32 v6, v6, s66
	s_delay_alu instid0(VALU_DEP_2) | instskip(NEXT) | instid1(VALU_DEP_1)
	v_mul_lo_u32 v7, v7, s67
	v_add3_u32 v2, v6, v2, v7
	s_cbranch_scc0 .LBB95_368
	s_branch .LBB95_371
.LBB95_369:
	s_mov_b32 s26, -1
                                        ; implicit-def: $vgpr2
	s_branch .LBB95_375
.LBB95_370:
	v_mov_b32_e32 v3, v11
.LBB95_371:
	s_and_b32 s48, s48, 3
	s_delay_alu instid0(SALU_CYCLE_1)
	s_cmp_eq_u32 s48, 0
	s_cbranch_scc1 .LBB95_374
; %bb.372:
	s_lshl_b32 s26, s47, 2
	s_mul_i32 s28, s47, 12
	s_add_u32 s26, s26, s0
	s_addc_u32 s27, s1, 0
	s_add_u32 s26, s26, 0xc4
	s_addc_u32 s27, s27, 0
	;; [unrolled: 2-line block ×3, first 2 shown]
	.p2align	6
.LBB95_373:                             ; =>This Inner Loop Header: Depth=1
	s_clause 0x1
	s_load_b64 s[50:51], s[28:29], 0x4
	s_load_b32 s47, s[28:29], 0xc
	s_load_b32 s49, s[26:27], 0x0
	s_add_u32 s28, s28, 12
	s_addc_u32 s29, s29, 0
	s_add_u32 s26, s26, 4
	s_addc_u32 s27, s27, 0
	s_add_i32 s48, s48, -1
	s_delay_alu instid0(SALU_CYCLE_1) | instskip(SKIP_2) | instid1(VALU_DEP_1)
	s_cmp_lg_u32 s48, 0
	s_waitcnt lgkmcnt(0)
	v_mul_hi_u32 v5, s51, v3
	v_add_nc_u32_e32 v5, v3, v5
	s_delay_alu instid0(VALU_DEP_1) | instskip(NEXT) | instid1(VALU_DEP_1)
	v_lshrrev_b32_e32 v7, s47, v5
	v_mul_lo_u32 v5, v7, s50
	s_delay_alu instid0(VALU_DEP_1) | instskip(NEXT) | instid1(VALU_DEP_1)
	v_sub_nc_u32_e32 v3, v3, v5
	v_mad_u64_u32 v[5:6], null, v3, s49, v[2:3]
	s_delay_alu instid0(VALU_DEP_1)
	v_dual_mov_b32 v3, v7 :: v_dual_mov_b32 v2, v5
	s_cbranch_scc1 .LBB95_373
.LBB95_374:
	s_mov_b32 s26, 0
.LBB95_375:
	s_delay_alu instid0(SALU_CYCLE_1)
	s_and_not1_b32 vcc_lo, exec_lo, s26
	s_cbranch_vccnz .LBB95_378
; %bb.376:
	v_mul_hi_u32 v2, s13, v11
	s_and_not1_b32 vcc_lo, exec_lo, s38
	s_delay_alu instid0(VALU_DEP_1) | instskip(NEXT) | instid1(VALU_DEP_1)
	v_add_nc_u32_e32 v2, v11, v2
	v_lshrrev_b32_e32 v3, s14, v2
	s_delay_alu instid0(VALU_DEP_1) | instskip(NEXT) | instid1(VALU_DEP_1)
	v_mul_lo_u32 v2, v3, s12
	v_sub_nc_u32_e32 v2, v11, v2
	s_delay_alu instid0(VALU_DEP_1)
	v_mul_lo_u32 v2, v2, s20
	s_cbranch_vccnz .LBB95_378
; %bb.377:
	v_mul_hi_u32 v5, s22, v3
	s_delay_alu instid0(VALU_DEP_1) | instskip(NEXT) | instid1(VALU_DEP_1)
	v_add_nc_u32_e32 v5, v3, v5
	v_lshrrev_b32_e32 v5, s23, v5
	s_delay_alu instid0(VALU_DEP_1) | instskip(NEXT) | instid1(VALU_DEP_1)
	v_mul_lo_u32 v5, v5, s15
	v_sub_nc_u32_e32 v3, v3, v5
	s_delay_alu instid0(VALU_DEP_1) | instskip(NEXT) | instid1(VALU_DEP_1)
	v_mad_u64_u32 v[5:6], null, v3, s21, v[2:3]
	v_mov_b32_e32 v2, v5
.LBB95_378:
	v_cmp_gt_i16_e32 vcc_lo, 11, v8
	s_delay_alu instid0(VALU_DEP_2) | instskip(NEXT) | instid1(VALU_DEP_1)
	v_add_co_u32 v6, s26, s18, v2
	v_add_co_ci_u32_e64 v7, null, s19, 0, s26
	s_mov_b32 s27, 0
	s_mov_b32 s28, -1
	s_mov_b32 s26, s44
	s_cbranch_vccnz .LBB95_385
; %bb.379:
	v_cmp_lt_i16_e32 vcc_lo, 25, v8
	s_cbranch_vccz .LBB95_425
; %bb.380:
	v_cmp_lt_i16_e32 vcc_lo, 28, v8
	s_cbranch_vccz .LBB95_426
; %bb.381:
	v_cmp_lt_i16_e32 vcc_lo, 43, v8
	s_cbranch_vccz .LBB95_427
; %bb.382:
	v_cmp_lt_i16_e32 vcc_lo, 45, v8
	s_cbranch_vccz .LBB95_558
; %bb.383:
	v_cmp_eq_u16_e32 vcc_lo, 46, v8
	s_mov_b32 s28, 0
	s_mov_b32 s26, -1
	s_cbranch_vccz .LBB95_559
; %bb.384:
	s_mov_b32 s27, -1
	s_mov_b32 s26, 0
	global_store_b32 v[6:7], v13, off
	s_branch .LBB95_559
.LBB95_385:
	s_and_b32 vcc_lo, exec_lo, s28
	s_cbranch_vccz .LBB95_604
; %bb.386:
	v_cmp_gt_i16_e32 vcc_lo, 5, v8
	s_mov_b32 s27, -1
	s_cbranch_vccnz .LBB95_407
; %bb.387:
	v_cmp_gt_i16_e32 vcc_lo, 8, v8
	s_cbranch_vccnz .LBB95_397
; %bb.388:
	v_cmp_gt_i16_e32 vcc_lo, 9, v8
	s_cbranch_vccnz .LBB95_394
; %bb.389:
	v_cmp_lt_i16_e32 vcc_lo, 9, v8
	s_cbranch_vccz .LBB95_391
; %bb.390:
	v_mov_b32_e32 v2, 0
	s_mov_b32 s27, 0
	s_delay_alu instid0(VALU_DEP_1)
	v_mov_b32_e32 v3, v2
	global_store_b128 v[6:7], v[0:3], off
.LBB95_391:
	s_and_not1_b32 vcc_lo, exec_lo, s27
	s_cbranch_vccnz .LBB95_393
; %bb.392:
	v_mov_b32_e32 v5, 0
	global_store_b64 v[6:7], v[4:5], off
.LBB95_393:
	s_mov_b32 s27, 0
.LBB95_394:
	s_delay_alu instid0(SALU_CYCLE_1)
	s_and_not1_b32 vcc_lo, exec_lo, s27
	s_cbranch_vccnz .LBB95_396
; %bb.395:
	global_store_b32 v[6:7], v12, off
.LBB95_396:
	s_mov_b32 s27, 0
.LBB95_397:
	s_delay_alu instid0(SALU_CYCLE_1)
	s_and_not1_b32 vcc_lo, exec_lo, s27
	s_cbranch_vccnz .LBB95_406
; %bb.398:
	v_cmp_gt_i16_e32 vcc_lo, 6, v8
	s_mov_b32 s27, -1
	s_cbranch_vccnz .LBB95_404
; %bb.399:
	v_cmp_lt_i16_e32 vcc_lo, 6, v8
	s_cbranch_vccz .LBB95_401
; %bb.400:
	s_mov_b32 s27, 0
	global_store_b64 v[6:7], v[0:1], off
.LBB95_401:
	s_and_not1_b32 vcc_lo, exec_lo, s27
	s_cbranch_vccnz .LBB95_403
; %bb.402:
	global_store_b32 v[6:7], v4, off
.LBB95_403:
	s_mov_b32 s27, 0
.LBB95_404:
	s_delay_alu instid0(SALU_CYCLE_1)
	s_and_not1_b32 vcc_lo, exec_lo, s27
	s_cbranch_vccnz .LBB95_406
; %bb.405:
	global_store_b16 v[6:7], v10, off
.LBB95_406:
	s_mov_b32 s27, 0
.LBB95_407:
	s_delay_alu instid0(SALU_CYCLE_1)
	s_and_not1_b32 vcc_lo, exec_lo, s27
	s_cbranch_vccnz .LBB95_423
; %bb.408:
	v_cmp_gt_i16_e32 vcc_lo, 2, v8
	s_mov_b32 s27, -1
	s_cbranch_vccnz .LBB95_418
; %bb.409:
	v_cmp_gt_i16_e32 vcc_lo, 3, v8
	s_cbranch_vccnz .LBB95_415
; %bb.410:
	v_cmp_lt_i16_e32 vcc_lo, 3, v8
	s_cbranch_vccz .LBB95_412
; %bb.411:
	v_dual_mov_b32 v2, s16 :: v_dual_mov_b32 v3, s17
	s_mov_b32 s27, 0
	global_store_b64 v[6:7], v[2:3], off
.LBB95_412:
	s_and_not1_b32 vcc_lo, exec_lo, s27
	s_cbranch_vccnz .LBB95_414
; %bb.413:
	v_mov_b32_e32 v2, s16
	global_store_b32 v[6:7], v2, off
.LBB95_414:
	s_mov_b32 s27, 0
.LBB95_415:
	s_delay_alu instid0(SALU_CYCLE_1)
	s_and_not1_b32 vcc_lo, exec_lo, s27
	s_cbranch_vccnz .LBB95_417
; %bb.416:
	global_store_b16 v[6:7], v9, off
.LBB95_417:
	s_mov_b32 s27, 0
.LBB95_418:
	s_delay_alu instid0(SALU_CYCLE_1)
	s_and_not1_b32 vcc_lo, exec_lo, s27
	s_cbranch_vccnz .LBB95_423
; %bb.419:
	v_cmp_lt_i16_e32 vcc_lo, 0, v8
	s_mov_b32 s27, -1
	s_cbranch_vccz .LBB95_421
; %bb.420:
	v_mov_b32_e32 v2, s35
	s_mov_b32 s27, 0
	global_store_b8 v[6:7], v2, off
.LBB95_421:
	s_and_not1_b32 vcc_lo, exec_lo, s27
	s_cbranch_vccnz .LBB95_423
; %bb.422:
	v_mov_b32_e32 v2, s35
	global_store_b8 v[6:7], v2, off
.LBB95_423:
	s_branch .LBB95_605
.LBB95_424:
	s_mov_b32 s27, 0
                                        ; implicit-def: $vgpr11
	s_branch .LBB95_606
.LBB95_425:
	s_mov_b32 s26, s44
	s_branch .LBB95_581
.LBB95_426:
	s_mov_b32 s26, s44
	s_branch .LBB95_567
.LBB95_427:
	s_mov_b32 s26, s44
	s_branch .LBB95_563
.LBB95_428:
	s_mov_b32 s8, -1
	s_mov_b32 s5, 0
                                        ; implicit-def: $sgpr9
.LBB95_429:
	v_mov_b32_e32 v7, s9
	s_and_not1_b32 vcc_lo, exec_lo, s8
                                        ; implicit-def: $sgpr8
	s_cbranch_vccnz .LBB95_431
; %bb.430:
	v_add_f32_e32 v6, 0x42800000, v6
	s_mov_b32 s8, 0
	s_delay_alu instid0(VALU_DEP_1) | instskip(NEXT) | instid1(VALU_DEP_1)
	v_and_b32_e32 v7, 0xff, v6
	v_cmp_ne_u32_e64 s5, 0, v7
.LBB95_431:
	v_mov_b32_e32 v8, s8
	s_delay_alu instid0(VALU_DEP_2)
	s_and_not1_b32 vcc_lo, exec_lo, s5
	s_cbranch_vccnz .LBB95_433
; %bb.432:
	v_mov_b32_e32 v8, v7
.LBB95_433:
	s_mov_b32 s5, 0
	global_store_b8 v[3:4], v8, off
.LBB95_434:
	s_and_b32 vcc_lo, exec_lo, s5
	s_cbranch_vccz .LBB95_446
; %bb.435:
	v_cndmask_b32_e64 v6, 0, 1.0, s3
	s_delay_alu instid0(VALU_DEP_1)
	v_cmp_gt_u32_e32 vcc_lo, 0x43f00000, v6
	v_readfirstlane_b32 s5, v6
	s_cbranch_vccz .LBB95_438
; %bb.436:
	s_delay_alu instid0(VALU_DEP_1)
	s_cmp_gt_u32 s5, 0x3c7fffff
	s_cbranch_scc0 .LBB95_439
; %bb.437:
	s_bfe_u32 s8, s5, 0x10014
	s_delay_alu instid0(SALU_CYCLE_1) | instskip(NEXT) | instid1(SALU_CYCLE_1)
	s_add_i32 s8, s5, s8
	s_add_i32 s8, s8, 0x407ffff
	s_delay_alu instid0(SALU_CYCLE_1)
	s_and_b32 s9, s8, 0xff00000
	s_lshr_b32 s8, s8, 20
	s_cmp_lg_u32 s9, 0x7f00000
	s_cselect_b32 s9, s8, 0x7e
	s_mov_b32 s8, 0
	s_branch .LBB95_440
.LBB95_438:
	s_mov_b32 s8, -1
                                        ; implicit-def: $vgpr7
	s_branch .LBB95_443
.LBB95_439:
	s_mov_b32 s8, -1
                                        ; implicit-def: $sgpr9
.LBB95_440:
	v_mov_b32_e32 v7, s9
	s_and_not1_b32 vcc_lo, exec_lo, s8
	s_cbranch_vccnz .LBB95_442
; %bb.441:
	v_add_f32_e32 v7, 0x46800000, v6
.LBB95_442:
	s_mov_b32 s8, 0
.LBB95_443:
	s_delay_alu instid0(SALU_CYCLE_1)
	s_and_not1_b32 vcc_lo, exec_lo, s8
	s_cbranch_vccnz .LBB95_445
; %bb.444:
	s_cmp_gt_u32 s5, 0x7f800000
	s_movk_i32 s5, 0x7f
	s_delay_alu instid0(SALU_CYCLE_1) | instskip(NEXT) | instid1(SALU_CYCLE_1)
	s_cselect_b32 s5, s5, 0x7e
	v_mov_b32_e32 v7, s5
.LBB95_445:
	global_store_b8 v[3:4], v7, off
.LBB95_446:
	s_mov_b32 s5, 0
.LBB95_447:
	s_delay_alu instid0(SALU_CYCLE_1)
	s_and_not1_b32 vcc_lo, exec_lo, s5
	s_cbranch_vccnz .LBB95_459
; %bb.448:
	v_cndmask_b32_e64 v6, 0, 1.0, s3
	s_delay_alu instid0(VALU_DEP_1)
	v_cmp_gt_u32_e32 vcc_lo, 0x47800000, v6
	v_readfirstlane_b32 s5, v6
	s_cbranch_vccz .LBB95_451
; %bb.449:
	s_delay_alu instid0(VALU_DEP_1)
	s_cmp_gt_u32 s5, 0x387fffff
	s_cbranch_scc0 .LBB95_452
; %bb.450:
	s_bfe_u32 s8, s5, 0x10015
	s_delay_alu instid0(SALU_CYCLE_1) | instskip(NEXT) | instid1(SALU_CYCLE_1)
	s_add_i32 s8, s5, s8
	s_add_i32 s8, s8, 0x80fffff
	s_delay_alu instid0(SALU_CYCLE_1)
	s_lshr_b32 s9, s8, 21
	s_mov_b32 s8, 0
	s_branch .LBB95_453
.LBB95_451:
	s_mov_b32 s8, -1
                                        ; implicit-def: $vgpr7
	s_branch .LBB95_456
.LBB95_452:
	s_mov_b32 s8, -1
                                        ; implicit-def: $sgpr9
.LBB95_453:
	v_mov_b32_e32 v7, s9
	s_and_not1_b32 vcc_lo, exec_lo, s8
	s_cbranch_vccnz .LBB95_455
; %bb.454:
	v_add_f32_e32 v7, 0x43000000, v6
.LBB95_455:
	s_mov_b32 s8, 0
.LBB95_456:
	s_delay_alu instid0(SALU_CYCLE_1)
	s_and_not1_b32 vcc_lo, exec_lo, s8
	s_cbranch_vccnz .LBB95_458
; %bb.457:
	s_cmp_gt_u32 s5, 0x7f800000
	s_movk_i32 s5, 0x7f
	s_delay_alu instid0(SALU_CYCLE_1) | instskip(NEXT) | instid1(SALU_CYCLE_1)
	s_cselect_b32 s5, s5, 0x7c
	v_mov_b32_e32 v7, s5
.LBB95_458:
	global_store_b8 v[3:4], v7, off
.LBB95_459:
	s_mov_b32 s5, 0
	s_mov_b32 s8, -1
.LBB95_460:
	s_and_not1_b32 vcc_lo, exec_lo, s5
	s_mov_b32 s5, 0
	s_cbranch_vccnz .LBB95_467
; %bb.461:
	v_cmp_lt_i16_e32 vcc_lo, 14, v5
	s_mov_b32 s5, -1
	s_cbranch_vccz .LBB95_465
; %bb.462:
	v_cmp_eq_u16_e32 vcc_lo, 15, v5
	s_mov_b32 s4, -1
	s_cbranch_vccz .LBB95_464
; %bb.463:
	v_cndmask_b32_e64 v6, 0, 1.0, s3
	s_mov_b32 s4, 0
	s_mov_b32 s8, -1
	s_delay_alu instid0(VALU_DEP_1) | instskip(NEXT) | instid1(VALU_DEP_1)
	v_bfe_u32 v7, v6, 16, 1
	v_add_nc_u32_e32 v6, v6, v7
	s_delay_alu instid0(VALU_DEP_1)
	v_add_nc_u32_e32 v6, 0x7fff, v6
	global_store_d16_hi_b16 v[3:4], v6, off
.LBB95_464:
	s_mov_b32 s5, 0
.LBB95_465:
	s_delay_alu instid0(SALU_CYCLE_1)
	s_and_b32 vcc_lo, exec_lo, s5
	s_mov_b32 s5, 0
	s_cbranch_vccz .LBB95_467
; %bb.466:
	v_cmp_ne_u16_e64 s4, 11, v5
	s_mov_b32 s5, -1
.LBB95_467:
	s_delay_alu instid0(VALU_DEP_1)
	s_and_b32 vcc_lo, exec_lo, s4
	s_mov_b32 s4, s6
	s_cbranch_vccnz .LBB95_539
; %bb.468:
	s_and_not1_b32 vcc_lo, exec_lo, s5
	s_cbranch_vccnz .LBB95_470
.LBB95_469:
	v_mov_b32_e32 v6, s2
	s_mov_b32 s8, -1
	global_store_b8 v[3:4], v6, off
.LBB95_470:
	s_mov_b32 s5, 0
.LBB95_471:
	s_delay_alu instid0(SALU_CYCLE_1)
	s_and_b32 vcc_lo, exec_lo, s5
	s_cbranch_vccz .LBB95_510
; %bb.472:
	v_cmp_gt_i16_e32 vcc_lo, 5, v5
	s_mov_b32 s5, -1
	s_cbranch_vccnz .LBB95_493
; %bb.473:
	v_cmp_gt_i16_e32 vcc_lo, 8, v5
	s_cbranch_vccnz .LBB95_483
; %bb.474:
	v_cmp_gt_i16_e32 vcc_lo, 9, v5
	s_cbranch_vccnz .LBB95_480
; %bb.475:
	v_cmp_lt_i16_e32 vcc_lo, 9, v5
	s_cbranch_vccz .LBB95_477
; %bb.476:
	v_cndmask_b32_e64 v6, 0, 1, s3
	v_mov_b32_e32 v8, 0
	s_mov_b32 s5, 0
	s_delay_alu instid0(VALU_DEP_2) | instskip(NEXT) | instid1(VALU_DEP_2)
	v_cvt_f64_u32_e32 v[6:7], v6
	v_mov_b32_e32 v9, v8
	global_store_b128 v[3:4], v[6:9], off
.LBB95_477:
	s_and_not1_b32 vcc_lo, exec_lo, s5
	s_cbranch_vccnz .LBB95_479
; %bb.478:
	v_cndmask_b32_e64 v6, 0, 1.0, s3
	v_mov_b32_e32 v7, 0
	global_store_b64 v[3:4], v[6:7], off
.LBB95_479:
	s_mov_b32 s5, 0
.LBB95_480:
	s_delay_alu instid0(SALU_CYCLE_1)
	s_and_not1_b32 vcc_lo, exec_lo, s5
	s_cbranch_vccnz .LBB95_482
; %bb.481:
	v_cndmask_b32_e64 v6, 0, 1.0, s3
	s_delay_alu instid0(VALU_DEP_1) | instskip(NEXT) | instid1(VALU_DEP_1)
	v_cvt_f16_f32_e32 v6, v6
	v_and_b32_e32 v6, 0xffff, v6
	global_store_b32 v[3:4], v6, off
.LBB95_482:
	s_mov_b32 s5, 0
.LBB95_483:
	s_delay_alu instid0(SALU_CYCLE_1)
	s_and_not1_b32 vcc_lo, exec_lo, s5
	s_cbranch_vccnz .LBB95_492
; %bb.484:
	v_cmp_gt_i16_e32 vcc_lo, 6, v5
	s_mov_b32 s5, -1
	s_cbranch_vccnz .LBB95_490
; %bb.485:
	v_cmp_lt_i16_e32 vcc_lo, 6, v5
	s_cbranch_vccz .LBB95_487
; %bb.486:
	v_cndmask_b32_e64 v6, 0, 1, s3
	s_mov_b32 s5, 0
	s_delay_alu instid0(VALU_DEP_1)
	v_cvt_f64_u32_e32 v[6:7], v6
	global_store_b64 v[3:4], v[6:7], off
.LBB95_487:
	s_and_not1_b32 vcc_lo, exec_lo, s5
	s_cbranch_vccnz .LBB95_489
; %bb.488:
	v_cndmask_b32_e64 v6, 0, 1.0, s3
	global_store_b32 v[3:4], v6, off
.LBB95_489:
	s_mov_b32 s5, 0
.LBB95_490:
	s_delay_alu instid0(SALU_CYCLE_1)
	s_and_not1_b32 vcc_lo, exec_lo, s5
	s_cbranch_vccnz .LBB95_492
; %bb.491:
	v_cndmask_b32_e64 v6, 0, 1.0, s3
	s_delay_alu instid0(VALU_DEP_1)
	v_cvt_f16_f32_e32 v6, v6
	global_store_b16 v[3:4], v6, off
.LBB95_492:
	s_mov_b32 s5, 0
.LBB95_493:
	s_delay_alu instid0(SALU_CYCLE_1)
	s_and_not1_b32 vcc_lo, exec_lo, s5
	s_cbranch_vccnz .LBB95_509
; %bb.494:
	v_cmp_gt_i16_e32 vcc_lo, 2, v5
	s_mov_b32 s5, -1
	s_cbranch_vccnz .LBB95_504
; %bb.495:
	v_cmp_gt_i16_e32 vcc_lo, 3, v5
	s_cbranch_vccnz .LBB95_501
; %bb.496:
	v_cmp_lt_i16_e32 vcc_lo, 3, v5
	s_cbranch_vccz .LBB95_498
; %bb.497:
	s_and_b32 s5, s2, 0xff
	s_delay_alu instid0(SALU_CYCLE_1)
	v_dual_mov_b32 v7, 0 :: v_dual_mov_b32 v6, s5
	s_mov_b32 s5, 0
	global_store_b64 v[3:4], v[6:7], off
.LBB95_498:
	s_and_not1_b32 vcc_lo, exec_lo, s5
	s_cbranch_vccnz .LBB95_500
; %bb.499:
	s_and_b32 s5, s2, 0xff
	s_delay_alu instid0(SALU_CYCLE_1)
	v_mov_b32_e32 v6, s5
	global_store_b32 v[3:4], v6, off
.LBB95_500:
	s_mov_b32 s5, 0
.LBB95_501:
	s_delay_alu instid0(SALU_CYCLE_1)
	s_and_not1_b32 vcc_lo, exec_lo, s5
	s_cbranch_vccnz .LBB95_503
; %bb.502:
	v_and_b32_e64 v6, 0xff, s2
	global_store_b16 v[3:4], v6, off
.LBB95_503:
	s_mov_b32 s5, 0
.LBB95_504:
	s_delay_alu instid0(SALU_CYCLE_1)
	s_and_not1_b32 vcc_lo, exec_lo, s5
	s_cbranch_vccnz .LBB95_509
; %bb.505:
	v_cmp_lt_i16_e32 vcc_lo, 0, v5
	s_mov_b32 s5, -1
	s_cbranch_vccz .LBB95_507
; %bb.506:
	v_mov_b32_e32 v6, s2
	s_mov_b32 s5, 0
	global_store_b8 v[3:4], v6, off
.LBB95_507:
	s_and_not1_b32 vcc_lo, exec_lo, s5
	s_cbranch_vccnz .LBB95_509
; %bb.508:
	v_mov_b32_e32 v6, s2
	global_store_b8 v[3:4], v6, off
.LBB95_509:
	s_mov_b32 s8, -1
.LBB95_510:
	s_delay_alu instid0(SALU_CYCLE_1)
	s_and_not1_b32 vcc_lo, exec_lo, s8
	s_cbranch_vccnz .LBB95_923
; %bb.511:
	v_cmp_gt_i16_e32 vcc_lo, 11, v5
	v_add_co_u32 v2, s5, s0, v2
	s_delay_alu instid0(VALU_DEP_1)
	v_add_co_ci_u32_e64 v3, null, s1, 0, s5
	s_mov_b32 s9, 0
	s_mov_b32 s5, -1
	s_cbranch_vccnz .LBB95_724
; %bb.512:
	v_cmp_lt_i16_e32 vcc_lo, 25, v5
	s_mov_b32 s10, -1
	s_mov_b32 s8, 0
	s_mov_b32 s5, 0
	s_cbranch_vccz .LBB95_551
; %bb.513:
	v_cmp_lt_i16_e32 vcc_lo, 28, v5
	s_cbranch_vccz .LBB95_528
; %bb.514:
	v_cmp_lt_i16_e32 vcc_lo, 43, v5
	;; [unrolled: 3-line block ×3, first 2 shown]
	s_cbranch_vccz .LBB95_518
; %bb.516:
	v_cmp_eq_u16_e32 vcc_lo, 46, v5
	s_mov_b32 s5, -1
	s_mov_b32 s10, 0
	s_cbranch_vccz .LBB95_518
; %bb.517:
	v_cndmask_b32_e64 v4, 0, 1.0, s3
	s_mov_b32 s5, 0
	s_mov_b32 s9, -1
	s_delay_alu instid0(VALU_DEP_1) | instskip(NEXT) | instid1(VALU_DEP_1)
	v_bfe_u32 v6, v4, 16, 1
	v_add_nc_u32_e32 v4, v4, v6
	s_delay_alu instid0(VALU_DEP_1) | instskip(NEXT) | instid1(VALU_DEP_1)
	v_add_nc_u32_e32 v4, 0x7fff, v4
	v_lshrrev_b32_e32 v4, 16, v4
	global_store_b32 v[2:3], v4, off
.LBB95_518:
	s_and_b32 vcc_lo, exec_lo, s10
	s_cbranch_vccz .LBB95_523
; %bb.519:
	v_cmp_eq_u16_e32 vcc_lo, 44, v5
	s_mov_b32 s5, -1
	s_cbranch_vccz .LBB95_523
; %bb.520:
	v_cndmask_b32_e64 v4, 0, 1.0, s3
	s_delay_alu instid0(VALU_DEP_1) | instskip(SKIP_1) | instid1(VALU_DEP_2)
	v_readfirstlane_b32 s9, v4
	v_mov_b32_e32 v4, 0xff
	s_lshr_b32 s5, s9, 23
	s_delay_alu instid0(SALU_CYCLE_1)
	s_cmpk_eq_i32 s5, 0xff
	s_cbranch_scc1 .LBB95_522
; %bb.521:
	s_bitcmp1_b32 s9, 22
	s_cselect_b32 s10, -1, 0
	s_and_b32 s9, s9, 0x3fffff
	s_delay_alu instid0(SALU_CYCLE_1) | instskip(NEXT) | instid1(SALU_CYCLE_1)
	s_or_b32 s9, s5, s9
	s_cmp_lg_u32 s9, 0
	s_cselect_b32 s9, -1, 0
	s_delay_alu instid0(SALU_CYCLE_1) | instskip(NEXT) | instid1(SALU_CYCLE_1)
	s_and_b32 s9, s10, s9
	v_cndmask_b32_e64 v4, 0, 1, s9
	s_delay_alu instid0(VALU_DEP_1)
	v_add_nc_u32_e32 v4, s5, v4
.LBB95_522:
	s_mov_b32 s5, 0
	s_mov_b32 s9, -1
	global_store_b8 v[2:3], v4, off
.LBB95_523:
	s_mov_b32 s10, 0
.LBB95_524:
	s_delay_alu instid0(SALU_CYCLE_1)
	s_and_b32 vcc_lo, exec_lo, s10
	s_cbranch_vccz .LBB95_527
; %bb.525:
	v_cmp_eq_u16_e32 vcc_lo, 29, v5
	s_mov_b32 s5, -1
	s_cbranch_vccz .LBB95_527
; %bb.526:
	s_and_b32 s5, s2, 0xff
	s_mov_b32 s9, -1
	v_dual_mov_b32 v6, s5 :: v_dual_mov_b32 v7, 0
	s_mov_b32 s5, 0
	global_store_b64 v[2:3], v[6:7], off
.LBB95_527:
	s_mov_b32 s10, 0
.LBB95_528:
	s_delay_alu instid0(SALU_CYCLE_1)
	s_and_b32 vcc_lo, exec_lo, s10
	s_cbranch_vccz .LBB95_550
; %bb.529:
	v_cmp_gt_i16_e32 vcc_lo, 27, v5
	s_mov_b32 s9, -1
	s_cbranch_vccnz .LBB95_535
; %bb.530:
	v_cmp_lt_i16_e32 vcc_lo, 27, v5
	s_cbranch_vccz .LBB95_532
; %bb.531:
	s_and_b32 s9, s2, 0xff
	s_delay_alu instid0(SALU_CYCLE_1)
	v_mov_b32_e32 v4, s9
	s_mov_b32 s9, 0
	global_store_b32 v[2:3], v4, off
.LBB95_532:
	s_and_not1_b32 vcc_lo, exec_lo, s9
	s_cbranch_vccnz .LBB95_534
; %bb.533:
	v_and_b32_e64 v4, 0xff, s2
	global_store_b16 v[2:3], v4, off
.LBB95_534:
	s_mov_b32 s9, 0
.LBB95_535:
	s_delay_alu instid0(SALU_CYCLE_1)
	s_and_not1_b32 vcc_lo, exec_lo, s9
	s_cbranch_vccnz .LBB95_549
; %bb.536:
	v_cndmask_b32_e64 v4, 0, 1.0, s3
	v_mov_b32_e32 v7, 0x80
	s_delay_alu instid0(VALU_DEP_2)
	v_cmp_lt_u32_e32 vcc_lo, 0x437fffff, v4
	v_readfirstlane_b32 s9, v4
	s_cbranch_vccnz .LBB95_548
; %bb.537:
	s_delay_alu instid0(VALU_DEP_1)
	s_cmp_gt_u32 s9, 0x3bffffff
	s_cbranch_scc0 .LBB95_543
; %bb.538:
	s_bfe_u32 s10, s9, 0x10014
	s_delay_alu instid0(SALU_CYCLE_1) | instskip(SKIP_2) | instid1(SALU_CYCLE_1)
	s_add_i32 s9, s9, s10
	s_mov_b32 s10, 0
	s_add_i32 s9, s9, 0x487ffff
	s_lshr_b32 s11, s9, 20
	s_mov_b32 s9, -1
	s_branch .LBB95_544
.LBB95_539:
	s_cbranch_execnz .LBB95_541
; %bb.540:
	s_or_b32 s4, s6, exec_lo
	s_cbranch_execz .LBB95_469
	s_branch .LBB95_470
.LBB95_541:
	s_trap 2
	s_sendmsg_rtn_b32 s0, sendmsg(MSG_RTN_GET_DOORBELL)
	s_mov_b32 ttmp2, m0
	s_waitcnt lgkmcnt(0)
	s_and_b32 s0, s0, 0x3ff
	s_delay_alu instid0(SALU_CYCLE_1) | instskip(NEXT) | instid1(SALU_CYCLE_1)
	s_bitset1_b32 s0, 10
	s_mov_b32 m0, s0
	s_sendmsg sendmsg(MSG_INTERRUPT)
	s_mov_b32 m0, ttmp2
.LBB95_542:                             ; =>This Inner Loop Header: Depth=1
	s_sethalt 5
	s_branch .LBB95_542
.LBB95_543:
	s_mov_b32 s10, -1
	s_mov_b32 s9, 0
                                        ; implicit-def: $sgpr11
.LBB95_544:
	v_mov_b32_e32 v6, s11
	s_and_not1_b32 vcc_lo, exec_lo, s10
                                        ; implicit-def: $sgpr10
	s_cbranch_vccnz .LBB95_546
; %bb.545:
	v_add_f32_e32 v4, 0x46000000, v4
	s_mov_b32 s10, 0
	s_delay_alu instid0(VALU_DEP_1) | instskip(NEXT) | instid1(VALU_DEP_1)
	v_and_b32_e32 v6, 0xff, v4
	v_cmp_ne_u32_e64 s9, 0, v6
.LBB95_546:
	v_mov_b32_e32 v7, s10
	s_delay_alu instid0(VALU_DEP_2)
	s_and_not1_b32 vcc_lo, exec_lo, s9
	s_cbranch_vccnz .LBB95_548
; %bb.547:
	v_mov_b32_e32 v7, v6
.LBB95_548:
	global_store_b8 v[2:3], v7, off
.LBB95_549:
	s_mov_b32 s9, -1
.LBB95_550:
	s_mov_b32 s10, 0
.LBB95_551:
	s_delay_alu instid0(SALU_CYCLE_1)
	s_and_b32 vcc_lo, exec_lo, s10
	s_cbranch_vccz .LBB95_720
; %bb.552:
	v_cmp_lt_i16_e32 vcc_lo, 22, v5
	s_mov_b32 s8, -1
	s_cbranch_vccz .LBB95_713
; %bb.553:
	v_cmp_gt_i16_e32 vcc_lo, 24, v5
	s_cbranch_vccnz .LBB95_700
; %bb.554:
	v_cmp_lt_i16_e32 vcc_lo, 24, v5
	s_cbranch_vccz .LBB95_687
; %bb.555:
	v_cndmask_b32_e64 v4, 0, 1.0, s3
	v_mov_b32_e32 v7, 0x80
	s_delay_alu instid0(VALU_DEP_2)
	v_cmp_lt_u32_e32 vcc_lo, 0x477fffff, v4
	v_readfirstlane_b32 s8, v4
	s_cbranch_vccnz .LBB95_686
; %bb.556:
	s_delay_alu instid0(VALU_DEP_1)
	s_cmp_gt_u32 s8, 0x37ffffff
	s_cbranch_scc0 .LBB95_681
; %bb.557:
	s_bfe_u32 s9, s8, 0x10015
	s_delay_alu instid0(SALU_CYCLE_1) | instskip(SKIP_2) | instid1(SALU_CYCLE_1)
	s_add_i32 s8, s8, s9
	s_mov_b32 s9, 0
	s_add_i32 s8, s8, 0x88fffff
	s_lshr_b32 s10, s8, 21
	s_mov_b32 s8, -1
	s_branch .LBB95_682
.LBB95_558:
	s_mov_b32 s26, s44
.LBB95_559:
	s_and_b32 vcc_lo, exec_lo, s28
	s_cbranch_vccz .LBB95_562
; %bb.560:
	v_cmp_eq_u16_e32 vcc_lo, 44, v8
	s_mov_b32 s26, -1
	s_cbranch_vccz .LBB95_562
; %bb.561:
	v_cndmask_b32_e64 v2, v24, 0xff, s10
	s_mov_b32 s27, -1
	s_mov_b32 s26, 0
	global_store_b8 v[6:7], v2, off
.LBB95_562:
	s_mov_b32 s28, 0
.LBB95_563:
	s_delay_alu instid0(SALU_CYCLE_1)
	s_and_b32 vcc_lo, exec_lo, s28
	s_cbranch_vccz .LBB95_566
; %bb.564:
	v_cmp_eq_u16_e32 vcc_lo, 29, v8
	s_mov_b32 s26, -1
	s_cbranch_vccz .LBB95_566
; %bb.565:
	v_dual_mov_b32 v2, s16 :: v_dual_mov_b32 v3, s17
	s_mov_b32 s27, -1
	s_mov_b32 s26, 0
	s_mov_b32 s28, 0
	global_store_b64 v[6:7], v[2:3], off
	s_branch .LBB95_567
.LBB95_566:
	s_mov_b32 s28, 0
.LBB95_567:
	s_delay_alu instid0(SALU_CYCLE_1)
	s_and_b32 vcc_lo, exec_lo, s28
	s_cbranch_vccz .LBB95_580
; %bb.568:
	v_cmp_gt_i16_e32 vcc_lo, 27, v8
	s_mov_b32 s27, -1
	s_cbranch_vccnz .LBB95_574
; %bb.569:
	v_cmp_lt_i16_e32 vcc_lo, 27, v8
	s_cbranch_vccz .LBB95_571
; %bb.570:
	v_mov_b32_e32 v2, s16
	s_mov_b32 s27, 0
	global_store_b32 v[6:7], v2, off
.LBB95_571:
	s_and_not1_b32 vcc_lo, exec_lo, s27
	s_cbranch_vccnz .LBB95_573
; %bb.572:
	global_store_b16 v[6:7], v9, off
.LBB95_573:
	s_mov_b32 s27, 0
.LBB95_574:
	s_delay_alu instid0(SALU_CYCLE_1)
	s_and_not1_b32 vcc_lo, exec_lo, s27
	s_cbranch_vccnz .LBB95_579
; %bb.575:
	v_mov_b32_e32 v2, 0x80
	s_and_not1_b32 vcc_lo, exec_lo, s9
	s_cbranch_vccnz .LBB95_578
; %bb.576:
	v_mov_b32_e32 v2, 0
	s_or_b32 s27, s8, s37
	s_delay_alu instid0(SALU_CYCLE_1)
	s_and_not1_b32 vcc_lo, exec_lo, s27
	s_cbranch_vccnz .LBB95_578
; %bb.577:
	v_cndmask_b32_e64 v2, v22, v23, s8
.LBB95_578:
	global_store_b8 v[6:7], v2, off
.LBB95_579:
	s_mov_b32 s27, -1
.LBB95_580:
	s_mov_b32 s28, 0
.LBB95_581:
	s_delay_alu instid0(SALU_CYCLE_1)
	s_and_b32 vcc_lo, exec_lo, s28
	s_cbranch_vccz .LBB95_603
; %bb.582:
	v_cmp_lt_i16_e32 vcc_lo, 22, v8
	s_mov_b32 s28, -1
	s_cbranch_vccz .LBB95_595
; %bb.583:
	v_cmp_gt_i16_e32 vcc_lo, 24, v8
	s_mov_b32 s27, -1
	s_cbranch_vccnz .LBB95_592
; %bb.584:
	v_cmp_lt_i16_e32 vcc_lo, 24, v8
	s_cbranch_vccz .LBB95_589
; %bb.585:
	v_mov_b32_e32 v2, 0x80
	s_and_not1_b32 vcc_lo, exec_lo, s7
	s_cbranch_vccnz .LBB95_588
; %bb.586:
	v_mov_b32_e32 v2, 0
	s_or_b32 s27, s6, s36
	s_delay_alu instid0(SALU_CYCLE_1)
	s_and_not1_b32 vcc_lo, exec_lo, s27
	s_cbranch_vccnz .LBB95_588
; %bb.587:
	v_cndmask_b32_e64 v2, v14, v21, s6
.LBB95_588:
	s_mov_b32 s27, 0
	global_store_b8 v[6:7], v2, off
.LBB95_589:
	s_and_b32 vcc_lo, exec_lo, s27
	s_cbranch_vccz .LBB95_591
; %bb.590:
	v_cndmask_b32_e64 v2, v18, v19, s5
	s_delay_alu instid0(VALU_DEP_1)
	v_cndmask_b32_e64 v2, v2, v20, s4
	global_store_b8 v[6:7], v2, off
.LBB95_591:
	s_mov_b32 s27, 0
.LBB95_592:
	s_delay_alu instid0(SALU_CYCLE_1)
	s_and_not1_b32 vcc_lo, exec_lo, s27
	s_cbranch_vccnz .LBB95_594
; %bb.593:
	v_cndmask_b32_e64 v2, v15, v16, s3
	s_delay_alu instid0(VALU_DEP_1)
	v_cndmask_b32_e64 v2, v2, v17, s2
	global_store_b8 v[6:7], v2, off
.LBB95_594:
	s_mov_b32 s28, 0
	s_mov_b32 s27, -1
.LBB95_595:
	s_and_not1_b32 vcc_lo, exec_lo, s28
	s_cbranch_vccnz .LBB95_603
; %bb.596:
	v_cmp_lt_i16_e32 vcc_lo, 14, v8
	s_mov_b32 s28, -1
	s_cbranch_vccz .LBB95_600
; %bb.597:
	v_cmp_eq_u16_e32 vcc_lo, 15, v8
	s_mov_b32 s26, -1
	s_cbranch_vccz .LBB95_599
; %bb.598:
	s_mov_b32 s27, -1
	s_mov_b32 s26, 0
	global_store_b16 v[6:7], v13, off
.LBB95_599:
	s_mov_b32 s28, 0
.LBB95_600:
	s_delay_alu instid0(SALU_CYCLE_1)
	s_and_b32 vcc_lo, exec_lo, s28
	s_cbranch_vccz .LBB95_603
; %bb.601:
	v_cmp_eq_u16_e32 vcc_lo, 11, v8
	s_mov_b32 s26, -1
	s_cbranch_vccz .LBB95_603
; %bb.602:
	v_mov_b32_e32 v2, s35
	s_mov_b32 s27, -1
	s_mov_b32 s26, 0
	global_store_b8 v[6:7], v2, off
.LBB95_603:
.LBB95_604:
	s_and_not1_b32 vcc_lo, exec_lo, s27
	s_cbranch_vccnz .LBB95_424
.LBB95_605:
	v_add_nc_u32_e32 v11, 0x80, v11
	s_mov_b32 s27, -1
.LBB95_606:
	s_and_not1_b32 s28, s44, exec_lo
	s_and_b32 s26, s26, exec_lo
	s_or_not1_b32 s47, s27, exec_lo
	s_or_b32 s28, s28, s26
.LBB95_607:
	s_or_b32 exec_lo, exec_lo, s46
	s_mov_b32 s26, 0
	s_mov_b32 s27, 0
                                        ; implicit-def: $vgpr6_vgpr7
	s_and_saveexec_b32 s29, s47
	s_cbranch_execz .LBB95_675
; %bb.608:
	v_cmp_gt_i32_e32 vcc_lo, s39, v11
	s_mov_b32 s46, s28
                                        ; implicit-def: $vgpr6_vgpr7
	s_and_saveexec_b32 s39, vcc_lo
	s_cbranch_execz .LBB95_674
; %bb.609:
	s_and_not1_b32 vcc_lo, exec_lo, s33
	s_cbranch_vccnz .LBB95_614
; %bb.610:
	v_mov_b32_e32 v2, 0
	s_and_not1_b32 vcc_lo, exec_lo, s41
	s_cbranch_vccnz .LBB95_619
; %bb.611:
	s_add_i32 s41, s40, 1
	s_cmp_eq_u32 s30, 2
	s_mov_b32 s40, 0
	s_cbranch_scc1 .LBB95_615
; %bb.612:
	v_dual_mov_b32 v2, 0 :: v_dual_mov_b32 v3, v11
	s_and_b32 s40, s41, 28
	s_mov_b32 s46, 0
	s_mov_b64 s[26:27], s[0:1]
.LBB95_613:                             ; =>This Inner Loop Header: Depth=1
	s_clause 0x1
	s_load_b256 s[48:55], s[26:27], 0x4
	s_load_b128 s[56:59], s[26:27], 0x24
	s_load_b128 s[60:63], s[24:25], 0x0
	s_add_u32 s26, s26, 48
	s_addc_u32 s27, s27, 0
	s_add_i32 s46, s46, 4
	s_add_u32 s24, s24, 16
	s_addc_u32 s25, s25, 0
	s_cmp_eq_u32 s40, s46
	s_waitcnt lgkmcnt(0)
	v_mul_hi_u32 v5, s49, v3
	s_delay_alu instid0(VALU_DEP_1) | instskip(NEXT) | instid1(VALU_DEP_1)
	v_add_nc_u32_e32 v5, v3, v5
	v_lshrrev_b32_e32 v5, s50, v5
	s_delay_alu instid0(VALU_DEP_1) | instskip(SKIP_1) | instid1(VALU_DEP_2)
	v_mul_hi_u32 v6, s52, v5
	v_mul_lo_u32 v26, v5, s48
	v_add_nc_u32_e32 v6, v5, v6
	s_delay_alu instid0(VALU_DEP_2) | instskip(NEXT) | instid1(VALU_DEP_2)
	v_sub_nc_u32_e32 v26, v3, v26
	v_lshrrev_b32_e32 v6, s53, v6
	s_delay_alu instid0(VALU_DEP_2) | instskip(NEXT) | instid1(VALU_DEP_2)
	v_mul_lo_u32 v26, v26, s60
	v_mul_hi_u32 v7, s55, v6
	v_mul_lo_u32 v27, v6, s51
	s_delay_alu instid0(VALU_DEP_2) | instskip(NEXT) | instid1(VALU_DEP_2)
	v_add_nc_u32_e32 v7, v6, v7
	v_sub_nc_u32_e32 v5, v5, v27
	s_delay_alu instid0(VALU_DEP_2) | instskip(NEXT) | instid1(VALU_DEP_2)
	v_lshrrev_b32_e32 v7, s56, v7
	v_mul_lo_u32 v5, v5, s61
	s_delay_alu instid0(VALU_DEP_2) | instskip(NEXT) | instid1(VALU_DEP_2)
	v_mul_hi_u32 v25, s58, v7
	v_add3_u32 v2, v26, v2, v5
	s_delay_alu instid0(VALU_DEP_2) | instskip(NEXT) | instid1(VALU_DEP_1)
	v_add_nc_u32_e32 v25, v7, v25
	v_lshrrev_b32_e32 v3, s59, v25
	v_mul_lo_u32 v25, v7, s54
	s_delay_alu instid0(VALU_DEP_2) | instskip(NEXT) | instid1(VALU_DEP_2)
	v_mul_lo_u32 v28, v3, s57
	v_sub_nc_u32_e32 v6, v6, v25
	s_delay_alu instid0(VALU_DEP_2) | instskip(NEXT) | instid1(VALU_DEP_2)
	v_sub_nc_u32_e32 v7, v7, v28
	v_mul_lo_u32 v6, v6, s62
	s_delay_alu instid0(VALU_DEP_2) | instskip(NEXT) | instid1(VALU_DEP_1)
	v_mul_lo_u32 v7, v7, s63
	v_add3_u32 v2, v6, v2, v7
	s_cbranch_scc0 .LBB95_613
	s_branch .LBB95_616
.LBB95_614:
	s_mov_b32 s24, -1
                                        ; implicit-def: $vgpr2
	s_branch .LBB95_620
.LBB95_615:
	v_mov_b32_e32 v3, v11
.LBB95_616:
	s_and_b32 s41, s41, 3
	s_delay_alu instid0(SALU_CYCLE_1)
	s_cmp_eq_u32 s41, 0
	s_cbranch_scc1 .LBB95_619
; %bb.617:
	s_lshl_b32 s24, s40, 2
	s_mul_i32 s26, s40, 12
	s_add_u32 s24, s24, s0
	s_addc_u32 s25, s1, 0
	s_add_u32 s24, s24, 0xc4
	s_addc_u32 s25, s25, 0
	;; [unrolled: 2-line block ×3, first 2 shown]
.LBB95_618:                             ; =>This Inner Loop Header: Depth=1
	s_clause 0x1
	s_load_b64 s[46:47], s[26:27], 0x4
	s_load_b32 s40, s[26:27], 0xc
	s_add_u32 s26, s26, 12
	s_addc_u32 s27, s27, 0
	s_waitcnt lgkmcnt(0)
	v_mul_hi_u32 v5, s47, v3
	s_load_b32 s47, s[24:25], 0x0
	s_add_u32 s24, s24, 4
	s_addc_u32 s25, s25, 0
	s_add_i32 s41, s41, -1
	s_delay_alu instid0(SALU_CYCLE_1) | instskip(NEXT) | instid1(VALU_DEP_1)
	s_cmp_lg_u32 s41, 0
	v_add_nc_u32_e32 v5, v3, v5
	s_delay_alu instid0(VALU_DEP_1) | instskip(NEXT) | instid1(VALU_DEP_1)
	v_lshrrev_b32_e32 v7, s40, v5
	v_mul_lo_u32 v5, v7, s46
	s_delay_alu instid0(VALU_DEP_1) | instskip(SKIP_1) | instid1(VALU_DEP_1)
	v_sub_nc_u32_e32 v3, v3, v5
	s_waitcnt lgkmcnt(0)
	v_mad_u64_u32 v[5:6], null, v3, s47, v[2:3]
	s_delay_alu instid0(VALU_DEP_1)
	v_dual_mov_b32 v3, v7 :: v_dual_mov_b32 v2, v5
	s_cbranch_scc1 .LBB95_618
.LBB95_619:
	s_mov_b32 s24, 0
.LBB95_620:
	s_delay_alu instid0(SALU_CYCLE_1)
	s_and_not1_b32 vcc_lo, exec_lo, s24
	s_cbranch_vccnz .LBB95_623
; %bb.621:
	v_mul_hi_u32 v2, s13, v11
	s_and_not1_b32 vcc_lo, exec_lo, s38
	s_delay_alu instid0(VALU_DEP_1) | instskip(NEXT) | instid1(VALU_DEP_1)
	v_add_nc_u32_e32 v2, v11, v2
	v_lshrrev_b32_e32 v3, s14, v2
	s_delay_alu instid0(VALU_DEP_1) | instskip(NEXT) | instid1(VALU_DEP_1)
	v_mul_lo_u32 v2, v3, s12
	v_sub_nc_u32_e32 v2, v11, v2
	s_delay_alu instid0(VALU_DEP_1)
	v_mul_lo_u32 v2, v2, s20
	s_cbranch_vccnz .LBB95_623
; %bb.622:
	v_mul_hi_u32 v5, s22, v3
	s_delay_alu instid0(VALU_DEP_1) | instskip(NEXT) | instid1(VALU_DEP_1)
	v_add_nc_u32_e32 v5, v3, v5
	v_lshrrev_b32_e32 v5, s23, v5
	s_delay_alu instid0(VALU_DEP_1) | instskip(NEXT) | instid1(VALU_DEP_1)
	v_mul_lo_u32 v5, v5, s15
	v_sub_nc_u32_e32 v3, v3, v5
	s_delay_alu instid0(VALU_DEP_1) | instskip(NEXT) | instid1(VALU_DEP_1)
	v_mad_u64_u32 v[5:6], null, v3, s21, v[2:3]
	v_mov_b32_e32 v2, v5
.LBB95_623:
	v_cmp_gt_i16_e32 vcc_lo, 11, v8
	s_delay_alu instid0(VALU_DEP_2) | instskip(NEXT) | instid1(VALU_DEP_1)
	v_add_co_u32 v6, s12, s18, v2
	v_add_co_ci_u32_e64 v7, null, s19, 0, s12
	s_mov_b32 s14, 0
	s_mov_b32 s13, -1
	s_mov_b32 s12, s28
	s_cbranch_vccnz .LBB95_673
; %bb.624:
	v_cmp_lt_i16_e32 vcc_lo, 25, v8
	s_mov_b32 s12, s28
	s_cbranch_vccz .LBB95_652
; %bb.625:
	v_cmp_lt_i16_e32 vcc_lo, 28, v8
	s_mov_b32 s12, s28
	s_cbranch_vccz .LBB95_639
	;; [unrolled: 4-line block ×4, first 2 shown]
; %bb.628:
	v_cmp_eq_u16_e32 vcc_lo, 46, v8
	s_mov_b32 s12, -1
	s_cbranch_vccz .LBB95_630
; %bb.629:
	s_mov_b32 s12, 0
	global_store_b32 v[6:7], v13, off
.LBB95_630:
	s_mov_b32 s13, 0
.LBB95_631:
	s_delay_alu instid0(SALU_CYCLE_1)
	s_and_b32 vcc_lo, exec_lo, s13
	s_cbranch_vccz .LBB95_634
; %bb.632:
	v_cmp_eq_u16_e32 vcc_lo, 44, v8
	s_mov_b32 s12, -1
	s_cbranch_vccz .LBB95_634
; %bb.633:
	v_cndmask_b32_e64 v2, v24, 0xff, s10
	s_mov_b32 s12, 0
	global_store_b8 v[6:7], v2, off
.LBB95_634:
	s_mov_b32 s13, 0
.LBB95_635:
	s_delay_alu instid0(SALU_CYCLE_1)
	s_and_b32 vcc_lo, exec_lo, s13
	s_cbranch_vccz .LBB95_638
; %bb.636:
	v_cmp_eq_u16_e32 vcc_lo, 29, v8
	s_mov_b32 s12, -1
	s_cbranch_vccz .LBB95_638
; %bb.637:
	v_dual_mov_b32 v2, s16 :: v_dual_mov_b32 v3, s17
	s_mov_b32 s12, 0
	global_store_b64 v[6:7], v[2:3], off
.LBB95_638:
	s_mov_b32 s13, 0
.LBB95_639:
	s_delay_alu instid0(SALU_CYCLE_1)
	s_and_b32 vcc_lo, exec_lo, s13
	s_cbranch_vccz .LBB95_651
; %bb.640:
	v_cmp_gt_i16_e32 vcc_lo, 27, v8
	s_mov_b32 s10, -1
	s_cbranch_vccnz .LBB95_646
; %bb.641:
	v_cmp_lt_i16_e32 vcc_lo, 27, v8
	s_cbranch_vccz .LBB95_643
; %bb.642:
	v_mov_b32_e32 v2, s16
	s_mov_b32 s10, 0
	global_store_b32 v[6:7], v2, off
.LBB95_643:
	s_and_not1_b32 vcc_lo, exec_lo, s10
	s_cbranch_vccnz .LBB95_645
; %bb.644:
	global_store_b16 v[6:7], v9, off
.LBB95_645:
	s_mov_b32 s10, 0
.LBB95_646:
	s_delay_alu instid0(SALU_CYCLE_1)
	s_and_not1_b32 vcc_lo, exec_lo, s10
	s_cbranch_vccnz .LBB95_651
; %bb.647:
	v_mov_b32_e32 v2, 0x80
	s_and_not1_b32 vcc_lo, exec_lo, s9
	s_cbranch_vccnz .LBB95_650
; %bb.648:
	v_mov_b32_e32 v2, 0
	s_or_b32 s9, s8, s37
	s_delay_alu instid0(SALU_CYCLE_1)
	s_and_not1_b32 vcc_lo, exec_lo, s9
	s_cbranch_vccnz .LBB95_650
; %bb.649:
	v_cndmask_b32_e64 v2, v22, v23, s8
.LBB95_650:
	global_store_b8 v[6:7], v2, off
.LBB95_651:
	s_mov_b32 s13, 0
.LBB95_652:
	s_delay_alu instid0(SALU_CYCLE_1)
	s_and_b32 vcc_lo, exec_lo, s13
	s_mov_b32 s13, 0
	s_cbranch_vccz .LBB95_673
; %bb.653:
	v_cmp_lt_i16_e32 vcc_lo, 22, v8
	s_mov_b32 s8, -1
	s_cbranch_vccz .LBB95_666
; %bb.654:
	v_cmp_gt_i16_e32 vcc_lo, 24, v8
	s_cbranch_vccnz .LBB95_663
; %bb.655:
	v_cmp_lt_i16_e32 vcc_lo, 24, v8
	s_cbranch_vccz .LBB95_660
; %bb.656:
	v_mov_b32_e32 v2, 0x80
	s_and_not1_b32 vcc_lo, exec_lo, s7
	s_cbranch_vccnz .LBB95_659
; %bb.657:
	v_mov_b32_e32 v2, 0
	s_or_b32 s7, s6, s36
	s_delay_alu instid0(SALU_CYCLE_1)
	s_and_not1_b32 vcc_lo, exec_lo, s7
	s_cbranch_vccnz .LBB95_659
; %bb.658:
	v_cndmask_b32_e64 v2, v14, v21, s6
.LBB95_659:
	s_mov_b32 s8, 0
	global_store_b8 v[6:7], v2, off
.LBB95_660:
	s_and_b32 vcc_lo, exec_lo, s8
	s_cbranch_vccz .LBB95_662
; %bb.661:
	v_cndmask_b32_e64 v2, v18, v19, s5
	s_delay_alu instid0(VALU_DEP_1)
	v_cndmask_b32_e64 v2, v2, v20, s4
	global_store_b8 v[6:7], v2, off
.LBB95_662:
	s_mov_b32 s8, 0
.LBB95_663:
	s_delay_alu instid0(SALU_CYCLE_1)
	s_and_not1_b32 vcc_lo, exec_lo, s8
	s_cbranch_vccnz .LBB95_665
; %bb.664:
	v_cndmask_b32_e64 v2, v15, v16, s3
	s_delay_alu instid0(VALU_DEP_1)
	v_cndmask_b32_e64 v2, v2, v17, s2
	global_store_b8 v[6:7], v2, off
.LBB95_665:
	s_mov_b32 s8, 0
.LBB95_666:
	s_delay_alu instid0(SALU_CYCLE_1)
	s_and_not1_b32 vcc_lo, exec_lo, s8
	s_cbranch_vccnz .LBB95_673
; %bb.667:
	v_cmp_lt_i16_e32 vcc_lo, 14, v8
	s_mov_b32 s2, -1
	s_cbranch_vccz .LBB95_671
; %bb.668:
	v_cmp_eq_u16_e32 vcc_lo, 15, v8
	s_mov_b32 s12, -1
	s_cbranch_vccz .LBB95_670
; %bb.669:
	s_mov_b32 s12, 0
	global_store_b16 v[6:7], v13, off
.LBB95_670:
	s_mov_b32 s2, 0
.LBB95_671:
	s_delay_alu instid0(SALU_CYCLE_1)
	s_and_b32 vcc_lo, exec_lo, s2
	s_cbranch_vccz .LBB95_673
; %bb.672:
	v_cmp_ne_u16_e32 vcc_lo, 11, v8
	s_and_not1_b32 s2, s12, exec_lo
	s_mov_b32 s14, -1
	s_and_b32 s3, vcc_lo, exec_lo
	s_delay_alu instid0(SALU_CYCLE_1)
	s_or_b32 s12, s2, s3
.LBB95_673:
	s_and_not1_b32 s2, s28, exec_lo
	s_and_b32 s3, s12, exec_lo
	s_and_b32 s27, s13, exec_lo
	;; [unrolled: 1-line block ×3, first 2 shown]
	s_or_b32 s46, s2, s3
.LBB95_674:
	s_or_b32 exec_lo, exec_lo, s39
	s_delay_alu instid0(SALU_CYCLE_1)
	s_and_not1_b32 s2, s28, exec_lo
	s_and_b32 s3, s46, exec_lo
	s_and_b32 s27, s27, exec_lo
	;; [unrolled: 1-line block ×3, first 2 shown]
	s_or_b32 s28, s2, s3
.LBB95_675:
	s_or_b32 exec_lo, exec_lo, s29
	s_delay_alu instid0(SALU_CYCLE_1)
	s_and_not1_b32 s2, s44, exec_lo
	s_and_b32 s3, s28, exec_lo
	s_and_b32 s27, s27, exec_lo
	;; [unrolled: 1-line block ×3, first 2 shown]
	s_or_b32 s44, s2, s3
.LBB95_676:
	s_or_b32 exec_lo, exec_lo, s45
	s_delay_alu instid0(SALU_CYCLE_1)
	s_and_not1_b32 s2, s42, exec_lo
	s_and_b32 s3, s44, exec_lo
	s_and_b32 s27, s27, exec_lo
	;; [unrolled: 1-line block ×3, first 2 shown]
	s_or_b32 s42, s2, s3
	s_or_b32 exec_lo, exec_lo, s43
	s_mov_b32 s2, 0
	s_and_saveexec_b32 s3, s42
	s_cbranch_execz .LBB95_118
.LBB95_677:
	s_cbranch_execnz .LBB95_679
; %bb.678:
	s_mov_b32 s2, exec_lo
	s_and_not1_b32 s44, s44, exec_lo
	s_or_b32 exec_lo, exec_lo, s3
	s_and_saveexec_b32 s3, s44
	s_delay_alu instid0(SALU_CYCLE_1)
	s_xor_b32 s3, exec_lo, s3
	s_cbranch_execnz .LBB95_119
	s_branch .LBB95_120
.LBB95_679:
	s_trap 2
	s_sendmsg_rtn_b32 s0, sendmsg(MSG_RTN_GET_DOORBELL)
	s_mov_b32 ttmp2, m0
	s_waitcnt lgkmcnt(0)
	s_and_b32 s0, s0, 0x3ff
	s_delay_alu instid0(SALU_CYCLE_1) | instskip(NEXT) | instid1(SALU_CYCLE_1)
	s_bitset1_b32 s0, 10
	s_mov_b32 m0, s0
	s_sendmsg sendmsg(MSG_INTERRUPT)
	s_mov_b32 m0, ttmp2
.LBB95_680:                             ; =>This Inner Loop Header: Depth=1
	s_sethalt 5
	s_branch .LBB95_680
.LBB95_681:
	s_mov_b32 s9, -1
	s_mov_b32 s8, 0
                                        ; implicit-def: $sgpr10
.LBB95_682:
	v_mov_b32_e32 v6, s10
	s_and_not1_b32 vcc_lo, exec_lo, s9
                                        ; implicit-def: $sgpr9
	s_cbranch_vccnz .LBB95_684
; %bb.683:
	v_add_f32_e32 v4, 0x42800000, v4
	s_mov_b32 s9, 0
	s_delay_alu instid0(VALU_DEP_1) | instskip(NEXT) | instid1(VALU_DEP_1)
	v_and_b32_e32 v6, 0xff, v4
	v_cmp_ne_u32_e64 s8, 0, v6
.LBB95_684:
	v_mov_b32_e32 v7, s9
	s_delay_alu instid0(VALU_DEP_2)
	s_and_not1_b32 vcc_lo, exec_lo, s8
	s_cbranch_vccnz .LBB95_686
; %bb.685:
	v_mov_b32_e32 v7, v6
.LBB95_686:
	s_mov_b32 s8, 0
	global_store_b8 v[2:3], v7, off
.LBB95_687:
	s_and_b32 vcc_lo, exec_lo, s8
	s_cbranch_vccz .LBB95_699
; %bb.688:
	v_cndmask_b32_e64 v4, 0, 1.0, s3
	s_delay_alu instid0(VALU_DEP_1)
	v_cmp_gt_u32_e32 vcc_lo, 0x43f00000, v4
	v_readfirstlane_b32 s8, v4
	s_cbranch_vccz .LBB95_691
; %bb.689:
	s_delay_alu instid0(VALU_DEP_1)
	s_cmp_gt_u32 s8, 0x3c7fffff
	s_cbranch_scc0 .LBB95_692
; %bb.690:
	s_bfe_u32 s9, s8, 0x10014
	s_delay_alu instid0(SALU_CYCLE_1) | instskip(NEXT) | instid1(SALU_CYCLE_1)
	s_add_i32 s9, s8, s9
	s_add_i32 s9, s9, 0x407ffff
	s_delay_alu instid0(SALU_CYCLE_1)
	s_and_b32 s10, s9, 0xff00000
	s_lshr_b32 s9, s9, 20
	s_cmp_lg_u32 s10, 0x7f00000
	s_cselect_b32 s10, s9, 0x7e
	s_mov_b32 s9, 0
	s_branch .LBB95_693
.LBB95_691:
	s_mov_b32 s9, -1
                                        ; implicit-def: $vgpr6
	s_branch .LBB95_696
.LBB95_692:
	s_mov_b32 s9, -1
                                        ; implicit-def: $sgpr10
.LBB95_693:
	v_mov_b32_e32 v6, s10
	s_and_not1_b32 vcc_lo, exec_lo, s9
	s_cbranch_vccnz .LBB95_695
; %bb.694:
	v_add_f32_e32 v6, 0x46800000, v4
.LBB95_695:
	s_mov_b32 s9, 0
.LBB95_696:
	s_delay_alu instid0(SALU_CYCLE_1)
	s_and_not1_b32 vcc_lo, exec_lo, s9
	s_cbranch_vccnz .LBB95_698
; %bb.697:
	s_cmp_gt_u32 s8, 0x7f800000
	s_movk_i32 s8, 0x7f
	s_delay_alu instid0(SALU_CYCLE_1) | instskip(NEXT) | instid1(SALU_CYCLE_1)
	s_cselect_b32 s8, s8, 0x7e
	v_mov_b32_e32 v6, s8
.LBB95_698:
	global_store_b8 v[2:3], v6, off
.LBB95_699:
	s_mov_b32 s8, 0
.LBB95_700:
	s_delay_alu instid0(SALU_CYCLE_1)
	s_and_not1_b32 vcc_lo, exec_lo, s8
	s_cbranch_vccnz .LBB95_712
; %bb.701:
	v_cndmask_b32_e64 v4, 0, 1.0, s3
	s_delay_alu instid0(VALU_DEP_1)
	v_cmp_gt_u32_e32 vcc_lo, 0x47800000, v4
	v_readfirstlane_b32 s8, v4
	s_cbranch_vccz .LBB95_704
; %bb.702:
	s_delay_alu instid0(VALU_DEP_1)
	s_cmp_gt_u32 s8, 0x387fffff
	s_cbranch_scc0 .LBB95_705
; %bb.703:
	s_bfe_u32 s9, s8, 0x10015
	s_delay_alu instid0(SALU_CYCLE_1) | instskip(NEXT) | instid1(SALU_CYCLE_1)
	s_add_i32 s9, s8, s9
	s_add_i32 s9, s9, 0x80fffff
	s_delay_alu instid0(SALU_CYCLE_1)
	s_lshr_b32 s10, s9, 21
	s_mov_b32 s9, 0
	s_branch .LBB95_706
.LBB95_704:
	s_mov_b32 s9, -1
                                        ; implicit-def: $vgpr6
	s_branch .LBB95_709
.LBB95_705:
	s_mov_b32 s9, -1
                                        ; implicit-def: $sgpr10
.LBB95_706:
	v_mov_b32_e32 v6, s10
	s_and_not1_b32 vcc_lo, exec_lo, s9
	s_cbranch_vccnz .LBB95_708
; %bb.707:
	v_add_f32_e32 v6, 0x43000000, v4
.LBB95_708:
	s_mov_b32 s9, 0
.LBB95_709:
	s_delay_alu instid0(SALU_CYCLE_1)
	s_and_not1_b32 vcc_lo, exec_lo, s9
	s_cbranch_vccnz .LBB95_711
; %bb.710:
	s_cmp_gt_u32 s8, 0x7f800000
	s_movk_i32 s8, 0x7f
	s_delay_alu instid0(SALU_CYCLE_1) | instskip(NEXT) | instid1(SALU_CYCLE_1)
	s_cselect_b32 s8, s8, 0x7c
	v_mov_b32_e32 v6, s8
.LBB95_711:
	global_store_b8 v[2:3], v6, off
.LBB95_712:
	s_mov_b32 s8, 0
	s_mov_b32 s9, -1
.LBB95_713:
	s_and_not1_b32 vcc_lo, exec_lo, s8
	s_mov_b32 s8, 0
	s_cbranch_vccnz .LBB95_720
; %bb.714:
	v_cmp_lt_i16_e32 vcc_lo, 14, v5
	s_mov_b32 s8, -1
	s_cbranch_vccz .LBB95_718
; %bb.715:
	v_cmp_eq_u16_e32 vcc_lo, 15, v5
	s_mov_b32 s5, -1
	s_cbranch_vccz .LBB95_717
; %bb.716:
	v_cndmask_b32_e64 v4, 0, 1.0, s3
	s_mov_b32 s5, 0
	s_mov_b32 s9, -1
	s_delay_alu instid0(VALU_DEP_1) | instskip(NEXT) | instid1(VALU_DEP_1)
	v_bfe_u32 v6, v4, 16, 1
	v_add_nc_u32_e32 v4, v4, v6
	s_delay_alu instid0(VALU_DEP_1)
	v_add_nc_u32_e32 v4, 0x7fff, v4
	global_store_d16_hi_b16 v[2:3], v4, off
.LBB95_717:
	s_mov_b32 s8, 0
.LBB95_718:
	s_delay_alu instid0(SALU_CYCLE_1)
	s_and_b32 vcc_lo, exec_lo, s8
	s_mov_b32 s8, 0
	s_cbranch_vccz .LBB95_720
; %bb.719:
	v_cmp_ne_u16_e64 s5, 11, v5
	s_mov_b32 s8, -1
.LBB95_720:
	s_delay_alu instid0(VALU_DEP_1)
	s_and_b32 vcc_lo, exec_lo, s5
	s_cbranch_vccnz .LBB95_792
; %bb.721:
	s_and_not1_b32 vcc_lo, exec_lo, s8
	s_cbranch_vccnz .LBB95_723
.LBB95_722:
	v_mov_b32_e32 v4, s2
	s_mov_b32 s9, -1
	global_store_b8 v[2:3], v4, off
.LBB95_723:
	s_mov_b32 s5, 0
.LBB95_724:
	s_delay_alu instid0(SALU_CYCLE_1)
	s_and_b32 vcc_lo, exec_lo, s5
	s_cbranch_vccz .LBB95_763
; %bb.725:
	v_cmp_gt_i16_e32 vcc_lo, 5, v5
	s_mov_b32 s5, -1
	s_cbranch_vccnz .LBB95_746
; %bb.726:
	v_cmp_gt_i16_e32 vcc_lo, 8, v5
	s_cbranch_vccnz .LBB95_736
; %bb.727:
	v_cmp_gt_i16_e32 vcc_lo, 9, v5
	s_cbranch_vccnz .LBB95_733
; %bb.728:
	v_cmp_lt_i16_e32 vcc_lo, 9, v5
	s_cbranch_vccz .LBB95_730
; %bb.729:
	v_cndmask_b32_e64 v4, 0, 1, s3
	v_mov_b32_e32 v8, 0
	s_mov_b32 s5, 0
	s_delay_alu instid0(VALU_DEP_2) | instskip(NEXT) | instid1(VALU_DEP_2)
	v_cvt_f64_u32_e32 v[6:7], v4
	v_mov_b32_e32 v9, v8
	global_store_b128 v[2:3], v[6:9], off
.LBB95_730:
	s_and_not1_b32 vcc_lo, exec_lo, s5
	s_cbranch_vccnz .LBB95_732
; %bb.731:
	v_cndmask_b32_e64 v6, 0, 1.0, s3
	v_mov_b32_e32 v7, 0
	global_store_b64 v[2:3], v[6:7], off
.LBB95_732:
	s_mov_b32 s5, 0
.LBB95_733:
	s_delay_alu instid0(SALU_CYCLE_1)
	s_and_not1_b32 vcc_lo, exec_lo, s5
	s_cbranch_vccnz .LBB95_735
; %bb.734:
	v_cndmask_b32_e64 v4, 0, 1.0, s3
	s_delay_alu instid0(VALU_DEP_1) | instskip(NEXT) | instid1(VALU_DEP_1)
	v_cvt_f16_f32_e32 v4, v4
	v_and_b32_e32 v4, 0xffff, v4
	global_store_b32 v[2:3], v4, off
.LBB95_735:
	s_mov_b32 s5, 0
.LBB95_736:
	s_delay_alu instid0(SALU_CYCLE_1)
	s_and_not1_b32 vcc_lo, exec_lo, s5
	s_cbranch_vccnz .LBB95_745
; %bb.737:
	v_cmp_gt_i16_e32 vcc_lo, 6, v5
	s_mov_b32 s5, -1
	s_cbranch_vccnz .LBB95_743
; %bb.738:
	v_cmp_lt_i16_e32 vcc_lo, 6, v5
	s_cbranch_vccz .LBB95_740
; %bb.739:
	v_cndmask_b32_e64 v4, 0, 1, s3
	s_mov_b32 s5, 0
	s_delay_alu instid0(VALU_DEP_1)
	v_cvt_f64_u32_e32 v[6:7], v4
	global_store_b64 v[2:3], v[6:7], off
.LBB95_740:
	s_and_not1_b32 vcc_lo, exec_lo, s5
	s_cbranch_vccnz .LBB95_742
; %bb.741:
	v_cndmask_b32_e64 v4, 0, 1.0, s3
	global_store_b32 v[2:3], v4, off
.LBB95_742:
	s_mov_b32 s5, 0
.LBB95_743:
	s_delay_alu instid0(SALU_CYCLE_1)
	s_and_not1_b32 vcc_lo, exec_lo, s5
	s_cbranch_vccnz .LBB95_745
; %bb.744:
	v_cndmask_b32_e64 v4, 0, 1.0, s3
	s_delay_alu instid0(VALU_DEP_1)
	v_cvt_f16_f32_e32 v4, v4
	global_store_b16 v[2:3], v4, off
.LBB95_745:
	s_mov_b32 s5, 0
.LBB95_746:
	s_delay_alu instid0(SALU_CYCLE_1)
	s_and_not1_b32 vcc_lo, exec_lo, s5
	s_cbranch_vccnz .LBB95_762
; %bb.747:
	v_cmp_gt_i16_e32 vcc_lo, 2, v5
	s_mov_b32 s5, -1
	s_cbranch_vccnz .LBB95_757
; %bb.748:
	v_cmp_gt_i16_e32 vcc_lo, 3, v5
	s_cbranch_vccnz .LBB95_754
; %bb.749:
	v_cmp_lt_i16_e32 vcc_lo, 3, v5
	s_cbranch_vccz .LBB95_751
; %bb.750:
	s_and_b32 s5, s2, 0xff
	s_delay_alu instid0(SALU_CYCLE_1)
	v_dual_mov_b32 v7, 0 :: v_dual_mov_b32 v6, s5
	s_mov_b32 s5, 0
	global_store_b64 v[2:3], v[6:7], off
.LBB95_751:
	s_and_not1_b32 vcc_lo, exec_lo, s5
	s_cbranch_vccnz .LBB95_753
; %bb.752:
	s_and_b32 s5, s2, 0xff
	s_delay_alu instid0(SALU_CYCLE_1)
	v_mov_b32_e32 v4, s5
	global_store_b32 v[2:3], v4, off
.LBB95_753:
	s_mov_b32 s5, 0
.LBB95_754:
	s_delay_alu instid0(SALU_CYCLE_1)
	s_and_not1_b32 vcc_lo, exec_lo, s5
	s_cbranch_vccnz .LBB95_756
; %bb.755:
	v_and_b32_e64 v4, 0xff, s2
	global_store_b16 v[2:3], v4, off
.LBB95_756:
	s_mov_b32 s5, 0
.LBB95_757:
	s_delay_alu instid0(SALU_CYCLE_1)
	s_and_not1_b32 vcc_lo, exec_lo, s5
	s_cbranch_vccnz .LBB95_762
; %bb.758:
	v_cmp_lt_i16_e32 vcc_lo, 0, v5
	s_mov_b32 s5, -1
	s_cbranch_vccz .LBB95_760
; %bb.759:
	v_mov_b32_e32 v4, s2
	s_mov_b32 s5, 0
	global_store_b8 v[2:3], v4, off
.LBB95_760:
	s_and_not1_b32 vcc_lo, exec_lo, s5
	s_cbranch_vccnz .LBB95_762
; %bb.761:
	v_mov_b32_e32 v4, s2
	global_store_b8 v[2:3], v4, off
.LBB95_762:
	s_mov_b32 s9, -1
.LBB95_763:
	s_delay_alu instid0(SALU_CYCLE_1)
	s_and_not1_b32 vcc_lo, exec_lo, s9
	s_cbranch_vccnz .LBB95_923
; %bb.764:
	v_cmp_gt_i16_e32 vcc_lo, 11, v5
	v_add_co_u32 v1, s5, s0, v1
	s_delay_alu instid0(VALU_DEP_1)
	v_add_co_ci_u32_e64 v2, null, s1, 0, s5
	s_mov_b32 s9, 0
	s_mov_b32 s5, -1
	s_cbranch_vccnz .LBB95_854
; %bb.765:
	v_cmp_lt_i16_e32 vcc_lo, 25, v5
	s_mov_b32 s10, -1
	s_mov_b32 s8, 0
	s_mov_b32 s5, 0
	s_cbranch_vccz .LBB95_804
; %bb.766:
	v_cmp_lt_i16_e32 vcc_lo, 28, v5
	s_cbranch_vccz .LBB95_781
; %bb.767:
	v_cmp_lt_i16_e32 vcc_lo, 43, v5
	;; [unrolled: 3-line block ×3, first 2 shown]
	s_cbranch_vccz .LBB95_771
; %bb.769:
	v_cmp_eq_u16_e32 vcc_lo, 46, v5
	s_mov_b32 s5, -1
	s_mov_b32 s10, 0
	s_cbranch_vccz .LBB95_771
; %bb.770:
	v_cndmask_b32_e64 v3, 0, 1.0, s3
	s_mov_b32 s5, 0
	s_mov_b32 s9, -1
	s_delay_alu instid0(VALU_DEP_1) | instskip(NEXT) | instid1(VALU_DEP_1)
	v_bfe_u32 v4, v3, 16, 1
	v_add_nc_u32_e32 v3, v3, v4
	s_delay_alu instid0(VALU_DEP_1) | instskip(NEXT) | instid1(VALU_DEP_1)
	v_add_nc_u32_e32 v3, 0x7fff, v3
	v_lshrrev_b32_e32 v3, 16, v3
	global_store_b32 v[1:2], v3, off
.LBB95_771:
	s_and_b32 vcc_lo, exec_lo, s10
	s_cbranch_vccz .LBB95_776
; %bb.772:
	v_cmp_eq_u16_e32 vcc_lo, 44, v5
	s_mov_b32 s5, -1
	s_cbranch_vccz .LBB95_776
; %bb.773:
	v_cndmask_b32_e64 v3, 0, 1.0, s3
	s_delay_alu instid0(VALU_DEP_1) | instskip(SKIP_1) | instid1(VALU_DEP_2)
	v_readfirstlane_b32 s9, v3
	v_mov_b32_e32 v3, 0xff
	s_lshr_b32 s5, s9, 23
	s_delay_alu instid0(SALU_CYCLE_1)
	s_cmpk_eq_i32 s5, 0xff
	s_cbranch_scc1 .LBB95_775
; %bb.774:
	s_bitcmp1_b32 s9, 22
	s_cselect_b32 s10, -1, 0
	s_and_b32 s9, s9, 0x3fffff
	s_delay_alu instid0(SALU_CYCLE_1) | instskip(NEXT) | instid1(SALU_CYCLE_1)
	s_or_b32 s9, s5, s9
	s_cmp_lg_u32 s9, 0
	s_cselect_b32 s9, -1, 0
	s_delay_alu instid0(SALU_CYCLE_1) | instskip(NEXT) | instid1(SALU_CYCLE_1)
	s_and_b32 s9, s10, s9
	v_cndmask_b32_e64 v3, 0, 1, s9
	s_delay_alu instid0(VALU_DEP_1)
	v_add_nc_u32_e32 v3, s5, v3
.LBB95_775:
	s_mov_b32 s5, 0
	s_mov_b32 s9, -1
	global_store_b8 v[1:2], v3, off
.LBB95_776:
	s_mov_b32 s10, 0
.LBB95_777:
	s_delay_alu instid0(SALU_CYCLE_1)
	s_and_b32 vcc_lo, exec_lo, s10
	s_cbranch_vccz .LBB95_780
; %bb.778:
	v_cmp_eq_u16_e32 vcc_lo, 29, v5
	s_mov_b32 s5, -1
	s_cbranch_vccz .LBB95_780
; %bb.779:
	s_and_b32 s5, s2, 0xff
	s_mov_b32 s9, -1
	v_dual_mov_b32 v3, s5 :: v_dual_mov_b32 v4, 0
	s_mov_b32 s5, 0
	global_store_b64 v[1:2], v[3:4], off
.LBB95_780:
	s_mov_b32 s10, 0
.LBB95_781:
	s_delay_alu instid0(SALU_CYCLE_1)
	s_and_b32 vcc_lo, exec_lo, s10
	s_cbranch_vccz .LBB95_803
; %bb.782:
	v_cmp_gt_i16_e32 vcc_lo, 27, v5
	s_mov_b32 s9, -1
	s_cbranch_vccnz .LBB95_788
; %bb.783:
	v_cmp_lt_i16_e32 vcc_lo, 27, v5
	s_cbranch_vccz .LBB95_785
; %bb.784:
	s_and_b32 s9, s2, 0xff
	s_delay_alu instid0(SALU_CYCLE_1)
	v_mov_b32_e32 v3, s9
	s_mov_b32 s9, 0
	global_store_b32 v[1:2], v3, off
.LBB95_785:
	s_and_not1_b32 vcc_lo, exec_lo, s9
	s_cbranch_vccnz .LBB95_787
; %bb.786:
	v_and_b32_e64 v3, 0xff, s2
	global_store_b16 v[1:2], v3, off
.LBB95_787:
	s_mov_b32 s9, 0
.LBB95_788:
	s_delay_alu instid0(SALU_CYCLE_1)
	s_and_not1_b32 vcc_lo, exec_lo, s9
	s_cbranch_vccnz .LBB95_802
; %bb.789:
	v_cndmask_b32_e64 v3, 0, 1.0, s3
	v_mov_b32_e32 v6, 0x80
	s_delay_alu instid0(VALU_DEP_2)
	v_cmp_lt_u32_e32 vcc_lo, 0x437fffff, v3
	v_readfirstlane_b32 s9, v3
	s_cbranch_vccnz .LBB95_801
; %bb.790:
	s_delay_alu instid0(VALU_DEP_1)
	s_cmp_gt_u32 s9, 0x3bffffff
	s_cbranch_scc0 .LBB95_796
; %bb.791:
	s_bfe_u32 s10, s9, 0x10014
	s_delay_alu instid0(SALU_CYCLE_1) | instskip(SKIP_2) | instid1(SALU_CYCLE_1)
	s_add_i32 s9, s9, s10
	s_mov_b32 s10, 0
	s_add_i32 s9, s9, 0x487ffff
	s_lshr_b32 s11, s9, 20
	s_mov_b32 s9, -1
	s_branch .LBB95_797
.LBB95_792:
	s_cbranch_execnz .LBB95_794
; %bb.793:
	s_or_b32 s4, s4, exec_lo
	s_cbranch_execz .LBB95_722
	s_branch .LBB95_723
.LBB95_794:
	s_trap 2
	s_sendmsg_rtn_b32 s0, sendmsg(MSG_RTN_GET_DOORBELL)
	s_mov_b32 ttmp2, m0
	s_waitcnt lgkmcnt(0)
	s_and_b32 s0, s0, 0x3ff
	s_delay_alu instid0(SALU_CYCLE_1) | instskip(NEXT) | instid1(SALU_CYCLE_1)
	s_bitset1_b32 s0, 10
	s_mov_b32 m0, s0
	s_sendmsg sendmsg(MSG_INTERRUPT)
	s_mov_b32 m0, ttmp2
.LBB95_795:                             ; =>This Inner Loop Header: Depth=1
	s_sethalt 5
	s_branch .LBB95_795
.LBB95_796:
	s_mov_b32 s10, -1
	s_mov_b32 s9, 0
                                        ; implicit-def: $sgpr11
.LBB95_797:
	v_mov_b32_e32 v4, s11
	s_and_not1_b32 vcc_lo, exec_lo, s10
                                        ; implicit-def: $sgpr10
	s_cbranch_vccnz .LBB95_799
; %bb.798:
	v_add_f32_e32 v3, 0x46000000, v3
	s_mov_b32 s10, 0
	s_delay_alu instid0(VALU_DEP_1) | instskip(NEXT) | instid1(VALU_DEP_1)
	v_and_b32_e32 v4, 0xff, v3
	v_cmp_ne_u32_e64 s9, 0, v4
.LBB95_799:
	v_mov_b32_e32 v6, s10
	s_delay_alu instid0(VALU_DEP_2)
	s_and_not1_b32 vcc_lo, exec_lo, s9
	s_cbranch_vccnz .LBB95_801
; %bb.800:
	v_mov_b32_e32 v6, v4
.LBB95_801:
	global_store_b8 v[1:2], v6, off
.LBB95_802:
	s_mov_b32 s9, -1
.LBB95_803:
	s_mov_b32 s10, 0
.LBB95_804:
	s_delay_alu instid0(SALU_CYCLE_1)
	s_and_b32 vcc_lo, exec_lo, s10
	s_cbranch_vccz .LBB95_850
; %bb.805:
	v_cmp_lt_i16_e32 vcc_lo, 22, v5
	s_mov_b32 s8, -1
	s_cbranch_vccz .LBB95_843
; %bb.806:
	v_cmp_gt_i16_e32 vcc_lo, 24, v5
	s_cbranch_vccnz .LBB95_830
; %bb.807:
	v_cmp_lt_i16_e32 vcc_lo, 24, v5
	s_cbranch_vccz .LBB95_817
; %bb.808:
	v_cndmask_b32_e64 v3, 0, 1.0, s3
	v_mov_b32_e32 v6, 0x80
	s_delay_alu instid0(VALU_DEP_2)
	v_cmp_lt_u32_e32 vcc_lo, 0x477fffff, v3
	v_readfirstlane_b32 s8, v3
	s_cbranch_vccnz .LBB95_816
; %bb.809:
	s_delay_alu instid0(VALU_DEP_1)
	s_cmp_gt_u32 s8, 0x37ffffff
	s_cbranch_scc0 .LBB95_811
; %bb.810:
	s_bfe_u32 s9, s8, 0x10015
	s_delay_alu instid0(SALU_CYCLE_1) | instskip(SKIP_2) | instid1(SALU_CYCLE_1)
	s_add_i32 s8, s8, s9
	s_mov_b32 s9, 0
	s_add_i32 s8, s8, 0x88fffff
	s_lshr_b32 s10, s8, 21
	s_mov_b32 s8, -1
	s_branch .LBB95_812
.LBB95_811:
	s_mov_b32 s9, -1
	s_mov_b32 s8, 0
                                        ; implicit-def: $sgpr10
.LBB95_812:
	v_mov_b32_e32 v4, s10
	s_and_not1_b32 vcc_lo, exec_lo, s9
                                        ; implicit-def: $sgpr9
	s_cbranch_vccnz .LBB95_814
; %bb.813:
	v_add_f32_e32 v3, 0x42800000, v3
	s_mov_b32 s9, 0
	s_delay_alu instid0(VALU_DEP_1) | instskip(NEXT) | instid1(VALU_DEP_1)
	v_and_b32_e32 v4, 0xff, v3
	v_cmp_ne_u32_e64 s8, 0, v4
.LBB95_814:
	v_mov_b32_e32 v6, s9
	s_delay_alu instid0(VALU_DEP_2)
	s_and_not1_b32 vcc_lo, exec_lo, s8
	s_cbranch_vccnz .LBB95_816
; %bb.815:
	v_mov_b32_e32 v6, v4
.LBB95_816:
	s_mov_b32 s8, 0
	global_store_b8 v[1:2], v6, off
.LBB95_817:
	s_and_b32 vcc_lo, exec_lo, s8
	s_cbranch_vccz .LBB95_829
; %bb.818:
	v_cndmask_b32_e64 v3, 0, 1.0, s3
	s_delay_alu instid0(VALU_DEP_1)
	v_cmp_gt_u32_e32 vcc_lo, 0x43f00000, v3
	v_readfirstlane_b32 s8, v3
	s_cbranch_vccz .LBB95_821
; %bb.819:
	s_delay_alu instid0(VALU_DEP_1)
	s_cmp_gt_u32 s8, 0x3c7fffff
	s_cbranch_scc0 .LBB95_822
; %bb.820:
	s_bfe_u32 s9, s8, 0x10014
	s_delay_alu instid0(SALU_CYCLE_1) | instskip(NEXT) | instid1(SALU_CYCLE_1)
	s_add_i32 s9, s8, s9
	s_add_i32 s9, s9, 0x407ffff
	s_delay_alu instid0(SALU_CYCLE_1)
	s_and_b32 s10, s9, 0xff00000
	s_lshr_b32 s9, s9, 20
	s_cmp_lg_u32 s10, 0x7f00000
	s_cselect_b32 s10, s9, 0x7e
	s_mov_b32 s9, 0
	s_branch .LBB95_823
.LBB95_821:
	s_mov_b32 s9, -1
                                        ; implicit-def: $vgpr4
	s_branch .LBB95_826
.LBB95_822:
	s_mov_b32 s9, -1
                                        ; implicit-def: $sgpr10
.LBB95_823:
	v_mov_b32_e32 v4, s10
	s_and_not1_b32 vcc_lo, exec_lo, s9
	s_cbranch_vccnz .LBB95_825
; %bb.824:
	v_add_f32_e32 v4, 0x46800000, v3
.LBB95_825:
	s_mov_b32 s9, 0
.LBB95_826:
	s_delay_alu instid0(SALU_CYCLE_1)
	s_and_not1_b32 vcc_lo, exec_lo, s9
	s_cbranch_vccnz .LBB95_828
; %bb.827:
	s_cmp_gt_u32 s8, 0x7f800000
	s_movk_i32 s8, 0x7f
	s_delay_alu instid0(SALU_CYCLE_1) | instskip(NEXT) | instid1(SALU_CYCLE_1)
	s_cselect_b32 s8, s8, 0x7e
	v_mov_b32_e32 v4, s8
.LBB95_828:
	global_store_b8 v[1:2], v4, off
.LBB95_829:
	s_mov_b32 s8, 0
.LBB95_830:
	s_delay_alu instid0(SALU_CYCLE_1)
	s_and_not1_b32 vcc_lo, exec_lo, s8
	s_cbranch_vccnz .LBB95_842
; %bb.831:
	v_cndmask_b32_e64 v3, 0, 1.0, s3
	s_delay_alu instid0(VALU_DEP_1)
	v_cmp_gt_u32_e32 vcc_lo, 0x47800000, v3
	v_readfirstlane_b32 s8, v3
	s_cbranch_vccz .LBB95_834
; %bb.832:
	s_delay_alu instid0(VALU_DEP_1)
	s_cmp_gt_u32 s8, 0x387fffff
	s_cbranch_scc0 .LBB95_835
; %bb.833:
	s_bfe_u32 s9, s8, 0x10015
	s_delay_alu instid0(SALU_CYCLE_1) | instskip(NEXT) | instid1(SALU_CYCLE_1)
	s_add_i32 s9, s8, s9
	s_add_i32 s9, s9, 0x80fffff
	s_delay_alu instid0(SALU_CYCLE_1)
	s_lshr_b32 s10, s9, 21
	s_mov_b32 s9, 0
	s_branch .LBB95_836
.LBB95_834:
	s_mov_b32 s9, -1
                                        ; implicit-def: $vgpr4
	s_branch .LBB95_839
.LBB95_835:
	s_mov_b32 s9, -1
                                        ; implicit-def: $sgpr10
.LBB95_836:
	v_mov_b32_e32 v4, s10
	s_and_not1_b32 vcc_lo, exec_lo, s9
	s_cbranch_vccnz .LBB95_838
; %bb.837:
	v_add_f32_e32 v4, 0x43000000, v3
.LBB95_838:
	s_mov_b32 s9, 0
.LBB95_839:
	s_delay_alu instid0(SALU_CYCLE_1)
	s_and_not1_b32 vcc_lo, exec_lo, s9
	s_cbranch_vccnz .LBB95_841
; %bb.840:
	s_cmp_gt_u32 s8, 0x7f800000
	s_movk_i32 s8, 0x7f
	s_delay_alu instid0(SALU_CYCLE_1) | instskip(NEXT) | instid1(SALU_CYCLE_1)
	s_cselect_b32 s8, s8, 0x7c
	v_mov_b32_e32 v4, s8
.LBB95_841:
	global_store_b8 v[1:2], v4, off
.LBB95_842:
	s_mov_b32 s8, 0
	s_mov_b32 s9, -1
.LBB95_843:
	s_and_not1_b32 vcc_lo, exec_lo, s8
	s_mov_b32 s8, 0
	s_cbranch_vccnz .LBB95_850
; %bb.844:
	v_cmp_lt_i16_e32 vcc_lo, 14, v5
	s_mov_b32 s8, -1
	s_cbranch_vccz .LBB95_848
; %bb.845:
	v_cmp_eq_u16_e32 vcc_lo, 15, v5
	s_mov_b32 s5, -1
	s_cbranch_vccz .LBB95_847
; %bb.846:
	v_cndmask_b32_e64 v3, 0, 1.0, s3
	s_mov_b32 s5, 0
	s_mov_b32 s9, -1
	s_delay_alu instid0(VALU_DEP_1) | instskip(NEXT) | instid1(VALU_DEP_1)
	v_bfe_u32 v4, v3, 16, 1
	v_add_nc_u32_e32 v3, v3, v4
	s_delay_alu instid0(VALU_DEP_1)
	v_add_nc_u32_e32 v3, 0x7fff, v3
	global_store_d16_hi_b16 v[1:2], v3, off
.LBB95_847:
	s_mov_b32 s8, 0
.LBB95_848:
	s_delay_alu instid0(SALU_CYCLE_1)
	s_and_b32 vcc_lo, exec_lo, s8
	s_mov_b32 s8, 0
	s_cbranch_vccz .LBB95_850
; %bb.849:
	v_cmp_ne_u16_e64 s5, 11, v5
	s_mov_b32 s8, -1
.LBB95_850:
	s_delay_alu instid0(VALU_DEP_1)
	s_and_b32 vcc_lo, exec_lo, s5
	s_cbranch_vccnz .LBB95_968
; %bb.851:
	s_and_not1_b32 vcc_lo, exec_lo, s8
	s_cbranch_vccnz .LBB95_853
.LBB95_852:
	v_mov_b32_e32 v3, s2
	s_mov_b32 s9, -1
	global_store_b8 v[1:2], v3, off
.LBB95_853:
	s_mov_b32 s5, 0
.LBB95_854:
	s_delay_alu instid0(SALU_CYCLE_1)
	s_and_b32 vcc_lo, exec_lo, s5
	s_cbranch_vccz .LBB95_893
; %bb.855:
	v_cmp_gt_i16_e32 vcc_lo, 5, v5
	s_mov_b32 s5, -1
	s_cbranch_vccnz .LBB95_876
; %bb.856:
	v_cmp_gt_i16_e32 vcc_lo, 8, v5
	s_cbranch_vccnz .LBB95_866
; %bb.857:
	v_cmp_gt_i16_e32 vcc_lo, 9, v5
	s_cbranch_vccnz .LBB95_863
; %bb.858:
	v_cmp_lt_i16_e32 vcc_lo, 9, v5
	s_cbranch_vccz .LBB95_860
; %bb.859:
	v_cndmask_b32_e64 v3, 0, 1, s3
	v_mov_b32_e32 v8, 0
	s_mov_b32 s5, 0
	s_delay_alu instid0(VALU_DEP_2) | instskip(NEXT) | instid1(VALU_DEP_2)
	v_cvt_f64_u32_e32 v[6:7], v3
	v_mov_b32_e32 v9, v8
	global_store_b128 v[1:2], v[6:9], off
.LBB95_860:
	s_and_not1_b32 vcc_lo, exec_lo, s5
	s_cbranch_vccnz .LBB95_862
; %bb.861:
	v_cndmask_b32_e64 v3, 0, 1.0, s3
	v_mov_b32_e32 v4, 0
	global_store_b64 v[1:2], v[3:4], off
.LBB95_862:
	s_mov_b32 s5, 0
.LBB95_863:
	s_delay_alu instid0(SALU_CYCLE_1)
	s_and_not1_b32 vcc_lo, exec_lo, s5
	s_cbranch_vccnz .LBB95_865
; %bb.864:
	v_cndmask_b32_e64 v3, 0, 1.0, s3
	s_delay_alu instid0(VALU_DEP_1) | instskip(NEXT) | instid1(VALU_DEP_1)
	v_cvt_f16_f32_e32 v3, v3
	v_and_b32_e32 v3, 0xffff, v3
	global_store_b32 v[1:2], v3, off
.LBB95_865:
	s_mov_b32 s5, 0
.LBB95_866:
	s_delay_alu instid0(SALU_CYCLE_1)
	s_and_not1_b32 vcc_lo, exec_lo, s5
	s_cbranch_vccnz .LBB95_875
; %bb.867:
	v_cmp_gt_i16_e32 vcc_lo, 6, v5
	s_mov_b32 s5, -1
	s_cbranch_vccnz .LBB95_873
; %bb.868:
	v_cmp_lt_i16_e32 vcc_lo, 6, v5
	s_cbranch_vccz .LBB95_870
; %bb.869:
	v_cndmask_b32_e64 v3, 0, 1, s3
	s_mov_b32 s5, 0
	s_delay_alu instid0(VALU_DEP_1)
	v_cvt_f64_u32_e32 v[3:4], v3
	global_store_b64 v[1:2], v[3:4], off
.LBB95_870:
	s_and_not1_b32 vcc_lo, exec_lo, s5
	s_cbranch_vccnz .LBB95_872
; %bb.871:
	v_cndmask_b32_e64 v3, 0, 1.0, s3
	global_store_b32 v[1:2], v3, off
.LBB95_872:
	s_mov_b32 s5, 0
.LBB95_873:
	s_delay_alu instid0(SALU_CYCLE_1)
	s_and_not1_b32 vcc_lo, exec_lo, s5
	s_cbranch_vccnz .LBB95_875
; %bb.874:
	v_cndmask_b32_e64 v3, 0, 1.0, s3
	s_delay_alu instid0(VALU_DEP_1)
	v_cvt_f16_f32_e32 v3, v3
	global_store_b16 v[1:2], v3, off
.LBB95_875:
	s_mov_b32 s5, 0
.LBB95_876:
	s_delay_alu instid0(SALU_CYCLE_1)
	s_and_not1_b32 vcc_lo, exec_lo, s5
	s_cbranch_vccnz .LBB95_892
; %bb.877:
	v_cmp_gt_i16_e32 vcc_lo, 2, v5
	s_mov_b32 s5, -1
	s_cbranch_vccnz .LBB95_887
; %bb.878:
	v_cmp_gt_i16_e32 vcc_lo, 3, v5
	s_cbranch_vccnz .LBB95_884
; %bb.879:
	v_cmp_lt_i16_e32 vcc_lo, 3, v5
	s_cbranch_vccz .LBB95_881
; %bb.880:
	s_and_b32 s5, s2, 0xff
	s_delay_alu instid0(SALU_CYCLE_1)
	v_dual_mov_b32 v4, 0 :: v_dual_mov_b32 v3, s5
	s_mov_b32 s5, 0
	global_store_b64 v[1:2], v[3:4], off
.LBB95_881:
	s_and_not1_b32 vcc_lo, exec_lo, s5
	s_cbranch_vccnz .LBB95_883
; %bb.882:
	s_and_b32 s5, s2, 0xff
	s_delay_alu instid0(SALU_CYCLE_1)
	v_mov_b32_e32 v3, s5
	global_store_b32 v[1:2], v3, off
.LBB95_883:
	s_mov_b32 s5, 0
.LBB95_884:
	s_delay_alu instid0(SALU_CYCLE_1)
	s_and_not1_b32 vcc_lo, exec_lo, s5
	s_cbranch_vccnz .LBB95_886
; %bb.885:
	v_and_b32_e64 v3, 0xff, s2
	global_store_b16 v[1:2], v3, off
.LBB95_886:
	s_mov_b32 s5, 0
.LBB95_887:
	s_delay_alu instid0(SALU_CYCLE_1)
	s_and_not1_b32 vcc_lo, exec_lo, s5
	s_cbranch_vccnz .LBB95_892
; %bb.888:
	v_cmp_lt_i16_e32 vcc_lo, 0, v5
	s_mov_b32 s5, -1
	s_cbranch_vccz .LBB95_890
; %bb.889:
	v_mov_b32_e32 v3, s2
	s_mov_b32 s5, 0
	global_store_b8 v[1:2], v3, off
.LBB95_890:
	s_and_not1_b32 vcc_lo, exec_lo, s5
	s_cbranch_vccnz .LBB95_892
; %bb.891:
	v_mov_b32_e32 v3, s2
	global_store_b8 v[1:2], v3, off
.LBB95_892:
	s_mov_b32 s9, -1
.LBB95_893:
	s_delay_alu instid0(SALU_CYCLE_1)
	s_and_not1_b32 vcc_lo, exec_lo, s9
	s_cbranch_vccnz .LBB95_923
; %bb.894:
	v_cmp_gt_i16_e32 vcc_lo, 11, v5
	v_add_co_u32 v0, s0, s0, v0
	s_delay_alu instid0(VALU_DEP_1)
	v_add_co_ci_u32_e64 v1, null, s1, 0, s0
	s_mov_b32 s5, 0
	s_mov_b32 s0, -1
	s_cbranch_vccnz .LBB95_924
; %bb.895:
	v_cmp_lt_i16_e32 vcc_lo, 25, v5
	s_mov_b32 s1, -1
	s_mov_b32 s0, 0
	s_cbranch_vccz .LBB95_979
; %bb.896:
	v_cmp_lt_i16_e32 vcc_lo, 28, v5
	s_cbranch_vccz .LBB95_912
; %bb.897:
	v_cmp_lt_i16_e32 vcc_lo, 43, v5
	;; [unrolled: 3-line block ×3, first 2 shown]
	s_cbranch_vccz .LBB95_902
; %bb.899:
	v_cmp_eq_u16_e32 vcc_lo, 46, v5
	s_mov_b32 s0, -1
	s_cbranch_vccz .LBB95_901
; %bb.900:
	v_cndmask_b32_e64 v2, 0, 1.0, s3
	s_mov_b32 s0, 0
	s_delay_alu instid0(VALU_DEP_1) | instskip(NEXT) | instid1(VALU_DEP_1)
	v_bfe_u32 v3, v2, 16, 1
	v_add_nc_u32_e32 v2, v2, v3
	s_delay_alu instid0(VALU_DEP_1) | instskip(NEXT) | instid1(VALU_DEP_1)
	v_add_nc_u32_e32 v2, 0x7fff, v2
	v_lshrrev_b32_e32 v2, 16, v2
	global_store_b32 v[0:1], v2, off
.LBB95_901:
	s_mov_b32 s1, 0
.LBB95_902:
	s_delay_alu instid0(SALU_CYCLE_1)
	s_and_b32 vcc_lo, exec_lo, s1
	s_cbranch_vccz .LBB95_907
; %bb.903:
	v_cmp_eq_u16_e32 vcc_lo, 44, v5
	s_mov_b32 s0, -1
	s_cbranch_vccz .LBB95_907
; %bb.904:
	v_cndmask_b32_e64 v2, 0, 1.0, s3
	s_delay_alu instid0(VALU_DEP_1) | instskip(SKIP_1) | instid1(VALU_DEP_2)
	v_readfirstlane_b32 s1, v2
	v_mov_b32_e32 v2, 0xff
	s_lshr_b32 s0, s1, 23
	s_delay_alu instid0(SALU_CYCLE_1)
	s_cmpk_eq_i32 s0, 0xff
	s_cbranch_scc1 .LBB95_906
; %bb.905:
	s_bitcmp1_b32 s1, 22
	s_cselect_b32 s8, -1, 0
	s_and_b32 s1, s1, 0x3fffff
	s_delay_alu instid0(SALU_CYCLE_1) | instskip(NEXT) | instid1(SALU_CYCLE_1)
	s_or_b32 s1, s0, s1
	s_cmp_lg_u32 s1, 0
	s_cselect_b32 s1, -1, 0
	s_delay_alu instid0(SALU_CYCLE_1) | instskip(NEXT) | instid1(SALU_CYCLE_1)
	s_and_b32 s1, s8, s1
	v_cndmask_b32_e64 v2, 0, 1, s1
	s_delay_alu instid0(VALU_DEP_1)
	v_add_nc_u32_e32 v2, s0, v2
.LBB95_906:
	s_mov_b32 s0, 0
	global_store_b8 v[0:1], v2, off
.LBB95_907:
	s_mov_b32 s1, 0
.LBB95_908:
	s_delay_alu instid0(SALU_CYCLE_1)
	s_and_b32 vcc_lo, exec_lo, s1
	s_cbranch_vccz .LBB95_911
; %bb.909:
	v_cmp_eq_u16_e32 vcc_lo, 29, v5
	s_mov_b32 s0, -1
	s_cbranch_vccz .LBB95_911
; %bb.910:
	s_and_b32 s0, s2, 0xff
	s_delay_alu instid0(SALU_CYCLE_1)
	v_dual_mov_b32 v3, 0 :: v_dual_mov_b32 v2, s0
	s_mov_b32 s0, 0
	global_store_b64 v[0:1], v[2:3], off
.LBB95_911:
	s_mov_b32 s1, 0
.LBB95_912:
	s_delay_alu instid0(SALU_CYCLE_1)
	s_and_b32 vcc_lo, exec_lo, s1
	s_cbranch_vccz .LBB95_978
; %bb.913:
	v_cmp_gt_i16_e32 vcc_lo, 27, v5
	s_mov_b32 s1, -1
	s_cbranch_vccnz .LBB95_919
; %bb.914:
	v_cmp_lt_i16_e32 vcc_lo, 27, v5
	s_cbranch_vccz .LBB95_916
; %bb.915:
	s_and_b32 s1, s2, 0xff
	s_delay_alu instid0(SALU_CYCLE_1)
	v_mov_b32_e32 v2, s1
	s_mov_b32 s1, 0
	global_store_b32 v[0:1], v2, off
.LBB95_916:
	s_and_not1_b32 vcc_lo, exec_lo, s1
	s_cbranch_vccnz .LBB95_918
; %bb.917:
	v_and_b32_e64 v2, 0xff, s2
	global_store_b16 v[0:1], v2, off
.LBB95_918:
	s_mov_b32 s1, 0
.LBB95_919:
	s_delay_alu instid0(SALU_CYCLE_1)
	s_and_not1_b32 vcc_lo, exec_lo, s1
	s_cbranch_vccnz .LBB95_978
; %bb.920:
	v_cndmask_b32_e64 v2, 0, 1.0, s3
	v_mov_b32_e32 v4, 0x80
	s_delay_alu instid0(VALU_DEP_2)
	v_cmp_lt_u32_e32 vcc_lo, 0x437fffff, v2
	v_readfirstlane_b32 s1, v2
	s_cbranch_vccnz .LBB95_977
; %bb.921:
	s_delay_alu instid0(VALU_DEP_1)
	s_cmp_gt_u32 s1, 0x3bffffff
	s_cbranch_scc0 .LBB95_972
; %bb.922:
	s_bfe_u32 s8, s1, 0x10014
	s_delay_alu instid0(SALU_CYCLE_1) | instskip(SKIP_2) | instid1(SALU_CYCLE_1)
	s_add_i32 s1, s1, s8
	s_mov_b32 s8, 0
	s_add_i32 s1, s1, 0x487ffff
	s_lshr_b32 s9, s1, 20
	s_mov_b32 s1, -1
	s_branch .LBB95_973
.LBB95_923:
	s_mov_b32 s0, 0
	s_mov_b32 s5, 0
                                        ; implicit-def: $vgpr5
                                        ; implicit-def: $vgpr0_vgpr1
.LBB95_924:
	s_and_b32 s8, s0, exec_lo
	s_and_not1_b32 s0, s6, exec_lo
	s_and_b32 s1, s4, exec_lo
	s_and_b32 s31, s5, exec_lo
	s_or_b32 s6, s0, s1
.LBB95_925:
	s_or_b32 exec_lo, exec_lo, s7
	s_and_saveexec_b32 s0, s6
	s_cbranch_execz .LBB95_928
; %bb.926:
	; divergent unreachable
	s_or_b32 exec_lo, exec_lo, s0
	s_and_saveexec_b32 s0, s31
	s_delay_alu instid0(SALU_CYCLE_1)
	s_xor_b32 s0, exec_lo, s0
	s_cbranch_execnz .LBB95_929
.LBB95_927:
	s_or_b32 exec_lo, exec_lo, s0
	s_and_saveexec_b32 s0, s8
	s_cbranch_execnz .LBB95_930
	s_branch .LBB95_967
.LBB95_928:
	s_or_b32 exec_lo, exec_lo, s0
	s_and_saveexec_b32 s0, s31
	s_delay_alu instid0(SALU_CYCLE_1)
	s_xor_b32 s0, exec_lo, s0
	s_cbranch_execz .LBB95_927
.LBB95_929:
	v_mov_b32_e32 v2, s2
	global_store_b8 v[0:1], v2, off
	s_or_b32 exec_lo, exec_lo, s0
	s_and_saveexec_b32 s0, s8
	s_cbranch_execz .LBB95_967
.LBB95_930:
	v_cmp_gt_i16_e32 vcc_lo, 5, v5
	s_mov_b32 s0, -1
	s_cbranch_vccnz .LBB95_951
; %bb.931:
	v_cmp_gt_i16_e32 vcc_lo, 8, v5
	s_cbranch_vccnz .LBB95_941
; %bb.932:
	v_cmp_gt_i16_e32 vcc_lo, 9, v5
	s_cbranch_vccnz .LBB95_938
; %bb.933:
	v_cmp_lt_i16_e32 vcc_lo, 9, v5
	s_cbranch_vccz .LBB95_935
; %bb.934:
	v_cndmask_b32_e64 v2, 0, 1, s3
	v_mov_b32_e32 v8, 0
	s_mov_b32 s0, 0
	s_delay_alu instid0(VALU_DEP_2) | instskip(NEXT) | instid1(VALU_DEP_2)
	v_cvt_f64_u32_e32 v[6:7], v2
	v_mov_b32_e32 v9, v8
	global_store_b128 v[0:1], v[6:9], off
.LBB95_935:
	s_and_not1_b32 vcc_lo, exec_lo, s0
	s_cbranch_vccnz .LBB95_937
; %bb.936:
	v_cndmask_b32_e64 v2, 0, 1.0, s3
	v_mov_b32_e32 v3, 0
	global_store_b64 v[0:1], v[2:3], off
.LBB95_937:
	s_mov_b32 s0, 0
.LBB95_938:
	s_delay_alu instid0(SALU_CYCLE_1)
	s_and_not1_b32 vcc_lo, exec_lo, s0
	s_cbranch_vccnz .LBB95_940
; %bb.939:
	v_cndmask_b32_e64 v2, 0, 1.0, s3
	s_delay_alu instid0(VALU_DEP_1) | instskip(NEXT) | instid1(VALU_DEP_1)
	v_cvt_f16_f32_e32 v2, v2
	v_and_b32_e32 v2, 0xffff, v2
	global_store_b32 v[0:1], v2, off
.LBB95_940:
	s_mov_b32 s0, 0
.LBB95_941:
	s_delay_alu instid0(SALU_CYCLE_1)
	s_and_not1_b32 vcc_lo, exec_lo, s0
	s_cbranch_vccnz .LBB95_950
; %bb.942:
	v_cmp_gt_i16_e32 vcc_lo, 6, v5
	s_mov_b32 s0, -1
	s_cbranch_vccnz .LBB95_948
; %bb.943:
	v_cmp_lt_i16_e32 vcc_lo, 6, v5
	s_cbranch_vccz .LBB95_945
; %bb.944:
	v_cndmask_b32_e64 v2, 0, 1, s3
	s_mov_b32 s0, 0
	s_delay_alu instid0(VALU_DEP_1)
	v_cvt_f64_u32_e32 v[2:3], v2
	global_store_b64 v[0:1], v[2:3], off
.LBB95_945:
	s_and_not1_b32 vcc_lo, exec_lo, s0
	s_cbranch_vccnz .LBB95_947
; %bb.946:
	v_cndmask_b32_e64 v2, 0, 1.0, s3
	global_store_b32 v[0:1], v2, off
.LBB95_947:
	s_mov_b32 s0, 0
.LBB95_948:
	s_delay_alu instid0(SALU_CYCLE_1)
	s_and_not1_b32 vcc_lo, exec_lo, s0
	s_cbranch_vccnz .LBB95_950
; %bb.949:
	v_cndmask_b32_e64 v2, 0, 1.0, s3
	s_delay_alu instid0(VALU_DEP_1)
	v_cvt_f16_f32_e32 v2, v2
	global_store_b16 v[0:1], v2, off
.LBB95_950:
	s_mov_b32 s0, 0
.LBB95_951:
	s_delay_alu instid0(SALU_CYCLE_1)
	s_and_not1_b32 vcc_lo, exec_lo, s0
	s_cbranch_vccnz .LBB95_967
; %bb.952:
	v_cmp_gt_i16_e32 vcc_lo, 2, v5
	s_mov_b32 s0, -1
	s_cbranch_vccnz .LBB95_962
; %bb.953:
	v_cmp_gt_i16_e32 vcc_lo, 3, v5
	s_cbranch_vccnz .LBB95_959
; %bb.954:
	v_cmp_lt_i16_e32 vcc_lo, 3, v5
	s_cbranch_vccz .LBB95_956
; %bb.955:
	s_and_b32 s0, s2, 0xff
	s_delay_alu instid0(SALU_CYCLE_1)
	v_dual_mov_b32 v3, 0 :: v_dual_mov_b32 v2, s0
	s_mov_b32 s0, 0
	global_store_b64 v[0:1], v[2:3], off
.LBB95_956:
	s_and_not1_b32 vcc_lo, exec_lo, s0
	s_cbranch_vccnz .LBB95_958
; %bb.957:
	s_and_b32 s0, s2, 0xff
	s_delay_alu instid0(SALU_CYCLE_1)
	v_mov_b32_e32 v2, s0
	global_store_b32 v[0:1], v2, off
.LBB95_958:
	s_mov_b32 s0, 0
.LBB95_959:
	s_delay_alu instid0(SALU_CYCLE_1)
	s_and_not1_b32 vcc_lo, exec_lo, s0
	s_cbranch_vccnz .LBB95_961
; %bb.960:
	v_and_b32_e64 v2, 0xff, s2
	global_store_b16 v[0:1], v2, off
.LBB95_961:
	s_mov_b32 s0, 0
.LBB95_962:
	s_delay_alu instid0(SALU_CYCLE_1)
	s_and_not1_b32 vcc_lo, exec_lo, s0
	s_cbranch_vccnz .LBB95_967
; %bb.963:
	v_cmp_lt_i16_e32 vcc_lo, 0, v5
	s_mov_b32 s0, -1
	s_cbranch_vccz .LBB95_965
; %bb.964:
	v_mov_b32_e32 v2, s2
	s_mov_b32 s0, 0
	global_store_b8 v[0:1], v2, off
.LBB95_965:
	s_and_not1_b32 vcc_lo, exec_lo, s0
	s_cbranch_vccnz .LBB95_967
; %bb.966:
	v_mov_b32_e32 v2, s2
	global_store_b8 v[0:1], v2, off
	s_nop 0
	s_sendmsg sendmsg(MSG_DEALLOC_VGPRS)
	s_endpgm
.LBB95_967:
	s_nop 0
	s_sendmsg sendmsg(MSG_DEALLOC_VGPRS)
	s_endpgm
.LBB95_968:
	s_cbranch_execnz .LBB95_970
; %bb.969:
	s_or_b32 s4, s4, exec_lo
	s_cbranch_execz .LBB95_852
	s_branch .LBB95_853
.LBB95_970:
	s_trap 2
	s_sendmsg_rtn_b32 s0, sendmsg(MSG_RTN_GET_DOORBELL)
	s_mov_b32 ttmp2, m0
	s_waitcnt lgkmcnt(0)
	s_and_b32 s0, s0, 0x3ff
	s_delay_alu instid0(SALU_CYCLE_1) | instskip(NEXT) | instid1(SALU_CYCLE_1)
	s_bitset1_b32 s0, 10
	s_mov_b32 m0, s0
	s_sendmsg sendmsg(MSG_INTERRUPT)
	s_mov_b32 m0, ttmp2
.LBB95_971:                             ; =>This Inner Loop Header: Depth=1
	s_sethalt 5
	s_branch .LBB95_971
.LBB95_972:
	s_mov_b32 s8, -1
	s_mov_b32 s1, 0
                                        ; implicit-def: $sgpr9
.LBB95_973:
	v_mov_b32_e32 v3, s9
	s_and_not1_b32 vcc_lo, exec_lo, s8
                                        ; implicit-def: $sgpr8
	s_cbranch_vccnz .LBB95_975
; %bb.974:
	v_add_f32_e32 v2, 0x46000000, v2
	s_mov_b32 s8, 0
	s_delay_alu instid0(VALU_DEP_1) | instskip(NEXT) | instid1(VALU_DEP_1)
	v_and_b32_e32 v3, 0xff, v2
	v_cmp_ne_u32_e64 s1, 0, v3
.LBB95_975:
	v_mov_b32_e32 v4, s8
	s_delay_alu instid0(VALU_DEP_2)
	s_and_not1_b32 vcc_lo, exec_lo, s1
	s_cbranch_vccnz .LBB95_977
; %bb.976:
	v_mov_b32_e32 v4, v3
.LBB95_977:
	global_store_b8 v[0:1], v4, off
.LBB95_978:
	s_mov_b32 s1, 0
.LBB95_979:
	s_delay_alu instid0(SALU_CYCLE_1)
	s_and_b32 vcc_lo, exec_lo, s1
	s_cbranch_vccz .LBB95_1025
; %bb.980:
	v_cmp_lt_i16_e32 vcc_lo, 22, v5
	s_mov_b32 s1, -1
	s_cbranch_vccz .LBB95_1018
; %bb.981:
	v_cmp_gt_i16_e32 vcc_lo, 24, v5
	s_cbranch_vccnz .LBB95_1005
; %bb.982:
	v_cmp_lt_i16_e32 vcc_lo, 24, v5
	s_cbranch_vccz .LBB95_992
; %bb.983:
	v_cndmask_b32_e64 v2, 0, 1.0, s3
	v_mov_b32_e32 v4, 0x80
	s_delay_alu instid0(VALU_DEP_2)
	v_cmp_lt_u32_e32 vcc_lo, 0x477fffff, v2
	v_readfirstlane_b32 s1, v2
	s_cbranch_vccnz .LBB95_991
; %bb.984:
	s_delay_alu instid0(VALU_DEP_1)
	s_cmp_gt_u32 s1, 0x37ffffff
	s_cbranch_scc0 .LBB95_986
; %bb.985:
	s_bfe_u32 s5, s1, 0x10015
	s_delay_alu instid0(SALU_CYCLE_1) | instskip(SKIP_2) | instid1(SALU_CYCLE_1)
	s_add_i32 s1, s1, s5
	s_mov_b32 s5, 0
	s_add_i32 s1, s1, 0x88fffff
	s_lshr_b32 s8, s1, 21
	s_mov_b32 s1, -1
	s_branch .LBB95_987
.LBB95_986:
	s_mov_b32 s5, -1
	s_mov_b32 s1, 0
                                        ; implicit-def: $sgpr8
.LBB95_987:
	v_mov_b32_e32 v3, s8
	s_and_not1_b32 vcc_lo, exec_lo, s5
                                        ; implicit-def: $sgpr5
	s_cbranch_vccnz .LBB95_989
; %bb.988:
	v_add_f32_e32 v2, 0x42800000, v2
	s_mov_b32 s5, 0
	s_delay_alu instid0(VALU_DEP_1) | instskip(NEXT) | instid1(VALU_DEP_1)
	v_and_b32_e32 v3, 0xff, v2
	v_cmp_ne_u32_e64 s1, 0, v3
.LBB95_989:
	v_mov_b32_e32 v4, s5
	s_delay_alu instid0(VALU_DEP_2)
	s_and_not1_b32 vcc_lo, exec_lo, s1
	s_cbranch_vccnz .LBB95_991
; %bb.990:
	v_mov_b32_e32 v4, v3
.LBB95_991:
	s_mov_b32 s1, 0
	global_store_b8 v[0:1], v4, off
.LBB95_992:
	s_and_b32 vcc_lo, exec_lo, s1
	s_cbranch_vccz .LBB95_1004
; %bb.993:
	v_cndmask_b32_e64 v2, 0, 1.0, s3
	s_delay_alu instid0(VALU_DEP_1)
	v_cmp_gt_u32_e32 vcc_lo, 0x43f00000, v2
	v_readfirstlane_b32 s1, v2
	s_cbranch_vccz .LBB95_996
; %bb.994:
	s_delay_alu instid0(VALU_DEP_1)
	s_cmp_gt_u32 s1, 0x3c7fffff
	s_cbranch_scc0 .LBB95_997
; %bb.995:
	s_bfe_u32 s5, s1, 0x10014
	s_delay_alu instid0(SALU_CYCLE_1) | instskip(NEXT) | instid1(SALU_CYCLE_1)
	s_add_i32 s5, s1, s5
	s_add_i32 s5, s5, 0x407ffff
	s_delay_alu instid0(SALU_CYCLE_1)
	s_and_b32 s8, s5, 0xff00000
	s_lshr_b32 s5, s5, 20
	s_cmp_lg_u32 s8, 0x7f00000
	s_cselect_b32 s8, s5, 0x7e
	s_mov_b32 s5, 0
	s_branch .LBB95_998
.LBB95_996:
	s_mov_b32 s5, -1
                                        ; implicit-def: $vgpr3
	s_branch .LBB95_1001
.LBB95_997:
	s_mov_b32 s5, -1
                                        ; implicit-def: $sgpr8
.LBB95_998:
	v_mov_b32_e32 v3, s8
	s_and_not1_b32 vcc_lo, exec_lo, s5
	s_cbranch_vccnz .LBB95_1000
; %bb.999:
	v_add_f32_e32 v3, 0x46800000, v2
.LBB95_1000:
	s_mov_b32 s5, 0
.LBB95_1001:
	s_delay_alu instid0(SALU_CYCLE_1)
	s_and_not1_b32 vcc_lo, exec_lo, s5
	s_cbranch_vccnz .LBB95_1003
; %bb.1002:
	s_cmp_gt_u32 s1, 0x7f800000
	s_movk_i32 s1, 0x7f
	s_delay_alu instid0(SALU_CYCLE_1) | instskip(NEXT) | instid1(SALU_CYCLE_1)
	s_cselect_b32 s1, s1, 0x7e
	v_mov_b32_e32 v3, s1
.LBB95_1003:
	global_store_b8 v[0:1], v3, off
.LBB95_1004:
	s_mov_b32 s1, 0
.LBB95_1005:
	s_delay_alu instid0(SALU_CYCLE_1)
	s_and_not1_b32 vcc_lo, exec_lo, s1
	s_cbranch_vccnz .LBB95_1017
; %bb.1006:
	v_cndmask_b32_e64 v2, 0, 1.0, s3
	s_delay_alu instid0(VALU_DEP_1)
	v_cmp_gt_u32_e32 vcc_lo, 0x47800000, v2
	v_readfirstlane_b32 s1, v2
	s_cbranch_vccz .LBB95_1009
; %bb.1007:
	s_delay_alu instid0(VALU_DEP_1)
	s_cmp_gt_u32 s1, 0x387fffff
	s_cbranch_scc0 .LBB95_1010
; %bb.1008:
	s_bfe_u32 s5, s1, 0x10015
	s_delay_alu instid0(SALU_CYCLE_1) | instskip(NEXT) | instid1(SALU_CYCLE_1)
	s_add_i32 s5, s1, s5
	s_add_i32 s5, s5, 0x80fffff
	s_delay_alu instid0(SALU_CYCLE_1)
	s_lshr_b32 s8, s5, 21
	s_mov_b32 s5, 0
	s_branch .LBB95_1011
.LBB95_1009:
	s_mov_b32 s5, -1
                                        ; implicit-def: $vgpr3
	s_branch .LBB95_1014
.LBB95_1010:
	s_mov_b32 s5, -1
                                        ; implicit-def: $sgpr8
.LBB95_1011:
	v_mov_b32_e32 v3, s8
	s_and_not1_b32 vcc_lo, exec_lo, s5
	s_cbranch_vccnz .LBB95_1013
; %bb.1012:
	v_add_f32_e32 v3, 0x43000000, v2
.LBB95_1013:
	s_mov_b32 s5, 0
.LBB95_1014:
	s_delay_alu instid0(SALU_CYCLE_1)
	s_and_not1_b32 vcc_lo, exec_lo, s5
	s_cbranch_vccnz .LBB95_1016
; %bb.1015:
	s_cmp_gt_u32 s1, 0x7f800000
	s_movk_i32 s1, 0x7f
	s_delay_alu instid0(SALU_CYCLE_1) | instskip(NEXT) | instid1(SALU_CYCLE_1)
	s_cselect_b32 s1, s1, 0x7c
	v_mov_b32_e32 v3, s1
.LBB95_1016:
	global_store_b8 v[0:1], v3, off
.LBB95_1017:
	s_mov_b32 s1, 0
.LBB95_1018:
	s_delay_alu instid0(SALU_CYCLE_1)
	s_and_not1_b32 vcc_lo, exec_lo, s1
	s_mov_b32 s5, 0
	s_cbranch_vccnz .LBB95_1025
; %bb.1019:
	v_cmp_lt_i16_e32 vcc_lo, 14, v5
	s_mov_b32 s1, -1
	s_cbranch_vccz .LBB95_1023
; %bb.1020:
	v_cmp_eq_u16_e32 vcc_lo, 15, v5
	s_mov_b32 s0, -1
	s_cbranch_vccz .LBB95_1022
; %bb.1021:
	v_cndmask_b32_e64 v2, 0, 1.0, s3
	s_mov_b32 s0, 0
	s_delay_alu instid0(VALU_DEP_1) | instskip(NEXT) | instid1(VALU_DEP_1)
	v_bfe_u32 v3, v2, 16, 1
	v_add_nc_u32_e32 v2, v2, v3
	s_delay_alu instid0(VALU_DEP_1)
	v_add_nc_u32_e32 v2, 0x7fff, v2
	global_store_d16_hi_b16 v[0:1], v2, off
.LBB95_1022:
	s_mov_b32 s1, 0
.LBB95_1023:
	s_delay_alu instid0(SALU_CYCLE_1)
	s_and_b32 vcc_lo, exec_lo, s1
	s_cbranch_vccz .LBB95_1025
; %bb.1024:
	v_cmp_ne_u16_e64 s0, 11, v5
	s_mov_b32 s5, -1
.LBB95_1025:
	s_delay_alu instid0(VALU_DEP_1)
	s_and_b32 vcc_lo, exec_lo, s0
	s_cbranch_vccnz .LBB95_1027
.LBB95_1026:
	s_mov_b32 s0, 0
	s_branch .LBB95_924
.LBB95_1027:
	s_cbranch_execnz .LBB95_1029
; %bb.1028:
	s_mov_b32 s5, 0
	s_or_b32 s4, s4, exec_lo
	s_branch .LBB95_1026
.LBB95_1029:
	s_trap 2
	s_sendmsg_rtn_b32 s0, sendmsg(MSG_RTN_GET_DOORBELL)
	s_mov_b32 ttmp2, m0
	s_waitcnt lgkmcnt(0)
	s_and_b32 s0, s0, 0x3ff
	s_delay_alu instid0(SALU_CYCLE_1) | instskip(NEXT) | instid1(SALU_CYCLE_1)
	s_bitset1_b32 s0, 10
	s_mov_b32 m0, s0
	s_sendmsg sendmsg(MSG_INTERRUPT)
	s_mov_b32 m0, ttmp2
.LBB95_1030:                            ; =>This Inner Loop Header: Depth=1
	s_sethalt 5
	s_branch .LBB95_1030
	.section	.rodata,"a",@progbits
	.p2align	6, 0x0
	.amdhsa_kernel _ZN2at6native32elementwise_kernel_manual_unrollILi128ELi4EZNS0_15gpu_kernel_implINS0_11FillFunctorIbEEEEvRNS_18TensorIteratorBaseERKT_EUlibE0_EEviT1_
		.amdhsa_group_segment_fixed_size 0
		.amdhsa_private_segment_fixed_size 0
		.amdhsa_kernarg_size 288
		.amdhsa_user_sgpr_count 15
		.amdhsa_user_sgpr_dispatch_ptr 0
		.amdhsa_user_sgpr_queue_ptr 0
		.amdhsa_user_sgpr_kernarg_segment_ptr 1
		.amdhsa_user_sgpr_dispatch_id 0
		.amdhsa_user_sgpr_private_segment_size 0
		.amdhsa_wavefront_size32 1
		.amdhsa_uses_dynamic_stack 0
		.amdhsa_enable_private_segment 0
		.amdhsa_system_sgpr_workgroup_id_x 1
		.amdhsa_system_sgpr_workgroup_id_y 0
		.amdhsa_system_sgpr_workgroup_id_z 0
		.amdhsa_system_sgpr_workgroup_info 0
		.amdhsa_system_vgpr_workitem_id 0
		.amdhsa_next_free_vgpr 29
		.amdhsa_next_free_sgpr 68
		.amdhsa_reserve_vcc 1
		.amdhsa_float_round_mode_32 0
		.amdhsa_float_round_mode_16_64 0
		.amdhsa_float_denorm_mode_32 3
		.amdhsa_float_denorm_mode_16_64 3
		.amdhsa_dx10_clamp 1
		.amdhsa_ieee_mode 1
		.amdhsa_fp16_overflow 0
		.amdhsa_workgroup_processor_mode 1
		.amdhsa_memory_ordered 1
		.amdhsa_forward_progress 0
		.amdhsa_shared_vgpr_count 0
		.amdhsa_exception_fp_ieee_invalid_op 0
		.amdhsa_exception_fp_denorm_src 0
		.amdhsa_exception_fp_ieee_div_zero 0
		.amdhsa_exception_fp_ieee_overflow 0
		.amdhsa_exception_fp_ieee_underflow 0
		.amdhsa_exception_fp_ieee_inexact 0
		.amdhsa_exception_int_div_zero 0
	.end_amdhsa_kernel
	.section	.text._ZN2at6native32elementwise_kernel_manual_unrollILi128ELi4EZNS0_15gpu_kernel_implINS0_11FillFunctorIbEEEEvRNS_18TensorIteratorBaseERKT_EUlibE0_EEviT1_,"axG",@progbits,_ZN2at6native32elementwise_kernel_manual_unrollILi128ELi4EZNS0_15gpu_kernel_implINS0_11FillFunctorIbEEEEvRNS_18TensorIteratorBaseERKT_EUlibE0_EEviT1_,comdat
.Lfunc_end95:
	.size	_ZN2at6native32elementwise_kernel_manual_unrollILi128ELi4EZNS0_15gpu_kernel_implINS0_11FillFunctorIbEEEEvRNS_18TensorIteratorBaseERKT_EUlibE0_EEviT1_, .Lfunc_end95-_ZN2at6native32elementwise_kernel_manual_unrollILi128ELi4EZNS0_15gpu_kernel_implINS0_11FillFunctorIbEEEEvRNS_18TensorIteratorBaseERKT_EUlibE0_EEviT1_
                                        ; -- End function
	.section	.AMDGPU.csdata,"",@progbits
; Kernel info:
; codeLenInByte = 18756
; NumSgprs: 70
; NumVgprs: 29
; ScratchSize: 0
; MemoryBound: 0
; FloatMode: 240
; IeeeMode: 1
; LDSByteSize: 0 bytes/workgroup (compile time only)
; SGPRBlocks: 8
; VGPRBlocks: 3
; NumSGPRsForWavesPerEU: 70
; NumVGPRsForWavesPerEU: 29
; Occupancy: 16
; WaveLimiterHint : 1
; COMPUTE_PGM_RSRC2:SCRATCH_EN: 0
; COMPUTE_PGM_RSRC2:USER_SGPR: 15
; COMPUTE_PGM_RSRC2:TRAP_HANDLER: 0
; COMPUTE_PGM_RSRC2:TGID_X_EN: 1
; COMPUTE_PGM_RSRC2:TGID_Y_EN: 0
; COMPUTE_PGM_RSRC2:TGID_Z_EN: 0
; COMPUTE_PGM_RSRC2:TIDIG_COMP_CNT: 0
	.section	.text._ZN2at6native29vectorized_elementwise_kernelILi16ENS0_11FillFunctorIN3c104HalfEEESt5arrayIPcLm1EEEEviT0_T1_,"axG",@progbits,_ZN2at6native29vectorized_elementwise_kernelILi16ENS0_11FillFunctorIN3c104HalfEEESt5arrayIPcLm1EEEEviT0_T1_,comdat
	.protected	_ZN2at6native29vectorized_elementwise_kernelILi16ENS0_11FillFunctorIN3c104HalfEEESt5arrayIPcLm1EEEEviT0_T1_ ; -- Begin function _ZN2at6native29vectorized_elementwise_kernelILi16ENS0_11FillFunctorIN3c104HalfEEESt5arrayIPcLm1EEEEviT0_T1_
	.globl	_ZN2at6native29vectorized_elementwise_kernelILi16ENS0_11FillFunctorIN3c104HalfEEESt5arrayIPcLm1EEEEviT0_T1_
	.p2align	8
	.type	_ZN2at6native29vectorized_elementwise_kernelILi16ENS0_11FillFunctorIN3c104HalfEEESt5arrayIPcLm1EEEEviT0_T1_,@function
_ZN2at6native29vectorized_elementwise_kernelILi16ENS0_11FillFunctorIN3c104HalfEEESt5arrayIPcLm1EEEEviT0_T1_: ; @_ZN2at6native29vectorized_elementwise_kernelILi16ENS0_11FillFunctorIN3c104HalfEEESt5arrayIPcLm1EEEEviT0_T1_
; %bb.0:
	s_load_b128 s[0:3], s[0:1], 0x0
	s_lshl_b32 s4, s15, 11
	s_waitcnt lgkmcnt(0)
	s_sub_i32 s0, s0, s4
	s_delay_alu instid0(SALU_CYCLE_1)
	s_cmpk_gt_i32 s0, 0x7ff
	s_cbranch_scc0 .LBB96_4
; %bb.1:
	s_ashr_i32 s5, s4, 31
	s_delay_alu instid0(SALU_CYCLE_1) | instskip(SKIP_1) | instid1(SALU_CYCLE_1)
	s_lshl_b64 s[6:7], s[4:5], 1
	s_pack_ll_b32_b16 s5, s1, s1
	v_dual_mov_b32 v3, s5 :: v_dual_lshlrev_b32 v6, 4, v0
	s_add_u32 s8, s2, s6
	s_addc_u32 s9, s3, s7
	v_mov_b32_e32 v7, s1
	s_delay_alu instid0(VALU_DEP_2) | instskip(SKIP_3) | instid1(VALU_DEP_4)
	v_add_co_u32 v1, s5, s8, v6
	v_mov_b32_e32 v4, v3
	v_add_co_ci_u32_e64 v2, null, s9, 0, s5
	v_mov_b32_e32 v5, v3
	v_add_co_u32 v1, vcc_lo, v1, 14
	s_delay_alu instid0(VALU_DEP_3)
	v_add_co_ci_u32_e32 v2, vcc_lo, 0, v2, vcc_lo
	s_mov_b32 s5, -1
	s_clause 0x1
	global_store_b16 v6, v7, s[8:9] offset:12
	global_store_b96 v6, v[3:5], s[8:9]
	s_cbranch_execz .LBB96_5
; %bb.2:
	s_and_saveexec_b32 s0, s5
	s_cbranch_execz .LBB96_16
.LBB96_3:
	v_mov_b32_e32 v0, s1
	global_store_b16 v[1:2], v0, off
	s_nop 0
	s_sendmsg sendmsg(MSG_DEALLOC_VGPRS)
	s_endpgm
.LBB96_4:
	s_mov_b32 s5, 0
                                        ; implicit-def: $vgpr1_vgpr2
.LBB96_5:
	s_mov_b32 s6, exec_lo
	v_cmpx_gt_i32_e64 s0, v0
	s_cbranch_execz .LBB96_17
; %bb.6:
	v_or_b32_e32 v1, s4, v0
	v_dual_mov_b32 v2, 0 :: v_dual_mov_b32 v3, s1
	v_or_b32_e32 v0, 0x100, v0
	s_delay_alu instid0(VALU_DEP_2) | instskip(NEXT) | instid1(VALU_DEP_1)
	v_lshlrev_b64 v[1:2], 1, v[1:2]
	v_add_co_u32 v1, vcc_lo, s2, v1
	s_delay_alu instid0(VALU_DEP_2) | instskip(SKIP_2) | instid1(SALU_CYCLE_1)
	v_add_co_ci_u32_e32 v2, vcc_lo, s3, v2, vcc_lo
	global_store_b16 v[1:2], v3, off
	s_or_b32 exec_lo, exec_lo, s6
	s_mov_b32 s6, exec_lo
	v_cmpx_gt_i32_e64 s0, v0
	s_cbranch_execnz .LBB96_18
.LBB96_7:
	s_or_b32 exec_lo, exec_lo, s6
	s_delay_alu instid0(SALU_CYCLE_1)
	s_mov_b32 s6, exec_lo
	v_cmpx_gt_i32_e64 s0, v0
	s_cbranch_execz .LBB96_19
.LBB96_8:
	v_dual_mov_b32 v2, 0 :: v_dual_add_nc_u32 v1, s4, v0
	v_dual_mov_b32 v3, s1 :: v_dual_add_nc_u32 v0, 0x100, v0
	s_delay_alu instid0(VALU_DEP_2) | instskip(NEXT) | instid1(VALU_DEP_1)
	v_lshlrev_b64 v[1:2], 1, v[1:2]
	v_add_co_u32 v1, vcc_lo, s2, v1
	s_delay_alu instid0(VALU_DEP_2) | instskip(SKIP_2) | instid1(SALU_CYCLE_1)
	v_add_co_ci_u32_e32 v2, vcc_lo, s3, v2, vcc_lo
	global_store_b16 v[1:2], v3, off
	s_or_b32 exec_lo, exec_lo, s6
	s_mov_b32 s6, exec_lo
	v_cmpx_gt_i32_e64 s0, v0
	s_cbranch_execnz .LBB96_20
.LBB96_9:
	s_or_b32 exec_lo, exec_lo, s6
	s_delay_alu instid0(SALU_CYCLE_1)
	s_mov_b32 s6, exec_lo
	v_cmpx_gt_i32_e64 s0, v0
	s_cbranch_execz .LBB96_21
.LBB96_10:
	v_dual_mov_b32 v2, 0 :: v_dual_add_nc_u32 v1, s4, v0
	v_dual_mov_b32 v3, s1 :: v_dual_add_nc_u32 v0, 0x100, v0
	s_delay_alu instid0(VALU_DEP_2) | instskip(NEXT) | instid1(VALU_DEP_1)
	v_lshlrev_b64 v[1:2], 1, v[1:2]
	v_add_co_u32 v1, vcc_lo, s2, v1
	s_delay_alu instid0(VALU_DEP_2) | instskip(SKIP_2) | instid1(SALU_CYCLE_1)
	v_add_co_ci_u32_e32 v2, vcc_lo, s3, v2, vcc_lo
	global_store_b16 v[1:2], v3, off
	s_or_b32 exec_lo, exec_lo, s6
	s_mov_b32 s6, exec_lo
	v_cmpx_gt_i32_e64 s0, v0
	s_cbranch_execnz .LBB96_22
.LBB96_11:
	s_or_b32 exec_lo, exec_lo, s6
	s_delay_alu instid0(SALU_CYCLE_1)
	s_mov_b32 s6, exec_lo
	v_cmpx_gt_i32_e64 s0, v0
	s_cbranch_execz .LBB96_13
.LBB96_12:
	v_dual_mov_b32 v2, 0 :: v_dual_add_nc_u32 v1, s4, v0
	v_dual_mov_b32 v3, s1 :: v_dual_add_nc_u32 v0, 0x100, v0
	s_delay_alu instid0(VALU_DEP_2) | instskip(NEXT) | instid1(VALU_DEP_1)
	v_lshlrev_b64 v[1:2], 1, v[1:2]
	v_add_co_u32 v1, vcc_lo, s2, v1
	s_delay_alu instid0(VALU_DEP_2)
	v_add_co_ci_u32_e32 v2, vcc_lo, s3, v2, vcc_lo
	global_store_b16 v[1:2], v3, off
.LBB96_13:
	s_or_b32 exec_lo, exec_lo, s6
	v_cmp_gt_i32_e32 vcc_lo, s0, v0
                                        ; implicit-def: $vgpr1_vgpr2
	s_and_saveexec_b32 s0, vcc_lo
; %bb.14:
	v_dual_mov_b32 v1, 0 :: v_dual_add_nc_u32 v0, s4, v0
	s_or_b32 s5, s5, exec_lo
	s_delay_alu instid0(VALU_DEP_1) | instskip(NEXT) | instid1(VALU_DEP_1)
	v_lshlrev_b64 v[1:2], 1, v[0:1]
	v_add_co_u32 v1, vcc_lo, s2, v1
	s_delay_alu instid0(VALU_DEP_2)
	v_add_co_ci_u32_e32 v2, vcc_lo, s3, v2, vcc_lo
; %bb.15:
	s_or_b32 exec_lo, exec_lo, s0
	s_and_saveexec_b32 s0, s5
	s_cbranch_execnz .LBB96_3
.LBB96_16:
	s_nop 0
	s_sendmsg sendmsg(MSG_DEALLOC_VGPRS)
	s_endpgm
.LBB96_17:
	s_or_b32 exec_lo, exec_lo, s6
	s_delay_alu instid0(SALU_CYCLE_1)
	s_mov_b32 s6, exec_lo
	v_cmpx_gt_i32_e64 s0, v0
	s_cbranch_execz .LBB96_7
.LBB96_18:
	v_dual_mov_b32 v2, 0 :: v_dual_add_nc_u32 v1, s4, v0
	v_dual_mov_b32 v3, s1 :: v_dual_add_nc_u32 v0, 0x100, v0
	s_delay_alu instid0(VALU_DEP_2) | instskip(NEXT) | instid1(VALU_DEP_1)
	v_lshlrev_b64 v[1:2], 1, v[1:2]
	v_add_co_u32 v1, vcc_lo, s2, v1
	s_delay_alu instid0(VALU_DEP_2) | instskip(SKIP_2) | instid1(SALU_CYCLE_1)
	v_add_co_ci_u32_e32 v2, vcc_lo, s3, v2, vcc_lo
	global_store_b16 v[1:2], v3, off
	s_or_b32 exec_lo, exec_lo, s6
	s_mov_b32 s6, exec_lo
	v_cmpx_gt_i32_e64 s0, v0
	s_cbranch_execnz .LBB96_8
.LBB96_19:
	s_or_b32 exec_lo, exec_lo, s6
	s_delay_alu instid0(SALU_CYCLE_1)
	s_mov_b32 s6, exec_lo
	v_cmpx_gt_i32_e64 s0, v0
	s_cbranch_execz .LBB96_9
.LBB96_20:
	v_dual_mov_b32 v2, 0 :: v_dual_add_nc_u32 v1, s4, v0
	v_dual_mov_b32 v3, s1 :: v_dual_add_nc_u32 v0, 0x100, v0
	s_delay_alu instid0(VALU_DEP_2) | instskip(NEXT) | instid1(VALU_DEP_1)
	v_lshlrev_b64 v[1:2], 1, v[1:2]
	v_add_co_u32 v1, vcc_lo, s2, v1
	s_delay_alu instid0(VALU_DEP_2) | instskip(SKIP_2) | instid1(SALU_CYCLE_1)
	v_add_co_ci_u32_e32 v2, vcc_lo, s3, v2, vcc_lo
	global_store_b16 v[1:2], v3, off
	s_or_b32 exec_lo, exec_lo, s6
	s_mov_b32 s6, exec_lo
	v_cmpx_gt_i32_e64 s0, v0
	s_cbranch_execnz .LBB96_10
.LBB96_21:
	s_or_b32 exec_lo, exec_lo, s6
	s_delay_alu instid0(SALU_CYCLE_1)
	s_mov_b32 s6, exec_lo
	v_cmpx_gt_i32_e64 s0, v0
	s_cbranch_execz .LBB96_11
.LBB96_22:
	v_dual_mov_b32 v2, 0 :: v_dual_add_nc_u32 v1, s4, v0
	v_dual_mov_b32 v3, s1 :: v_dual_add_nc_u32 v0, 0x100, v0
	s_delay_alu instid0(VALU_DEP_2) | instskip(NEXT) | instid1(VALU_DEP_1)
	v_lshlrev_b64 v[1:2], 1, v[1:2]
	v_add_co_u32 v1, vcc_lo, s2, v1
	s_delay_alu instid0(VALU_DEP_2) | instskip(SKIP_2) | instid1(SALU_CYCLE_1)
	v_add_co_ci_u32_e32 v2, vcc_lo, s3, v2, vcc_lo
	global_store_b16 v[1:2], v3, off
	s_or_b32 exec_lo, exec_lo, s6
	s_mov_b32 s6, exec_lo
	v_cmpx_gt_i32_e64 s0, v0
	s_cbranch_execz .LBB96_13
	s_branch .LBB96_12
	.section	.rodata,"a",@progbits
	.p2align	6, 0x0
	.amdhsa_kernel _ZN2at6native29vectorized_elementwise_kernelILi16ENS0_11FillFunctorIN3c104HalfEEESt5arrayIPcLm1EEEEviT0_T1_
		.amdhsa_group_segment_fixed_size 0
		.amdhsa_private_segment_fixed_size 0
		.amdhsa_kernarg_size 16
		.amdhsa_user_sgpr_count 15
		.amdhsa_user_sgpr_dispatch_ptr 0
		.amdhsa_user_sgpr_queue_ptr 0
		.amdhsa_user_sgpr_kernarg_segment_ptr 1
		.amdhsa_user_sgpr_dispatch_id 0
		.amdhsa_user_sgpr_private_segment_size 0
		.amdhsa_wavefront_size32 1
		.amdhsa_uses_dynamic_stack 0
		.amdhsa_enable_private_segment 0
		.amdhsa_system_sgpr_workgroup_id_x 1
		.amdhsa_system_sgpr_workgroup_id_y 0
		.amdhsa_system_sgpr_workgroup_id_z 0
		.amdhsa_system_sgpr_workgroup_info 0
		.amdhsa_system_vgpr_workitem_id 0
		.amdhsa_next_free_vgpr 8
		.amdhsa_next_free_sgpr 16
		.amdhsa_reserve_vcc 1
		.amdhsa_float_round_mode_32 0
		.amdhsa_float_round_mode_16_64 0
		.amdhsa_float_denorm_mode_32 3
		.amdhsa_float_denorm_mode_16_64 3
		.amdhsa_dx10_clamp 1
		.amdhsa_ieee_mode 1
		.amdhsa_fp16_overflow 0
		.amdhsa_workgroup_processor_mode 1
		.amdhsa_memory_ordered 1
		.amdhsa_forward_progress 0
		.amdhsa_shared_vgpr_count 0
		.amdhsa_exception_fp_ieee_invalid_op 0
		.amdhsa_exception_fp_denorm_src 0
		.amdhsa_exception_fp_ieee_div_zero 0
		.amdhsa_exception_fp_ieee_overflow 0
		.amdhsa_exception_fp_ieee_underflow 0
		.amdhsa_exception_fp_ieee_inexact 0
		.amdhsa_exception_int_div_zero 0
	.end_amdhsa_kernel
	.section	.text._ZN2at6native29vectorized_elementwise_kernelILi16ENS0_11FillFunctorIN3c104HalfEEESt5arrayIPcLm1EEEEviT0_T1_,"axG",@progbits,_ZN2at6native29vectorized_elementwise_kernelILi16ENS0_11FillFunctorIN3c104HalfEEESt5arrayIPcLm1EEEEviT0_T1_,comdat
.Lfunc_end96:
	.size	_ZN2at6native29vectorized_elementwise_kernelILi16ENS0_11FillFunctorIN3c104HalfEEESt5arrayIPcLm1EEEEviT0_T1_, .Lfunc_end96-_ZN2at6native29vectorized_elementwise_kernelILi16ENS0_11FillFunctorIN3c104HalfEEESt5arrayIPcLm1EEEEviT0_T1_
                                        ; -- End function
	.section	.AMDGPU.csdata,"",@progbits
; Kernel info:
; codeLenInByte = 928
; NumSgprs: 18
; NumVgprs: 8
; ScratchSize: 0
; MemoryBound: 0
; FloatMode: 240
; IeeeMode: 1
; LDSByteSize: 0 bytes/workgroup (compile time only)
; SGPRBlocks: 2
; VGPRBlocks: 0
; NumSGPRsForWavesPerEU: 18
; NumVGPRsForWavesPerEU: 8
; Occupancy: 16
; WaveLimiterHint : 0
; COMPUTE_PGM_RSRC2:SCRATCH_EN: 0
; COMPUTE_PGM_RSRC2:USER_SGPR: 15
; COMPUTE_PGM_RSRC2:TRAP_HANDLER: 0
; COMPUTE_PGM_RSRC2:TGID_X_EN: 1
; COMPUTE_PGM_RSRC2:TGID_Y_EN: 0
; COMPUTE_PGM_RSRC2:TGID_Z_EN: 0
; COMPUTE_PGM_RSRC2:TIDIG_COMP_CNT: 0
	.section	.text._ZN2at6native29vectorized_elementwise_kernelILi8ENS0_11FillFunctorIN3c104HalfEEESt5arrayIPcLm1EEEEviT0_T1_,"axG",@progbits,_ZN2at6native29vectorized_elementwise_kernelILi8ENS0_11FillFunctorIN3c104HalfEEESt5arrayIPcLm1EEEEviT0_T1_,comdat
	.protected	_ZN2at6native29vectorized_elementwise_kernelILi8ENS0_11FillFunctorIN3c104HalfEEESt5arrayIPcLm1EEEEviT0_T1_ ; -- Begin function _ZN2at6native29vectorized_elementwise_kernelILi8ENS0_11FillFunctorIN3c104HalfEEESt5arrayIPcLm1EEEEviT0_T1_
	.globl	_ZN2at6native29vectorized_elementwise_kernelILi8ENS0_11FillFunctorIN3c104HalfEEESt5arrayIPcLm1EEEEviT0_T1_
	.p2align	8
	.type	_ZN2at6native29vectorized_elementwise_kernelILi8ENS0_11FillFunctorIN3c104HalfEEESt5arrayIPcLm1EEEEviT0_T1_,@function
_ZN2at6native29vectorized_elementwise_kernelILi8ENS0_11FillFunctorIN3c104HalfEEESt5arrayIPcLm1EEEEviT0_T1_: ; @_ZN2at6native29vectorized_elementwise_kernelILi8ENS0_11FillFunctorIN3c104HalfEEESt5arrayIPcLm1EEEEviT0_T1_
; %bb.0:
	s_load_b128 s[0:3], s[0:1], 0x0
	s_lshl_b32 s4, s15, 11
	s_waitcnt lgkmcnt(0)
	s_sub_i32 s0, s0, s4
	s_delay_alu instid0(SALU_CYCLE_1)
	s_cmpk_gt_i32 s0, 0x7ff
	s_cbranch_scc0 .LBB97_4
; %bb.1:
	s_ashr_i32 s5, s4, 31
	s_delay_alu instid0(SALU_CYCLE_1) | instskip(SKIP_1) | instid1(SALU_CYCLE_1)
	s_lshl_b64 s[6:7], s[4:5], 1
	s_pack_ll_b32_b16 s5, s1, s1
	v_dual_mov_b32 v3, s5 :: v_dual_lshlrev_b32 v6, 4, v0
	s_add_u32 s8, s2, s6
	s_addc_u32 s9, s3, s7
	v_mov_b32_e32 v7, s1
	s_delay_alu instid0(VALU_DEP_2) | instskip(SKIP_3) | instid1(VALU_DEP_4)
	v_add_co_u32 v1, s5, s8, v6
	v_mov_b32_e32 v4, v3
	v_add_co_ci_u32_e64 v2, null, s9, 0, s5
	v_mov_b32_e32 v5, v3
	v_add_co_u32 v1, vcc_lo, v1, 14
	s_delay_alu instid0(VALU_DEP_3)
	v_add_co_ci_u32_e32 v2, vcc_lo, 0, v2, vcc_lo
	s_mov_b32 s5, -1
	s_clause 0x1
	global_store_b16 v6, v7, s[8:9] offset:12
	global_store_b96 v6, v[3:5], s[8:9]
	s_cbranch_execz .LBB97_5
; %bb.2:
	s_and_saveexec_b32 s0, s5
	s_cbranch_execz .LBB97_16
.LBB97_3:
	v_mov_b32_e32 v0, s1
	global_store_b16 v[1:2], v0, off
	s_nop 0
	s_sendmsg sendmsg(MSG_DEALLOC_VGPRS)
	s_endpgm
.LBB97_4:
	s_mov_b32 s5, 0
                                        ; implicit-def: $vgpr1_vgpr2
.LBB97_5:
	s_mov_b32 s6, exec_lo
	v_cmpx_gt_i32_e64 s0, v0
	s_cbranch_execz .LBB97_17
; %bb.6:
	v_or_b32_e32 v1, s4, v0
	v_dual_mov_b32 v2, 0 :: v_dual_mov_b32 v3, s1
	v_or_b32_e32 v0, 0x100, v0
	s_delay_alu instid0(VALU_DEP_2) | instskip(NEXT) | instid1(VALU_DEP_1)
	v_lshlrev_b64 v[1:2], 1, v[1:2]
	v_add_co_u32 v1, vcc_lo, s2, v1
	s_delay_alu instid0(VALU_DEP_2) | instskip(SKIP_2) | instid1(SALU_CYCLE_1)
	v_add_co_ci_u32_e32 v2, vcc_lo, s3, v2, vcc_lo
	global_store_b16 v[1:2], v3, off
	s_or_b32 exec_lo, exec_lo, s6
	s_mov_b32 s6, exec_lo
	v_cmpx_gt_i32_e64 s0, v0
	s_cbranch_execnz .LBB97_18
.LBB97_7:
	s_or_b32 exec_lo, exec_lo, s6
	s_delay_alu instid0(SALU_CYCLE_1)
	s_mov_b32 s6, exec_lo
	v_cmpx_gt_i32_e64 s0, v0
	s_cbranch_execz .LBB97_19
.LBB97_8:
	v_dual_mov_b32 v2, 0 :: v_dual_add_nc_u32 v1, s4, v0
	v_dual_mov_b32 v3, s1 :: v_dual_add_nc_u32 v0, 0x100, v0
	s_delay_alu instid0(VALU_DEP_2) | instskip(NEXT) | instid1(VALU_DEP_1)
	v_lshlrev_b64 v[1:2], 1, v[1:2]
	v_add_co_u32 v1, vcc_lo, s2, v1
	s_delay_alu instid0(VALU_DEP_2) | instskip(SKIP_2) | instid1(SALU_CYCLE_1)
	v_add_co_ci_u32_e32 v2, vcc_lo, s3, v2, vcc_lo
	global_store_b16 v[1:2], v3, off
	s_or_b32 exec_lo, exec_lo, s6
	s_mov_b32 s6, exec_lo
	v_cmpx_gt_i32_e64 s0, v0
	s_cbranch_execnz .LBB97_20
.LBB97_9:
	s_or_b32 exec_lo, exec_lo, s6
	s_delay_alu instid0(SALU_CYCLE_1)
	s_mov_b32 s6, exec_lo
	v_cmpx_gt_i32_e64 s0, v0
	s_cbranch_execz .LBB97_21
.LBB97_10:
	v_dual_mov_b32 v2, 0 :: v_dual_add_nc_u32 v1, s4, v0
	v_dual_mov_b32 v3, s1 :: v_dual_add_nc_u32 v0, 0x100, v0
	s_delay_alu instid0(VALU_DEP_2) | instskip(NEXT) | instid1(VALU_DEP_1)
	v_lshlrev_b64 v[1:2], 1, v[1:2]
	v_add_co_u32 v1, vcc_lo, s2, v1
	s_delay_alu instid0(VALU_DEP_2) | instskip(SKIP_2) | instid1(SALU_CYCLE_1)
	v_add_co_ci_u32_e32 v2, vcc_lo, s3, v2, vcc_lo
	global_store_b16 v[1:2], v3, off
	s_or_b32 exec_lo, exec_lo, s6
	s_mov_b32 s6, exec_lo
	v_cmpx_gt_i32_e64 s0, v0
	s_cbranch_execnz .LBB97_22
.LBB97_11:
	s_or_b32 exec_lo, exec_lo, s6
	s_delay_alu instid0(SALU_CYCLE_1)
	s_mov_b32 s6, exec_lo
	v_cmpx_gt_i32_e64 s0, v0
	s_cbranch_execz .LBB97_13
.LBB97_12:
	v_dual_mov_b32 v2, 0 :: v_dual_add_nc_u32 v1, s4, v0
	v_dual_mov_b32 v3, s1 :: v_dual_add_nc_u32 v0, 0x100, v0
	s_delay_alu instid0(VALU_DEP_2) | instskip(NEXT) | instid1(VALU_DEP_1)
	v_lshlrev_b64 v[1:2], 1, v[1:2]
	v_add_co_u32 v1, vcc_lo, s2, v1
	s_delay_alu instid0(VALU_DEP_2)
	v_add_co_ci_u32_e32 v2, vcc_lo, s3, v2, vcc_lo
	global_store_b16 v[1:2], v3, off
.LBB97_13:
	s_or_b32 exec_lo, exec_lo, s6
	v_cmp_gt_i32_e32 vcc_lo, s0, v0
                                        ; implicit-def: $vgpr1_vgpr2
	s_and_saveexec_b32 s0, vcc_lo
; %bb.14:
	v_dual_mov_b32 v1, 0 :: v_dual_add_nc_u32 v0, s4, v0
	s_or_b32 s5, s5, exec_lo
	s_delay_alu instid0(VALU_DEP_1) | instskip(NEXT) | instid1(VALU_DEP_1)
	v_lshlrev_b64 v[1:2], 1, v[0:1]
	v_add_co_u32 v1, vcc_lo, s2, v1
	s_delay_alu instid0(VALU_DEP_2)
	v_add_co_ci_u32_e32 v2, vcc_lo, s3, v2, vcc_lo
; %bb.15:
	s_or_b32 exec_lo, exec_lo, s0
	s_and_saveexec_b32 s0, s5
	s_cbranch_execnz .LBB97_3
.LBB97_16:
	s_nop 0
	s_sendmsg sendmsg(MSG_DEALLOC_VGPRS)
	s_endpgm
.LBB97_17:
	s_or_b32 exec_lo, exec_lo, s6
	s_delay_alu instid0(SALU_CYCLE_1)
	s_mov_b32 s6, exec_lo
	v_cmpx_gt_i32_e64 s0, v0
	s_cbranch_execz .LBB97_7
.LBB97_18:
	v_dual_mov_b32 v2, 0 :: v_dual_add_nc_u32 v1, s4, v0
	v_dual_mov_b32 v3, s1 :: v_dual_add_nc_u32 v0, 0x100, v0
	s_delay_alu instid0(VALU_DEP_2) | instskip(NEXT) | instid1(VALU_DEP_1)
	v_lshlrev_b64 v[1:2], 1, v[1:2]
	v_add_co_u32 v1, vcc_lo, s2, v1
	s_delay_alu instid0(VALU_DEP_2) | instskip(SKIP_2) | instid1(SALU_CYCLE_1)
	v_add_co_ci_u32_e32 v2, vcc_lo, s3, v2, vcc_lo
	global_store_b16 v[1:2], v3, off
	s_or_b32 exec_lo, exec_lo, s6
	s_mov_b32 s6, exec_lo
	v_cmpx_gt_i32_e64 s0, v0
	s_cbranch_execnz .LBB97_8
.LBB97_19:
	s_or_b32 exec_lo, exec_lo, s6
	s_delay_alu instid0(SALU_CYCLE_1)
	s_mov_b32 s6, exec_lo
	v_cmpx_gt_i32_e64 s0, v0
	s_cbranch_execz .LBB97_9
.LBB97_20:
	v_dual_mov_b32 v2, 0 :: v_dual_add_nc_u32 v1, s4, v0
	v_dual_mov_b32 v3, s1 :: v_dual_add_nc_u32 v0, 0x100, v0
	s_delay_alu instid0(VALU_DEP_2) | instskip(NEXT) | instid1(VALU_DEP_1)
	v_lshlrev_b64 v[1:2], 1, v[1:2]
	v_add_co_u32 v1, vcc_lo, s2, v1
	s_delay_alu instid0(VALU_DEP_2) | instskip(SKIP_2) | instid1(SALU_CYCLE_1)
	v_add_co_ci_u32_e32 v2, vcc_lo, s3, v2, vcc_lo
	global_store_b16 v[1:2], v3, off
	s_or_b32 exec_lo, exec_lo, s6
	s_mov_b32 s6, exec_lo
	v_cmpx_gt_i32_e64 s0, v0
	s_cbranch_execnz .LBB97_10
.LBB97_21:
	s_or_b32 exec_lo, exec_lo, s6
	s_delay_alu instid0(SALU_CYCLE_1)
	s_mov_b32 s6, exec_lo
	v_cmpx_gt_i32_e64 s0, v0
	s_cbranch_execz .LBB97_11
.LBB97_22:
	v_dual_mov_b32 v2, 0 :: v_dual_add_nc_u32 v1, s4, v0
	v_dual_mov_b32 v3, s1 :: v_dual_add_nc_u32 v0, 0x100, v0
	s_delay_alu instid0(VALU_DEP_2) | instskip(NEXT) | instid1(VALU_DEP_1)
	v_lshlrev_b64 v[1:2], 1, v[1:2]
	v_add_co_u32 v1, vcc_lo, s2, v1
	s_delay_alu instid0(VALU_DEP_2) | instskip(SKIP_2) | instid1(SALU_CYCLE_1)
	v_add_co_ci_u32_e32 v2, vcc_lo, s3, v2, vcc_lo
	global_store_b16 v[1:2], v3, off
	s_or_b32 exec_lo, exec_lo, s6
	s_mov_b32 s6, exec_lo
	v_cmpx_gt_i32_e64 s0, v0
	s_cbranch_execz .LBB97_13
	s_branch .LBB97_12
	.section	.rodata,"a",@progbits
	.p2align	6, 0x0
	.amdhsa_kernel _ZN2at6native29vectorized_elementwise_kernelILi8ENS0_11FillFunctorIN3c104HalfEEESt5arrayIPcLm1EEEEviT0_T1_
		.amdhsa_group_segment_fixed_size 0
		.amdhsa_private_segment_fixed_size 0
		.amdhsa_kernarg_size 16
		.amdhsa_user_sgpr_count 15
		.amdhsa_user_sgpr_dispatch_ptr 0
		.amdhsa_user_sgpr_queue_ptr 0
		.amdhsa_user_sgpr_kernarg_segment_ptr 1
		.amdhsa_user_sgpr_dispatch_id 0
		.amdhsa_user_sgpr_private_segment_size 0
		.amdhsa_wavefront_size32 1
		.amdhsa_uses_dynamic_stack 0
		.amdhsa_enable_private_segment 0
		.amdhsa_system_sgpr_workgroup_id_x 1
		.amdhsa_system_sgpr_workgroup_id_y 0
		.amdhsa_system_sgpr_workgroup_id_z 0
		.amdhsa_system_sgpr_workgroup_info 0
		.amdhsa_system_vgpr_workitem_id 0
		.amdhsa_next_free_vgpr 8
		.amdhsa_next_free_sgpr 16
		.amdhsa_reserve_vcc 1
		.amdhsa_float_round_mode_32 0
		.amdhsa_float_round_mode_16_64 0
		.amdhsa_float_denorm_mode_32 3
		.amdhsa_float_denorm_mode_16_64 3
		.amdhsa_dx10_clamp 1
		.amdhsa_ieee_mode 1
		.amdhsa_fp16_overflow 0
		.amdhsa_workgroup_processor_mode 1
		.amdhsa_memory_ordered 1
		.amdhsa_forward_progress 0
		.amdhsa_shared_vgpr_count 0
		.amdhsa_exception_fp_ieee_invalid_op 0
		.amdhsa_exception_fp_denorm_src 0
		.amdhsa_exception_fp_ieee_div_zero 0
		.amdhsa_exception_fp_ieee_overflow 0
		.amdhsa_exception_fp_ieee_underflow 0
		.amdhsa_exception_fp_ieee_inexact 0
		.amdhsa_exception_int_div_zero 0
	.end_amdhsa_kernel
	.section	.text._ZN2at6native29vectorized_elementwise_kernelILi8ENS0_11FillFunctorIN3c104HalfEEESt5arrayIPcLm1EEEEviT0_T1_,"axG",@progbits,_ZN2at6native29vectorized_elementwise_kernelILi8ENS0_11FillFunctorIN3c104HalfEEESt5arrayIPcLm1EEEEviT0_T1_,comdat
.Lfunc_end97:
	.size	_ZN2at6native29vectorized_elementwise_kernelILi8ENS0_11FillFunctorIN3c104HalfEEESt5arrayIPcLm1EEEEviT0_T1_, .Lfunc_end97-_ZN2at6native29vectorized_elementwise_kernelILi8ENS0_11FillFunctorIN3c104HalfEEESt5arrayIPcLm1EEEEviT0_T1_
                                        ; -- End function
	.section	.AMDGPU.csdata,"",@progbits
; Kernel info:
; codeLenInByte = 928
; NumSgprs: 18
; NumVgprs: 8
; ScratchSize: 0
; MemoryBound: 0
; FloatMode: 240
; IeeeMode: 1
; LDSByteSize: 0 bytes/workgroup (compile time only)
; SGPRBlocks: 2
; VGPRBlocks: 0
; NumSGPRsForWavesPerEU: 18
; NumVGPRsForWavesPerEU: 8
; Occupancy: 16
; WaveLimiterHint : 0
; COMPUTE_PGM_RSRC2:SCRATCH_EN: 0
; COMPUTE_PGM_RSRC2:USER_SGPR: 15
; COMPUTE_PGM_RSRC2:TRAP_HANDLER: 0
; COMPUTE_PGM_RSRC2:TGID_X_EN: 1
; COMPUTE_PGM_RSRC2:TGID_Y_EN: 0
; COMPUTE_PGM_RSRC2:TGID_Z_EN: 0
; COMPUTE_PGM_RSRC2:TIDIG_COMP_CNT: 0
	.section	.text._ZN2at6native29vectorized_elementwise_kernelILi4ENS0_11FillFunctorIN3c104HalfEEESt5arrayIPcLm1EEEEviT0_T1_,"axG",@progbits,_ZN2at6native29vectorized_elementwise_kernelILi4ENS0_11FillFunctorIN3c104HalfEEESt5arrayIPcLm1EEEEviT0_T1_,comdat
	.protected	_ZN2at6native29vectorized_elementwise_kernelILi4ENS0_11FillFunctorIN3c104HalfEEESt5arrayIPcLm1EEEEviT0_T1_ ; -- Begin function _ZN2at6native29vectorized_elementwise_kernelILi4ENS0_11FillFunctorIN3c104HalfEEESt5arrayIPcLm1EEEEviT0_T1_
	.globl	_ZN2at6native29vectorized_elementwise_kernelILi4ENS0_11FillFunctorIN3c104HalfEEESt5arrayIPcLm1EEEEviT0_T1_
	.p2align	8
	.type	_ZN2at6native29vectorized_elementwise_kernelILi4ENS0_11FillFunctorIN3c104HalfEEESt5arrayIPcLm1EEEEviT0_T1_,@function
_ZN2at6native29vectorized_elementwise_kernelILi4ENS0_11FillFunctorIN3c104HalfEEESt5arrayIPcLm1EEEEviT0_T1_: ; @_ZN2at6native29vectorized_elementwise_kernelILi4ENS0_11FillFunctorIN3c104HalfEEESt5arrayIPcLm1EEEEviT0_T1_
; %bb.0:
	s_load_b128 s[0:3], s[0:1], 0x0
	s_lshl_b32 s4, s15, 11
	s_mov_b32 s5, -1
	s_waitcnt lgkmcnt(0)
	s_sub_i32 s0, s0, s4
	s_delay_alu instid0(SALU_CYCLE_1)
	s_cmpk_gt_i32 s0, 0x7ff
	s_cbranch_scc0 .LBB98_2
; %bb.1:
	s_ashr_i32 s5, s4, 31
	s_delay_alu instid0(SALU_CYCLE_1) | instskip(NEXT) | instid1(SALU_CYCLE_1)
	s_lshl_b64 s[6:7], s[4:5], 1
	s_add_u32 s6, s2, s6
	s_addc_u32 s7, s3, s7
	s_and_b32 s5, 0xffff, s1
	s_delay_alu instid0(SALU_CYCLE_1)
	s_mul_i32 s8, s5, 0x10001
	s_mov_b32 s5, 0
	s_mov_b32 s9, s8
	v_mov_b32_e32 v1, s8
	v_dual_mov_b32 v2, s9 :: v_dual_lshlrev_b32 v3, 3, v0
	s_clause 0x1
	global_store_b64 v3, v[1:2], s[6:7]
	global_store_b64 v3, v[1:2], s[6:7] offset:2048
.LBB98_2:
	s_and_not1_b32 vcc_lo, exec_lo, s5
	s_cbranch_vccnz .LBB98_12
; %bb.3:
	s_mov_b32 s5, exec_lo
	v_cmpx_gt_i32_e64 s0, v0
	s_cbranch_execnz .LBB98_13
; %bb.4:
	s_or_b32 exec_lo, exec_lo, s5
	s_delay_alu instid0(SALU_CYCLE_1)
	s_mov_b32 s5, exec_lo
	v_cmpx_gt_i32_e64 s0, v0
	s_cbranch_execnz .LBB98_14
.LBB98_5:
	s_or_b32 exec_lo, exec_lo, s5
	s_delay_alu instid0(SALU_CYCLE_1)
	s_mov_b32 s5, exec_lo
	v_cmpx_gt_i32_e64 s0, v0
	s_cbranch_execnz .LBB98_15
.LBB98_6:
	s_or_b32 exec_lo, exec_lo, s5
	s_delay_alu instid0(SALU_CYCLE_1)
	s_mov_b32 s5, exec_lo
	v_cmpx_gt_i32_e64 s0, v0
	s_cbranch_execnz .LBB98_16
.LBB98_7:
	s_or_b32 exec_lo, exec_lo, s5
	s_delay_alu instid0(SALU_CYCLE_1)
	s_mov_b32 s5, exec_lo
	v_cmpx_gt_i32_e64 s0, v0
	s_cbranch_execnz .LBB98_17
.LBB98_8:
	s_or_b32 exec_lo, exec_lo, s5
	s_delay_alu instid0(SALU_CYCLE_1)
	s_mov_b32 s5, exec_lo
	v_cmpx_gt_i32_e64 s0, v0
	s_cbranch_execnz .LBB98_18
.LBB98_9:
	s_or_b32 exec_lo, exec_lo, s5
	s_delay_alu instid0(SALU_CYCLE_1)
	s_mov_b32 s5, exec_lo
	v_cmpx_gt_i32_e64 s0, v0
	s_cbranch_execnz .LBB98_19
.LBB98_10:
	s_or_b32 exec_lo, exec_lo, s5
	v_cmp_gt_i32_e32 vcc_lo, s0, v0
	s_and_saveexec_b32 s0, vcc_lo
	s_cbranch_execz .LBB98_12
.LBB98_11:
	v_dual_mov_b32 v1, 0 :: v_dual_add_nc_u32 v0, s4, v0
	v_mov_b32_e32 v2, s1
	s_delay_alu instid0(VALU_DEP_2) | instskip(NEXT) | instid1(VALU_DEP_1)
	v_lshlrev_b64 v[0:1], 1, v[0:1]
	v_add_co_u32 v0, vcc_lo, s2, v0
	s_delay_alu instid0(VALU_DEP_2)
	v_add_co_ci_u32_e32 v1, vcc_lo, s3, v1, vcc_lo
	global_store_b16 v[0:1], v2, off
.LBB98_12:
	s_nop 0
	s_sendmsg sendmsg(MSG_DEALLOC_VGPRS)
	s_endpgm
.LBB98_13:
	v_or_b32_e32 v1, s4, v0
	v_dual_mov_b32 v2, 0 :: v_dual_mov_b32 v3, s1
	v_or_b32_e32 v0, 0x100, v0
	s_delay_alu instid0(VALU_DEP_2) | instskip(NEXT) | instid1(VALU_DEP_1)
	v_lshlrev_b64 v[1:2], 1, v[1:2]
	v_add_co_u32 v1, vcc_lo, s2, v1
	s_delay_alu instid0(VALU_DEP_2) | instskip(SKIP_2) | instid1(SALU_CYCLE_1)
	v_add_co_ci_u32_e32 v2, vcc_lo, s3, v2, vcc_lo
	global_store_b16 v[1:2], v3, off
	s_or_b32 exec_lo, exec_lo, s5
	s_mov_b32 s5, exec_lo
	v_cmpx_gt_i32_e64 s0, v0
	s_cbranch_execz .LBB98_5
.LBB98_14:
	v_dual_mov_b32 v2, 0 :: v_dual_add_nc_u32 v1, s4, v0
	v_dual_mov_b32 v3, s1 :: v_dual_add_nc_u32 v0, 0x100, v0
	s_delay_alu instid0(VALU_DEP_2) | instskip(NEXT) | instid1(VALU_DEP_1)
	v_lshlrev_b64 v[1:2], 1, v[1:2]
	v_add_co_u32 v1, vcc_lo, s2, v1
	s_delay_alu instid0(VALU_DEP_2) | instskip(SKIP_2) | instid1(SALU_CYCLE_1)
	v_add_co_ci_u32_e32 v2, vcc_lo, s3, v2, vcc_lo
	global_store_b16 v[1:2], v3, off
	s_or_b32 exec_lo, exec_lo, s5
	s_mov_b32 s5, exec_lo
	v_cmpx_gt_i32_e64 s0, v0
	s_cbranch_execz .LBB98_6
.LBB98_15:
	v_dual_mov_b32 v2, 0 :: v_dual_add_nc_u32 v1, s4, v0
	v_dual_mov_b32 v3, s1 :: v_dual_add_nc_u32 v0, 0x100, v0
	s_delay_alu instid0(VALU_DEP_2) | instskip(NEXT) | instid1(VALU_DEP_1)
	v_lshlrev_b64 v[1:2], 1, v[1:2]
	v_add_co_u32 v1, vcc_lo, s2, v1
	s_delay_alu instid0(VALU_DEP_2) | instskip(SKIP_2) | instid1(SALU_CYCLE_1)
	v_add_co_ci_u32_e32 v2, vcc_lo, s3, v2, vcc_lo
	global_store_b16 v[1:2], v3, off
	s_or_b32 exec_lo, exec_lo, s5
	s_mov_b32 s5, exec_lo
	v_cmpx_gt_i32_e64 s0, v0
	s_cbranch_execz .LBB98_7
.LBB98_16:
	v_dual_mov_b32 v2, 0 :: v_dual_add_nc_u32 v1, s4, v0
	v_dual_mov_b32 v3, s1 :: v_dual_add_nc_u32 v0, 0x100, v0
	s_delay_alu instid0(VALU_DEP_2) | instskip(NEXT) | instid1(VALU_DEP_1)
	v_lshlrev_b64 v[1:2], 1, v[1:2]
	v_add_co_u32 v1, vcc_lo, s2, v1
	s_delay_alu instid0(VALU_DEP_2) | instskip(SKIP_2) | instid1(SALU_CYCLE_1)
	v_add_co_ci_u32_e32 v2, vcc_lo, s3, v2, vcc_lo
	global_store_b16 v[1:2], v3, off
	s_or_b32 exec_lo, exec_lo, s5
	s_mov_b32 s5, exec_lo
	v_cmpx_gt_i32_e64 s0, v0
	s_cbranch_execz .LBB98_8
.LBB98_17:
	v_dual_mov_b32 v2, 0 :: v_dual_add_nc_u32 v1, s4, v0
	v_dual_mov_b32 v3, s1 :: v_dual_add_nc_u32 v0, 0x100, v0
	s_delay_alu instid0(VALU_DEP_2) | instskip(NEXT) | instid1(VALU_DEP_1)
	v_lshlrev_b64 v[1:2], 1, v[1:2]
	v_add_co_u32 v1, vcc_lo, s2, v1
	s_delay_alu instid0(VALU_DEP_2) | instskip(SKIP_2) | instid1(SALU_CYCLE_1)
	v_add_co_ci_u32_e32 v2, vcc_lo, s3, v2, vcc_lo
	global_store_b16 v[1:2], v3, off
	s_or_b32 exec_lo, exec_lo, s5
	s_mov_b32 s5, exec_lo
	v_cmpx_gt_i32_e64 s0, v0
	s_cbranch_execz .LBB98_9
.LBB98_18:
	v_dual_mov_b32 v2, 0 :: v_dual_add_nc_u32 v1, s4, v0
	v_dual_mov_b32 v3, s1 :: v_dual_add_nc_u32 v0, 0x100, v0
	s_delay_alu instid0(VALU_DEP_2) | instskip(NEXT) | instid1(VALU_DEP_1)
	v_lshlrev_b64 v[1:2], 1, v[1:2]
	v_add_co_u32 v1, vcc_lo, s2, v1
	s_delay_alu instid0(VALU_DEP_2) | instskip(SKIP_2) | instid1(SALU_CYCLE_1)
	v_add_co_ci_u32_e32 v2, vcc_lo, s3, v2, vcc_lo
	global_store_b16 v[1:2], v3, off
	s_or_b32 exec_lo, exec_lo, s5
	s_mov_b32 s5, exec_lo
	v_cmpx_gt_i32_e64 s0, v0
	s_cbranch_execz .LBB98_10
.LBB98_19:
	v_dual_mov_b32 v2, 0 :: v_dual_add_nc_u32 v1, s4, v0
	v_dual_mov_b32 v3, s1 :: v_dual_add_nc_u32 v0, 0x100, v0
	s_delay_alu instid0(VALU_DEP_2) | instskip(NEXT) | instid1(VALU_DEP_1)
	v_lshlrev_b64 v[1:2], 1, v[1:2]
	v_add_co_u32 v1, vcc_lo, s2, v1
	s_delay_alu instid0(VALU_DEP_2)
	v_add_co_ci_u32_e32 v2, vcc_lo, s3, v2, vcc_lo
	global_store_b16 v[1:2], v3, off
	s_or_b32 exec_lo, exec_lo, s5
	v_cmp_gt_i32_e32 vcc_lo, s0, v0
	s_and_saveexec_b32 s0, vcc_lo
	s_cbranch_execnz .LBB98_11
	s_branch .LBB98_12
	.section	.rodata,"a",@progbits
	.p2align	6, 0x0
	.amdhsa_kernel _ZN2at6native29vectorized_elementwise_kernelILi4ENS0_11FillFunctorIN3c104HalfEEESt5arrayIPcLm1EEEEviT0_T1_
		.amdhsa_group_segment_fixed_size 0
		.amdhsa_private_segment_fixed_size 0
		.amdhsa_kernarg_size 16
		.amdhsa_user_sgpr_count 15
		.amdhsa_user_sgpr_dispatch_ptr 0
		.amdhsa_user_sgpr_queue_ptr 0
		.amdhsa_user_sgpr_kernarg_segment_ptr 1
		.amdhsa_user_sgpr_dispatch_id 0
		.amdhsa_user_sgpr_private_segment_size 0
		.amdhsa_wavefront_size32 1
		.amdhsa_uses_dynamic_stack 0
		.amdhsa_enable_private_segment 0
		.amdhsa_system_sgpr_workgroup_id_x 1
		.amdhsa_system_sgpr_workgroup_id_y 0
		.amdhsa_system_sgpr_workgroup_id_z 0
		.amdhsa_system_sgpr_workgroup_info 0
		.amdhsa_system_vgpr_workitem_id 0
		.amdhsa_next_free_vgpr 4
		.amdhsa_next_free_sgpr 16
		.amdhsa_reserve_vcc 1
		.amdhsa_float_round_mode_32 0
		.amdhsa_float_round_mode_16_64 0
		.amdhsa_float_denorm_mode_32 3
		.amdhsa_float_denorm_mode_16_64 3
		.amdhsa_dx10_clamp 1
		.amdhsa_ieee_mode 1
		.amdhsa_fp16_overflow 0
		.amdhsa_workgroup_processor_mode 1
		.amdhsa_memory_ordered 1
		.amdhsa_forward_progress 0
		.amdhsa_shared_vgpr_count 0
		.amdhsa_exception_fp_ieee_invalid_op 0
		.amdhsa_exception_fp_denorm_src 0
		.amdhsa_exception_fp_ieee_div_zero 0
		.amdhsa_exception_fp_ieee_overflow 0
		.amdhsa_exception_fp_ieee_underflow 0
		.amdhsa_exception_fp_ieee_inexact 0
		.amdhsa_exception_int_div_zero 0
	.end_amdhsa_kernel
	.section	.text._ZN2at6native29vectorized_elementwise_kernelILi4ENS0_11FillFunctorIN3c104HalfEEESt5arrayIPcLm1EEEEviT0_T1_,"axG",@progbits,_ZN2at6native29vectorized_elementwise_kernelILi4ENS0_11FillFunctorIN3c104HalfEEESt5arrayIPcLm1EEEEviT0_T1_,comdat
.Lfunc_end98:
	.size	_ZN2at6native29vectorized_elementwise_kernelILi4ENS0_11FillFunctorIN3c104HalfEEESt5arrayIPcLm1EEEEviT0_T1_, .Lfunc_end98-_ZN2at6native29vectorized_elementwise_kernelILi4ENS0_11FillFunctorIN3c104HalfEEESt5arrayIPcLm1EEEEviT0_T1_
                                        ; -- End function
	.section	.AMDGPU.csdata,"",@progbits
; Kernel info:
; codeLenInByte = 892
; NumSgprs: 18
; NumVgprs: 4
; ScratchSize: 0
; MemoryBound: 0
; FloatMode: 240
; IeeeMode: 1
; LDSByteSize: 0 bytes/workgroup (compile time only)
; SGPRBlocks: 2
; VGPRBlocks: 0
; NumSGPRsForWavesPerEU: 18
; NumVGPRsForWavesPerEU: 4
; Occupancy: 16
; WaveLimiterHint : 1
; COMPUTE_PGM_RSRC2:SCRATCH_EN: 0
; COMPUTE_PGM_RSRC2:USER_SGPR: 15
; COMPUTE_PGM_RSRC2:TRAP_HANDLER: 0
; COMPUTE_PGM_RSRC2:TGID_X_EN: 1
; COMPUTE_PGM_RSRC2:TGID_Y_EN: 0
; COMPUTE_PGM_RSRC2:TGID_Z_EN: 0
; COMPUTE_PGM_RSRC2:TIDIG_COMP_CNT: 0
	.section	.text._ZN2at6native29vectorized_elementwise_kernelILi2ENS0_11FillFunctorIN3c104HalfEEESt5arrayIPcLm1EEEEviT0_T1_,"axG",@progbits,_ZN2at6native29vectorized_elementwise_kernelILi2ENS0_11FillFunctorIN3c104HalfEEESt5arrayIPcLm1EEEEviT0_T1_,comdat
	.protected	_ZN2at6native29vectorized_elementwise_kernelILi2ENS0_11FillFunctorIN3c104HalfEEESt5arrayIPcLm1EEEEviT0_T1_ ; -- Begin function _ZN2at6native29vectorized_elementwise_kernelILi2ENS0_11FillFunctorIN3c104HalfEEESt5arrayIPcLm1EEEEviT0_T1_
	.globl	_ZN2at6native29vectorized_elementwise_kernelILi2ENS0_11FillFunctorIN3c104HalfEEESt5arrayIPcLm1EEEEviT0_T1_
	.p2align	8
	.type	_ZN2at6native29vectorized_elementwise_kernelILi2ENS0_11FillFunctorIN3c104HalfEEESt5arrayIPcLm1EEEEviT0_T1_,@function
_ZN2at6native29vectorized_elementwise_kernelILi2ENS0_11FillFunctorIN3c104HalfEEESt5arrayIPcLm1EEEEviT0_T1_: ; @_ZN2at6native29vectorized_elementwise_kernelILi2ENS0_11FillFunctorIN3c104HalfEEESt5arrayIPcLm1EEEEviT0_T1_
; %bb.0:
	s_load_b128 s[0:3], s[0:1], 0x0
	s_lshl_b32 s4, s15, 11
	s_mov_b32 s5, -1
	s_waitcnt lgkmcnt(0)
	s_sub_i32 s0, s0, s4
	s_delay_alu instid0(SALU_CYCLE_1)
	s_cmpk_gt_i32 s0, 0x7ff
	s_cbranch_scc0 .LBB99_2
; %bb.1:
	s_ashr_i32 s5, s4, 31
	s_delay_alu instid0(SALU_CYCLE_1) | instskip(NEXT) | instid1(SALU_CYCLE_1)
	s_lshl_b64 s[6:7], s[4:5], 1
	s_add_u32 s6, s2, s6
	s_addc_u32 s7, s3, s7
	s_and_b32 s5, 0xffff, s1
	s_delay_alu instid0(SALU_CYCLE_1) | instskip(NEXT) | instid1(SALU_CYCLE_1)
	s_mul_i32 s5, s5, 0x10001
	v_dual_mov_b32 v2, s5 :: v_dual_lshlrev_b32 v1, 2, v0
	s_mov_b32 s5, 0
	s_clause 0x3
	global_store_b32 v1, v2, s[6:7]
	global_store_b32 v1, v2, s[6:7] offset:1024
	global_store_b32 v1, v2, s[6:7] offset:2048
	;; [unrolled: 1-line block ×3, first 2 shown]
.LBB99_2:
	s_and_not1_b32 vcc_lo, exec_lo, s5
	s_cbranch_vccnz .LBB99_12
; %bb.3:
	s_mov_b32 s5, exec_lo
	v_cmpx_gt_i32_e64 s0, v0
	s_cbranch_execnz .LBB99_13
; %bb.4:
	s_or_b32 exec_lo, exec_lo, s5
	s_delay_alu instid0(SALU_CYCLE_1)
	s_mov_b32 s5, exec_lo
	v_cmpx_gt_i32_e64 s0, v0
	s_cbranch_execnz .LBB99_14
.LBB99_5:
	s_or_b32 exec_lo, exec_lo, s5
	s_delay_alu instid0(SALU_CYCLE_1)
	s_mov_b32 s5, exec_lo
	v_cmpx_gt_i32_e64 s0, v0
	s_cbranch_execnz .LBB99_15
.LBB99_6:
	s_or_b32 exec_lo, exec_lo, s5
	s_delay_alu instid0(SALU_CYCLE_1)
	s_mov_b32 s5, exec_lo
	v_cmpx_gt_i32_e64 s0, v0
	s_cbranch_execnz .LBB99_16
.LBB99_7:
	s_or_b32 exec_lo, exec_lo, s5
	s_delay_alu instid0(SALU_CYCLE_1)
	s_mov_b32 s5, exec_lo
	v_cmpx_gt_i32_e64 s0, v0
	s_cbranch_execnz .LBB99_17
.LBB99_8:
	s_or_b32 exec_lo, exec_lo, s5
	s_delay_alu instid0(SALU_CYCLE_1)
	s_mov_b32 s5, exec_lo
	v_cmpx_gt_i32_e64 s0, v0
	s_cbranch_execnz .LBB99_18
.LBB99_9:
	s_or_b32 exec_lo, exec_lo, s5
	s_delay_alu instid0(SALU_CYCLE_1)
	s_mov_b32 s5, exec_lo
	v_cmpx_gt_i32_e64 s0, v0
	s_cbranch_execnz .LBB99_19
.LBB99_10:
	s_or_b32 exec_lo, exec_lo, s5
	v_cmp_gt_i32_e32 vcc_lo, s0, v0
	s_and_saveexec_b32 s0, vcc_lo
	s_cbranch_execz .LBB99_12
.LBB99_11:
	v_dual_mov_b32 v1, 0 :: v_dual_add_nc_u32 v0, s4, v0
	v_mov_b32_e32 v2, s1
	s_delay_alu instid0(VALU_DEP_2) | instskip(NEXT) | instid1(VALU_DEP_1)
	v_lshlrev_b64 v[0:1], 1, v[0:1]
	v_add_co_u32 v0, vcc_lo, s2, v0
	s_delay_alu instid0(VALU_DEP_2)
	v_add_co_ci_u32_e32 v1, vcc_lo, s3, v1, vcc_lo
	global_store_b16 v[0:1], v2, off
.LBB99_12:
	s_nop 0
	s_sendmsg sendmsg(MSG_DEALLOC_VGPRS)
	s_endpgm
.LBB99_13:
	v_or_b32_e32 v1, s4, v0
	v_dual_mov_b32 v2, 0 :: v_dual_mov_b32 v3, s1
	v_or_b32_e32 v0, 0x100, v0
	s_delay_alu instid0(VALU_DEP_2) | instskip(NEXT) | instid1(VALU_DEP_1)
	v_lshlrev_b64 v[1:2], 1, v[1:2]
	v_add_co_u32 v1, vcc_lo, s2, v1
	s_delay_alu instid0(VALU_DEP_2) | instskip(SKIP_2) | instid1(SALU_CYCLE_1)
	v_add_co_ci_u32_e32 v2, vcc_lo, s3, v2, vcc_lo
	global_store_b16 v[1:2], v3, off
	s_or_b32 exec_lo, exec_lo, s5
	s_mov_b32 s5, exec_lo
	v_cmpx_gt_i32_e64 s0, v0
	s_cbranch_execz .LBB99_5
.LBB99_14:
	v_dual_mov_b32 v2, 0 :: v_dual_add_nc_u32 v1, s4, v0
	v_dual_mov_b32 v3, s1 :: v_dual_add_nc_u32 v0, 0x100, v0
	s_delay_alu instid0(VALU_DEP_2) | instskip(NEXT) | instid1(VALU_DEP_1)
	v_lshlrev_b64 v[1:2], 1, v[1:2]
	v_add_co_u32 v1, vcc_lo, s2, v1
	s_delay_alu instid0(VALU_DEP_2) | instskip(SKIP_2) | instid1(SALU_CYCLE_1)
	v_add_co_ci_u32_e32 v2, vcc_lo, s3, v2, vcc_lo
	global_store_b16 v[1:2], v3, off
	s_or_b32 exec_lo, exec_lo, s5
	s_mov_b32 s5, exec_lo
	v_cmpx_gt_i32_e64 s0, v0
	s_cbranch_execz .LBB99_6
.LBB99_15:
	v_dual_mov_b32 v2, 0 :: v_dual_add_nc_u32 v1, s4, v0
	v_dual_mov_b32 v3, s1 :: v_dual_add_nc_u32 v0, 0x100, v0
	s_delay_alu instid0(VALU_DEP_2) | instskip(NEXT) | instid1(VALU_DEP_1)
	v_lshlrev_b64 v[1:2], 1, v[1:2]
	v_add_co_u32 v1, vcc_lo, s2, v1
	s_delay_alu instid0(VALU_DEP_2) | instskip(SKIP_2) | instid1(SALU_CYCLE_1)
	v_add_co_ci_u32_e32 v2, vcc_lo, s3, v2, vcc_lo
	global_store_b16 v[1:2], v3, off
	s_or_b32 exec_lo, exec_lo, s5
	s_mov_b32 s5, exec_lo
	v_cmpx_gt_i32_e64 s0, v0
	s_cbranch_execz .LBB99_7
.LBB99_16:
	v_dual_mov_b32 v2, 0 :: v_dual_add_nc_u32 v1, s4, v0
	v_dual_mov_b32 v3, s1 :: v_dual_add_nc_u32 v0, 0x100, v0
	s_delay_alu instid0(VALU_DEP_2) | instskip(NEXT) | instid1(VALU_DEP_1)
	v_lshlrev_b64 v[1:2], 1, v[1:2]
	v_add_co_u32 v1, vcc_lo, s2, v1
	s_delay_alu instid0(VALU_DEP_2) | instskip(SKIP_2) | instid1(SALU_CYCLE_1)
	v_add_co_ci_u32_e32 v2, vcc_lo, s3, v2, vcc_lo
	global_store_b16 v[1:2], v3, off
	s_or_b32 exec_lo, exec_lo, s5
	s_mov_b32 s5, exec_lo
	v_cmpx_gt_i32_e64 s0, v0
	s_cbranch_execz .LBB99_8
.LBB99_17:
	v_dual_mov_b32 v2, 0 :: v_dual_add_nc_u32 v1, s4, v0
	v_dual_mov_b32 v3, s1 :: v_dual_add_nc_u32 v0, 0x100, v0
	s_delay_alu instid0(VALU_DEP_2) | instskip(NEXT) | instid1(VALU_DEP_1)
	v_lshlrev_b64 v[1:2], 1, v[1:2]
	v_add_co_u32 v1, vcc_lo, s2, v1
	s_delay_alu instid0(VALU_DEP_2) | instskip(SKIP_2) | instid1(SALU_CYCLE_1)
	v_add_co_ci_u32_e32 v2, vcc_lo, s3, v2, vcc_lo
	global_store_b16 v[1:2], v3, off
	s_or_b32 exec_lo, exec_lo, s5
	s_mov_b32 s5, exec_lo
	v_cmpx_gt_i32_e64 s0, v0
	s_cbranch_execz .LBB99_9
.LBB99_18:
	v_dual_mov_b32 v2, 0 :: v_dual_add_nc_u32 v1, s4, v0
	v_dual_mov_b32 v3, s1 :: v_dual_add_nc_u32 v0, 0x100, v0
	s_delay_alu instid0(VALU_DEP_2) | instskip(NEXT) | instid1(VALU_DEP_1)
	v_lshlrev_b64 v[1:2], 1, v[1:2]
	v_add_co_u32 v1, vcc_lo, s2, v1
	s_delay_alu instid0(VALU_DEP_2) | instskip(SKIP_2) | instid1(SALU_CYCLE_1)
	v_add_co_ci_u32_e32 v2, vcc_lo, s3, v2, vcc_lo
	global_store_b16 v[1:2], v3, off
	s_or_b32 exec_lo, exec_lo, s5
	s_mov_b32 s5, exec_lo
	v_cmpx_gt_i32_e64 s0, v0
	s_cbranch_execz .LBB99_10
.LBB99_19:
	v_dual_mov_b32 v2, 0 :: v_dual_add_nc_u32 v1, s4, v0
	v_dual_mov_b32 v3, s1 :: v_dual_add_nc_u32 v0, 0x100, v0
	s_delay_alu instid0(VALU_DEP_2) | instskip(NEXT) | instid1(VALU_DEP_1)
	v_lshlrev_b64 v[1:2], 1, v[1:2]
	v_add_co_u32 v1, vcc_lo, s2, v1
	s_delay_alu instid0(VALU_DEP_2)
	v_add_co_ci_u32_e32 v2, vcc_lo, s3, v2, vcc_lo
	global_store_b16 v[1:2], v3, off
	s_or_b32 exec_lo, exec_lo, s5
	v_cmp_gt_i32_e32 vcc_lo, s0, v0
	s_and_saveexec_b32 s0, vcc_lo
	s_cbranch_execnz .LBB99_11
	s_branch .LBB99_12
	.section	.rodata,"a",@progbits
	.p2align	6, 0x0
	.amdhsa_kernel _ZN2at6native29vectorized_elementwise_kernelILi2ENS0_11FillFunctorIN3c104HalfEEESt5arrayIPcLm1EEEEviT0_T1_
		.amdhsa_group_segment_fixed_size 0
		.amdhsa_private_segment_fixed_size 0
		.amdhsa_kernarg_size 16
		.amdhsa_user_sgpr_count 15
		.amdhsa_user_sgpr_dispatch_ptr 0
		.amdhsa_user_sgpr_queue_ptr 0
		.amdhsa_user_sgpr_kernarg_segment_ptr 1
		.amdhsa_user_sgpr_dispatch_id 0
		.amdhsa_user_sgpr_private_segment_size 0
		.amdhsa_wavefront_size32 1
		.amdhsa_uses_dynamic_stack 0
		.amdhsa_enable_private_segment 0
		.amdhsa_system_sgpr_workgroup_id_x 1
		.amdhsa_system_sgpr_workgroup_id_y 0
		.amdhsa_system_sgpr_workgroup_id_z 0
		.amdhsa_system_sgpr_workgroup_info 0
		.amdhsa_system_vgpr_workitem_id 0
		.amdhsa_next_free_vgpr 4
		.amdhsa_next_free_sgpr 16
		.amdhsa_reserve_vcc 1
		.amdhsa_float_round_mode_32 0
		.amdhsa_float_round_mode_16_64 0
		.amdhsa_float_denorm_mode_32 3
		.amdhsa_float_denorm_mode_16_64 3
		.amdhsa_dx10_clamp 1
		.amdhsa_ieee_mode 1
		.amdhsa_fp16_overflow 0
		.amdhsa_workgroup_processor_mode 1
		.amdhsa_memory_ordered 1
		.amdhsa_forward_progress 0
		.amdhsa_shared_vgpr_count 0
		.amdhsa_exception_fp_ieee_invalid_op 0
		.amdhsa_exception_fp_denorm_src 0
		.amdhsa_exception_fp_ieee_div_zero 0
		.amdhsa_exception_fp_ieee_overflow 0
		.amdhsa_exception_fp_ieee_underflow 0
		.amdhsa_exception_fp_ieee_inexact 0
		.amdhsa_exception_int_div_zero 0
	.end_amdhsa_kernel
	.section	.text._ZN2at6native29vectorized_elementwise_kernelILi2ENS0_11FillFunctorIN3c104HalfEEESt5arrayIPcLm1EEEEviT0_T1_,"axG",@progbits,_ZN2at6native29vectorized_elementwise_kernelILi2ENS0_11FillFunctorIN3c104HalfEEESt5arrayIPcLm1EEEEviT0_T1_,comdat
.Lfunc_end99:
	.size	_ZN2at6native29vectorized_elementwise_kernelILi2ENS0_11FillFunctorIN3c104HalfEEESt5arrayIPcLm1EEEEviT0_T1_, .Lfunc_end99-_ZN2at6native29vectorized_elementwise_kernelILi2ENS0_11FillFunctorIN3c104HalfEEESt5arrayIPcLm1EEEEviT0_T1_
                                        ; -- End function
	.section	.AMDGPU.csdata,"",@progbits
; Kernel info:
; codeLenInByte = 900
; NumSgprs: 18
; NumVgprs: 4
; ScratchSize: 0
; MemoryBound: 0
; FloatMode: 240
; IeeeMode: 1
; LDSByteSize: 0 bytes/workgroup (compile time only)
; SGPRBlocks: 2
; VGPRBlocks: 0
; NumSGPRsForWavesPerEU: 18
; NumVGPRsForWavesPerEU: 4
; Occupancy: 16
; WaveLimiterHint : 1
; COMPUTE_PGM_RSRC2:SCRATCH_EN: 0
; COMPUTE_PGM_RSRC2:USER_SGPR: 15
; COMPUTE_PGM_RSRC2:TRAP_HANDLER: 0
; COMPUTE_PGM_RSRC2:TGID_X_EN: 1
; COMPUTE_PGM_RSRC2:TGID_Y_EN: 0
; COMPUTE_PGM_RSRC2:TGID_Z_EN: 0
; COMPUTE_PGM_RSRC2:TIDIG_COMP_CNT: 0
	.section	.text._ZN2at6native27unrolled_elementwise_kernelINS0_11FillFunctorIN3c104HalfEEESt5arrayIPcLm1EELi4E23TrivialOffsetCalculatorILi0EjES9_ILi1EjENS0_6memory15LoadWithoutCastENSC_16StoreWithoutCastEEEviT_T0_T2_T3_T4_T5_,"axG",@progbits,_ZN2at6native27unrolled_elementwise_kernelINS0_11FillFunctorIN3c104HalfEEESt5arrayIPcLm1EELi4E23TrivialOffsetCalculatorILi0EjES9_ILi1EjENS0_6memory15LoadWithoutCastENSC_16StoreWithoutCastEEEviT_T0_T2_T3_T4_T5_,comdat
	.protected	_ZN2at6native27unrolled_elementwise_kernelINS0_11FillFunctorIN3c104HalfEEESt5arrayIPcLm1EELi4E23TrivialOffsetCalculatorILi0EjES9_ILi1EjENS0_6memory15LoadWithoutCastENSC_16StoreWithoutCastEEEviT_T0_T2_T3_T4_T5_ ; -- Begin function _ZN2at6native27unrolled_elementwise_kernelINS0_11FillFunctorIN3c104HalfEEESt5arrayIPcLm1EELi4E23TrivialOffsetCalculatorILi0EjES9_ILi1EjENS0_6memory15LoadWithoutCastENSC_16StoreWithoutCastEEEviT_T0_T2_T3_T4_T5_
	.globl	_ZN2at6native27unrolled_elementwise_kernelINS0_11FillFunctorIN3c104HalfEEESt5arrayIPcLm1EELi4E23TrivialOffsetCalculatorILi0EjES9_ILi1EjENS0_6memory15LoadWithoutCastENSC_16StoreWithoutCastEEEviT_T0_T2_T3_T4_T5_
	.p2align	8
	.type	_ZN2at6native27unrolled_elementwise_kernelINS0_11FillFunctorIN3c104HalfEEESt5arrayIPcLm1EELi4E23TrivialOffsetCalculatorILi0EjES9_ILi1EjENS0_6memory15LoadWithoutCastENSC_16StoreWithoutCastEEEviT_T0_T2_T3_T4_T5_,@function
_ZN2at6native27unrolled_elementwise_kernelINS0_11FillFunctorIN3c104HalfEEESt5arrayIPcLm1EELi4E23TrivialOffsetCalculatorILi0EjES9_ILi1EjENS0_6memory15LoadWithoutCastENSC_16StoreWithoutCastEEEviT_T0_T2_T3_T4_T5_: ; @_ZN2at6native27unrolled_elementwise_kernelINS0_11FillFunctorIN3c104HalfEEESt5arrayIPcLm1EELi4E23TrivialOffsetCalculatorILi0EjES9_ILi1EjENS0_6memory15LoadWithoutCastENSC_16StoreWithoutCastEEEviT_T0_T2_T3_T4_T5_
; %bb.0:
	s_load_b128 s[0:3], s[0:1], 0x0
	s_lshl_b32 s4, s15, 10
	s_mov_b32 s5, exec_lo
	s_waitcnt lgkmcnt(0)
	s_sub_i32 s0, s0, s4
	s_delay_alu instid0(SALU_CYCLE_1)
	v_cmpx_gt_i32_e64 s0, v0
	s_cbranch_execnz .LBB100_5
; %bb.1:
	s_or_b32 exec_lo, exec_lo, s5
	s_delay_alu instid0(SALU_CYCLE_1)
	s_mov_b32 s5, exec_lo
	v_cmpx_gt_i32_e64 s0, v0
	s_cbranch_execnz .LBB100_6
.LBB100_2:
	s_or_b32 exec_lo, exec_lo, s5
	s_delay_alu instid0(SALU_CYCLE_1)
	s_mov_b32 s5, exec_lo
	v_cmpx_gt_i32_e64 s0, v0
	s_cbranch_execnz .LBB100_7
.LBB100_3:
	s_or_b32 exec_lo, exec_lo, s5
	v_cmp_gt_i32_e32 vcc_lo, s0, v0
	s_and_saveexec_b32 s0, vcc_lo
	s_cbranch_execnz .LBB100_8
.LBB100_4:
	s_nop 0
	s_sendmsg sendmsg(MSG_DEALLOC_VGPRS)
	s_endpgm
.LBB100_5:
	v_or_b32_e32 v1, s4, v0
	v_dual_mov_b32 v2, 0 :: v_dual_mov_b32 v3, s1
	v_or_b32_e32 v0, 0x100, v0
	s_delay_alu instid0(VALU_DEP_2) | instskip(NEXT) | instid1(VALU_DEP_1)
	v_lshlrev_b64 v[1:2], 1, v[1:2]
	v_add_co_u32 v1, vcc_lo, s2, v1
	s_delay_alu instid0(VALU_DEP_2) | instskip(SKIP_2) | instid1(SALU_CYCLE_1)
	v_add_co_ci_u32_e32 v2, vcc_lo, s3, v2, vcc_lo
	global_store_b16 v[1:2], v3, off
	s_or_b32 exec_lo, exec_lo, s5
	s_mov_b32 s5, exec_lo
	v_cmpx_gt_i32_e64 s0, v0
	s_cbranch_execz .LBB100_2
.LBB100_6:
	v_dual_mov_b32 v2, 0 :: v_dual_add_nc_u32 v1, s4, v0
	v_dual_mov_b32 v3, s1 :: v_dual_add_nc_u32 v0, 0x100, v0
	s_delay_alu instid0(VALU_DEP_2) | instskip(NEXT) | instid1(VALU_DEP_1)
	v_lshlrev_b64 v[1:2], 1, v[1:2]
	v_add_co_u32 v1, vcc_lo, s2, v1
	s_delay_alu instid0(VALU_DEP_2) | instskip(SKIP_2) | instid1(SALU_CYCLE_1)
	v_add_co_ci_u32_e32 v2, vcc_lo, s3, v2, vcc_lo
	global_store_b16 v[1:2], v3, off
	s_or_b32 exec_lo, exec_lo, s5
	s_mov_b32 s5, exec_lo
	v_cmpx_gt_i32_e64 s0, v0
	s_cbranch_execz .LBB100_3
.LBB100_7:
	v_dual_mov_b32 v2, 0 :: v_dual_add_nc_u32 v1, s4, v0
	v_dual_mov_b32 v3, s1 :: v_dual_add_nc_u32 v0, 0x100, v0
	s_delay_alu instid0(VALU_DEP_2) | instskip(NEXT) | instid1(VALU_DEP_1)
	v_lshlrev_b64 v[1:2], 1, v[1:2]
	v_add_co_u32 v1, vcc_lo, s2, v1
	s_delay_alu instid0(VALU_DEP_2)
	v_add_co_ci_u32_e32 v2, vcc_lo, s3, v2, vcc_lo
	global_store_b16 v[1:2], v3, off
	s_or_b32 exec_lo, exec_lo, s5
	v_cmp_gt_i32_e32 vcc_lo, s0, v0
	s_and_saveexec_b32 s0, vcc_lo
	s_cbranch_execz .LBB100_4
.LBB100_8:
	v_dual_mov_b32 v1, 0 :: v_dual_add_nc_u32 v0, s4, v0
	v_mov_b32_e32 v2, s1
	s_delay_alu instid0(VALU_DEP_2) | instskip(NEXT) | instid1(VALU_DEP_1)
	v_lshlrev_b64 v[0:1], 1, v[0:1]
	v_add_co_u32 v0, vcc_lo, s2, v0
	s_delay_alu instid0(VALU_DEP_2)
	v_add_co_ci_u32_e32 v1, vcc_lo, s3, v1, vcc_lo
	global_store_b16 v[0:1], v2, off
	s_nop 0
	s_sendmsg sendmsg(MSG_DEALLOC_VGPRS)
	s_endpgm
	.section	.rodata,"a",@progbits
	.p2align	6, 0x0
	.amdhsa_kernel _ZN2at6native27unrolled_elementwise_kernelINS0_11FillFunctorIN3c104HalfEEESt5arrayIPcLm1EELi4E23TrivialOffsetCalculatorILi0EjES9_ILi1EjENS0_6memory15LoadWithoutCastENSC_16StoreWithoutCastEEEviT_T0_T2_T3_T4_T5_
		.amdhsa_group_segment_fixed_size 0
		.amdhsa_private_segment_fixed_size 0
		.amdhsa_kernarg_size 20
		.amdhsa_user_sgpr_count 15
		.amdhsa_user_sgpr_dispatch_ptr 0
		.amdhsa_user_sgpr_queue_ptr 0
		.amdhsa_user_sgpr_kernarg_segment_ptr 1
		.amdhsa_user_sgpr_dispatch_id 0
		.amdhsa_user_sgpr_private_segment_size 0
		.amdhsa_wavefront_size32 1
		.amdhsa_uses_dynamic_stack 0
		.amdhsa_enable_private_segment 0
		.amdhsa_system_sgpr_workgroup_id_x 1
		.amdhsa_system_sgpr_workgroup_id_y 0
		.amdhsa_system_sgpr_workgroup_id_z 0
		.amdhsa_system_sgpr_workgroup_info 0
		.amdhsa_system_vgpr_workitem_id 0
		.amdhsa_next_free_vgpr 4
		.amdhsa_next_free_sgpr 16
		.amdhsa_reserve_vcc 1
		.amdhsa_float_round_mode_32 0
		.amdhsa_float_round_mode_16_64 0
		.amdhsa_float_denorm_mode_32 3
		.amdhsa_float_denorm_mode_16_64 3
		.amdhsa_dx10_clamp 1
		.amdhsa_ieee_mode 1
		.amdhsa_fp16_overflow 0
		.amdhsa_workgroup_processor_mode 1
		.amdhsa_memory_ordered 1
		.amdhsa_forward_progress 0
		.amdhsa_shared_vgpr_count 0
		.amdhsa_exception_fp_ieee_invalid_op 0
		.amdhsa_exception_fp_denorm_src 0
		.amdhsa_exception_fp_ieee_div_zero 0
		.amdhsa_exception_fp_ieee_overflow 0
		.amdhsa_exception_fp_ieee_underflow 0
		.amdhsa_exception_fp_ieee_inexact 0
		.amdhsa_exception_int_div_zero 0
	.end_amdhsa_kernel
	.section	.text._ZN2at6native27unrolled_elementwise_kernelINS0_11FillFunctorIN3c104HalfEEESt5arrayIPcLm1EELi4E23TrivialOffsetCalculatorILi0EjES9_ILi1EjENS0_6memory15LoadWithoutCastENSC_16StoreWithoutCastEEEviT_T0_T2_T3_T4_T5_,"axG",@progbits,_ZN2at6native27unrolled_elementwise_kernelINS0_11FillFunctorIN3c104HalfEEESt5arrayIPcLm1EELi4E23TrivialOffsetCalculatorILi0EjES9_ILi1EjENS0_6memory15LoadWithoutCastENSC_16StoreWithoutCastEEEviT_T0_T2_T3_T4_T5_,comdat
.Lfunc_end100:
	.size	_ZN2at6native27unrolled_elementwise_kernelINS0_11FillFunctorIN3c104HalfEEESt5arrayIPcLm1EELi4E23TrivialOffsetCalculatorILi0EjES9_ILi1EjENS0_6memory15LoadWithoutCastENSC_16StoreWithoutCastEEEviT_T0_T2_T3_T4_T5_, .Lfunc_end100-_ZN2at6native27unrolled_elementwise_kernelINS0_11FillFunctorIN3c104HalfEEESt5arrayIPcLm1EELi4E23TrivialOffsetCalculatorILi0EjES9_ILi1EjENS0_6memory15LoadWithoutCastENSC_16StoreWithoutCastEEEviT_T0_T2_T3_T4_T5_
                                        ; -- End function
	.section	.AMDGPU.csdata,"",@progbits
; Kernel info:
; codeLenInByte = 400
; NumSgprs: 18
; NumVgprs: 4
; ScratchSize: 0
; MemoryBound: 0
; FloatMode: 240
; IeeeMode: 1
; LDSByteSize: 0 bytes/workgroup (compile time only)
; SGPRBlocks: 2
; VGPRBlocks: 0
; NumSGPRsForWavesPerEU: 18
; NumVGPRsForWavesPerEU: 4
; Occupancy: 16
; WaveLimiterHint : 0
; COMPUTE_PGM_RSRC2:SCRATCH_EN: 0
; COMPUTE_PGM_RSRC2:USER_SGPR: 15
; COMPUTE_PGM_RSRC2:TRAP_HANDLER: 0
; COMPUTE_PGM_RSRC2:TGID_X_EN: 1
; COMPUTE_PGM_RSRC2:TGID_Y_EN: 0
; COMPUTE_PGM_RSRC2:TGID_Z_EN: 0
; COMPUTE_PGM_RSRC2:TIDIG_COMP_CNT: 0
	.section	.text._ZN2at6native32elementwise_kernel_manual_unrollILi128ELi8EZNS0_22gpu_kernel_impl_nocastINS0_11FillFunctorIN3c104HalfEEEEEvRNS_18TensorIteratorBaseERKT_EUlibE_EEviT1_,"axG",@progbits,_ZN2at6native32elementwise_kernel_manual_unrollILi128ELi8EZNS0_22gpu_kernel_impl_nocastINS0_11FillFunctorIN3c104HalfEEEEEvRNS_18TensorIteratorBaseERKT_EUlibE_EEviT1_,comdat
	.protected	_ZN2at6native32elementwise_kernel_manual_unrollILi128ELi8EZNS0_22gpu_kernel_impl_nocastINS0_11FillFunctorIN3c104HalfEEEEEvRNS_18TensorIteratorBaseERKT_EUlibE_EEviT1_ ; -- Begin function _ZN2at6native32elementwise_kernel_manual_unrollILi128ELi8EZNS0_22gpu_kernel_impl_nocastINS0_11FillFunctorIN3c104HalfEEEEEvRNS_18TensorIteratorBaseERKT_EUlibE_EEviT1_
	.globl	_ZN2at6native32elementwise_kernel_manual_unrollILi128ELi8EZNS0_22gpu_kernel_impl_nocastINS0_11FillFunctorIN3c104HalfEEEEEvRNS_18TensorIteratorBaseERKT_EUlibE_EEviT1_
	.p2align	8
	.type	_ZN2at6native32elementwise_kernel_manual_unrollILi128ELi8EZNS0_22gpu_kernel_impl_nocastINS0_11FillFunctorIN3c104HalfEEEEEvRNS_18TensorIteratorBaseERKT_EUlibE_EEviT1_,@function
_ZN2at6native32elementwise_kernel_manual_unrollILi128ELi8EZNS0_22gpu_kernel_impl_nocastINS0_11FillFunctorIN3c104HalfEEEEEvRNS_18TensorIteratorBaseERKT_EUlibE_EEviT1_: ; @_ZN2at6native32elementwise_kernel_manual_unrollILi128ELi8EZNS0_22gpu_kernel_impl_nocastINS0_11FillFunctorIN3c104HalfEEEEEvRNS_18TensorIteratorBaseERKT_EUlibE_EEviT1_
; %bb.0:
	s_clause 0x1
	s_load_b32 s18, s[0:1], 0x8
	s_load_b32 s24, s[0:1], 0x0
	v_lshl_or_b32 v6, s15, 10, v0
	s_or_b32 s0, s0, 8
	s_mov_b32 s2, exec_lo
	s_delay_alu instid0(VALU_DEP_1) | instskip(SKIP_2) | instid1(SALU_CYCLE_1)
	v_or_b32_e32 v8, 0x380, v6
	s_waitcnt lgkmcnt(0)
	s_add_i32 s19, s18, -1
	s_cmp_gt_u32 s19, 1
	s_cselect_b32 s20, -1, 0
	v_cmpx_le_i32_e64 s24, v8
	s_xor_b32 s21, exec_lo, s2
	s_cbranch_execz .LBB101_7
; %bb.1:
	s_clause 0x4
	s_load_b128 s[4:7], s[0:1], 0x4
	s_load_b64 s[10:11], s[0:1], 0x14
	s_load_b64 s[8:9], s[0:1], 0xc4
	;; [unrolled: 1-line block ×3, first 2 shown]
	s_load_b32 s22, s[0:1], 0x110
	s_cmp_lg_u32 s18, 0
	s_mov_b32 s27, exec_lo
	s_cselect_b32 s26, -1, 0
	s_add_u32 s12, s0, 0xc4
	s_addc_u32 s13, s1, 0
	s_min_u32 s25, s19, 15
	s_cmp_gt_u32 s18, 1
	s_cselect_b32 s23, -1, 0
	v_cmpx_gt_i32_e64 s24, v6
	s_cbranch_execz .LBB101_14
; %bb.2:
	s_and_not1_b32 vcc_lo, exec_lo, s20
	s_cbranch_vccnz .LBB101_21
; %bb.3:
	v_mov_b32_e32 v0, 0
	s_and_not1_b32 vcc_lo, exec_lo, s26
	s_cbranch_vccnz .LBB101_125
; %bb.4:
	s_add_i32 s29, s25, 1
	s_cmp_eq_u32 s19, 2
	s_mov_b32 s28, 0
	s_cbranch_scc1 .LBB101_121
; %bb.5:
	v_dual_mov_b32 v0, 0 :: v_dual_mov_b32 v1, v6
	s_and_b32 s28, s29, 28
	s_mov_b32 s30, 0
	s_mov_b64 s[14:15], s[0:1]
	s_mov_b64 s[16:17], s[12:13]
.LBB101_6:                              ; =>This Inner Loop Header: Depth=1
	s_clause 0x1
	s_load_b256 s[36:43], s[14:15], 0x4
	s_load_b128 s[44:47], s[14:15], 0x24
	s_load_b128 s[48:51], s[16:17], 0x0
	s_add_u32 s14, s14, 48
	s_addc_u32 s15, s15, 0
	s_add_i32 s30, s30, 4
	s_add_u32 s16, s16, 16
	s_addc_u32 s17, s17, 0
	s_cmp_lg_u32 s28, s30
	s_waitcnt lgkmcnt(0)
	v_mul_hi_u32 v2, s37, v1
	s_delay_alu instid0(VALU_DEP_1) | instskip(NEXT) | instid1(VALU_DEP_1)
	v_add_nc_u32_e32 v2, v1, v2
	v_lshrrev_b32_e32 v2, s38, v2
	s_delay_alu instid0(VALU_DEP_1) | instskip(SKIP_1) | instid1(VALU_DEP_2)
	v_mul_hi_u32 v3, s40, v2
	v_mul_lo_u32 v7, v2, s36
	v_add_nc_u32_e32 v3, v2, v3
	s_delay_alu instid0(VALU_DEP_2) | instskip(NEXT) | instid1(VALU_DEP_2)
	v_sub_nc_u32_e32 v7, v1, v7
	v_lshrrev_b32_e32 v3, s41, v3
	s_delay_alu instid0(VALU_DEP_2) | instskip(NEXT) | instid1(VALU_DEP_2)
	v_mul_lo_u32 v7, v7, s48
	v_mul_hi_u32 v4, s43, v3
	v_mul_lo_u32 v8, v3, s39
	s_delay_alu instid0(VALU_DEP_2) | instskip(NEXT) | instid1(VALU_DEP_2)
	v_add_nc_u32_e32 v4, v3, v4
	v_sub_nc_u32_e32 v2, v2, v8
	s_delay_alu instid0(VALU_DEP_2) | instskip(NEXT) | instid1(VALU_DEP_2)
	v_lshrrev_b32_e32 v4, s44, v4
	v_mul_lo_u32 v2, v2, s49
	s_delay_alu instid0(VALU_DEP_2) | instskip(NEXT) | instid1(VALU_DEP_2)
	v_mul_hi_u32 v5, s46, v4
	v_add3_u32 v0, v7, v0, v2
	s_delay_alu instid0(VALU_DEP_2) | instskip(NEXT) | instid1(VALU_DEP_1)
	v_add_nc_u32_e32 v5, v4, v5
	v_lshrrev_b32_e32 v1, s47, v5
	v_mul_lo_u32 v5, v4, s42
	s_delay_alu instid0(VALU_DEP_2) | instskip(NEXT) | instid1(VALU_DEP_2)
	v_mul_lo_u32 v9, v1, s45
	v_sub_nc_u32_e32 v3, v3, v5
	s_delay_alu instid0(VALU_DEP_2) | instskip(NEXT) | instid1(VALU_DEP_2)
	v_sub_nc_u32_e32 v4, v4, v9
	v_mul_lo_u32 v3, v3, s50
	s_delay_alu instid0(VALU_DEP_2) | instskip(NEXT) | instid1(VALU_DEP_1)
	v_mul_lo_u32 v4, v4, s51
	v_add3_u32 v0, v3, v0, v4
	s_cbranch_scc1 .LBB101_6
	s_branch .LBB101_122
.LBB101_7:
	s_and_not1_saveexec_b32 s2, s21
	s_cbranch_execz .LBB101_206
.LBB101_8:
	v_cndmask_b32_e64 v7, 0, 1, s20
	s_and_not1_b32 vcc_lo, exec_lo, s20
	s_cbranch_vccnz .LBB101_20
; %bb.9:
	v_mov_b32_e32 v0, 0
	s_cmp_eq_u32 s18, 0
	s_mov_b32 s6, 0
	s_cbranch_scc1 .LBB101_26
; %bb.10:
	s_min_u32 s7, s19, 15
	v_mov_b32_e32 v0, 0
	s_add_i32 s7, s7, 1
	s_cmp_eq_u32 s19, 2
	s_mov_b32 s8, 0
	s_cbranch_scc1 .LBB101_23
; %bb.11:
	v_dual_mov_b32 v0, 0 :: v_dual_mov_b32 v1, v6
	s_add_u32 s2, s0, 0xc4
	s_addc_u32 s3, s1, 0
	s_and_b32 s8, s7, 28
	s_mov_b32 s9, 0
	s_mov_b64 s[4:5], s[0:1]
.LBB101_12:                             ; =>This Inner Loop Header: Depth=1
	s_clause 0x1
	s_load_b256 s[20:27], s[4:5], 0x4
	s_load_b128 s[12:15], s[4:5], 0x24
	s_load_b128 s[28:31], s[2:3], 0x0
	s_add_u32 s4, s4, 48
	s_addc_u32 s5, s5, 0
	s_add_i32 s9, s9, 4
	s_add_u32 s2, s2, 16
	s_addc_u32 s3, s3, 0
	s_cmp_lg_u32 s8, s9
	s_waitcnt lgkmcnt(0)
	v_mul_hi_u32 v2, s21, v1
	s_delay_alu instid0(VALU_DEP_1) | instskip(NEXT) | instid1(VALU_DEP_1)
	v_add_nc_u32_e32 v2, v1, v2
	v_lshrrev_b32_e32 v2, s22, v2
	s_delay_alu instid0(VALU_DEP_1) | instskip(SKIP_1) | instid1(VALU_DEP_2)
	v_mul_hi_u32 v3, s24, v2
	v_mul_lo_u32 v9, v2, s20
	v_add_nc_u32_e32 v3, v2, v3
	s_delay_alu instid0(VALU_DEP_2) | instskip(NEXT) | instid1(VALU_DEP_2)
	v_sub_nc_u32_e32 v9, v1, v9
	v_lshrrev_b32_e32 v3, s25, v3
	s_delay_alu instid0(VALU_DEP_2) | instskip(NEXT) | instid1(VALU_DEP_2)
	v_mul_lo_u32 v9, v9, s28
	v_mul_hi_u32 v4, s27, v3
	v_mul_lo_u32 v10, v3, s23
	s_delay_alu instid0(VALU_DEP_2) | instskip(NEXT) | instid1(VALU_DEP_2)
	v_add_nc_u32_e32 v4, v3, v4
	v_sub_nc_u32_e32 v2, v2, v10
	s_delay_alu instid0(VALU_DEP_2) | instskip(NEXT) | instid1(VALU_DEP_2)
	v_lshrrev_b32_e32 v4, s12, v4
	v_mul_lo_u32 v2, v2, s29
	s_delay_alu instid0(VALU_DEP_2) | instskip(NEXT) | instid1(VALU_DEP_2)
	v_mul_hi_u32 v5, s14, v4
	v_add3_u32 v0, v9, v0, v2
	s_delay_alu instid0(VALU_DEP_2) | instskip(NEXT) | instid1(VALU_DEP_1)
	v_add_nc_u32_e32 v5, v4, v5
	v_lshrrev_b32_e32 v1, s15, v5
	v_mul_lo_u32 v5, v4, s26
	s_delay_alu instid0(VALU_DEP_2) | instskip(NEXT) | instid1(VALU_DEP_2)
	v_mul_lo_u32 v11, v1, s13
	v_sub_nc_u32_e32 v3, v3, v5
	s_delay_alu instid0(VALU_DEP_2) | instskip(NEXT) | instid1(VALU_DEP_2)
	v_sub_nc_u32_e32 v4, v4, v11
	v_mul_lo_u32 v3, v3, s30
	s_delay_alu instid0(VALU_DEP_2) | instskip(NEXT) | instid1(VALU_DEP_1)
	v_mul_lo_u32 v4, v4, s31
	v_add3_u32 v0, v3, v0, v4
	s_cbranch_scc1 .LBB101_12
; %bb.13:
	s_and_b32 s7, s7, 3
	s_delay_alu instid0(SALU_CYCLE_1)
	s_cmp_eq_u32 s7, 0
	s_cbranch_scc0 .LBB101_24
	s_branch .LBB101_26
.LBB101_14:
	s_or_b32 exec_lo, exec_lo, s27
	s_delay_alu instid0(SALU_CYCLE_1)
	s_mov_b32 s27, exec_lo
	v_cmpx_gt_i32_e64 s24, v6
	s_cbranch_execz .LBB101_129
.LBB101_15:
	s_and_not1_b32 vcc_lo, exec_lo, s20
	s_cbranch_vccnz .LBB101_22
; %bb.16:
	v_mov_b32_e32 v0, 0
	s_and_not1_b32 vcc_lo, exec_lo, s26
	s_cbranch_vccnz .LBB101_140
; %bb.17:
	s_add_i32 s29, s25, 1
	s_cmp_eq_u32 s19, 2
	s_mov_b32 s28, 0
	s_cbranch_scc1 .LBB101_136
; %bb.18:
	v_dual_mov_b32 v0, 0 :: v_dual_mov_b32 v1, v6
	s_and_b32 s28, s29, 28
	s_mov_b32 s30, 0
	s_mov_b64 s[14:15], s[0:1]
	s_mov_b64 s[16:17], s[12:13]
.LBB101_19:                             ; =>This Inner Loop Header: Depth=1
	s_clause 0x1
	s_load_b256 s[36:43], s[14:15], 0x4
	s_load_b128 s[44:47], s[14:15], 0x24
	s_load_b128 s[48:51], s[16:17], 0x0
	s_add_u32 s14, s14, 48
	s_addc_u32 s15, s15, 0
	s_add_i32 s30, s30, 4
	s_add_u32 s16, s16, 16
	s_addc_u32 s17, s17, 0
	s_cmp_eq_u32 s28, s30
	s_waitcnt lgkmcnt(0)
	v_mul_hi_u32 v2, s37, v1
	s_delay_alu instid0(VALU_DEP_1) | instskip(NEXT) | instid1(VALU_DEP_1)
	v_add_nc_u32_e32 v2, v1, v2
	v_lshrrev_b32_e32 v2, s38, v2
	s_delay_alu instid0(VALU_DEP_1) | instskip(SKIP_1) | instid1(VALU_DEP_2)
	v_mul_hi_u32 v3, s40, v2
	v_mul_lo_u32 v7, v2, s36
	v_add_nc_u32_e32 v3, v2, v3
	s_delay_alu instid0(VALU_DEP_2) | instskip(NEXT) | instid1(VALU_DEP_2)
	v_sub_nc_u32_e32 v7, v1, v7
	v_lshrrev_b32_e32 v3, s41, v3
	s_delay_alu instid0(VALU_DEP_2) | instskip(NEXT) | instid1(VALU_DEP_2)
	v_mul_lo_u32 v7, v7, s48
	v_mul_hi_u32 v4, s43, v3
	v_mul_lo_u32 v8, v3, s39
	s_delay_alu instid0(VALU_DEP_2) | instskip(NEXT) | instid1(VALU_DEP_2)
	v_add_nc_u32_e32 v4, v3, v4
	v_sub_nc_u32_e32 v2, v2, v8
	s_delay_alu instid0(VALU_DEP_2) | instskip(NEXT) | instid1(VALU_DEP_2)
	v_lshrrev_b32_e32 v4, s44, v4
	v_mul_lo_u32 v2, v2, s49
	s_delay_alu instid0(VALU_DEP_2) | instskip(NEXT) | instid1(VALU_DEP_2)
	v_mul_hi_u32 v5, s46, v4
	v_add3_u32 v0, v7, v0, v2
	s_delay_alu instid0(VALU_DEP_2) | instskip(NEXT) | instid1(VALU_DEP_1)
	v_add_nc_u32_e32 v5, v4, v5
	v_lshrrev_b32_e32 v1, s47, v5
	v_mul_lo_u32 v5, v4, s42
	s_delay_alu instid0(VALU_DEP_2) | instskip(NEXT) | instid1(VALU_DEP_2)
	v_mul_lo_u32 v9, v1, s45
	v_sub_nc_u32_e32 v3, v3, v5
	s_delay_alu instid0(VALU_DEP_2) | instskip(NEXT) | instid1(VALU_DEP_2)
	v_sub_nc_u32_e32 v4, v4, v9
	v_mul_lo_u32 v3, v3, s50
	s_delay_alu instid0(VALU_DEP_2) | instskip(NEXT) | instid1(VALU_DEP_1)
	v_mul_lo_u32 v4, v4, s51
	v_add3_u32 v0, v3, v0, v4
	s_cbranch_scc0 .LBB101_19
	s_branch .LBB101_137
.LBB101_20:
	s_mov_b32 s6, -1
                                        ; implicit-def: $vgpr0
	s_branch .LBB101_26
.LBB101_21:
                                        ; implicit-def: $vgpr0
	s_branch .LBB101_126
.LBB101_22:
                                        ; implicit-def: $vgpr0
	s_branch .LBB101_141
.LBB101_23:
	v_mov_b32_e32 v1, v6
	s_and_b32 s7, s7, 3
	s_delay_alu instid0(SALU_CYCLE_1)
	s_cmp_eq_u32 s7, 0
	s_cbranch_scc1 .LBB101_26
.LBB101_24:
	s_lshl_b32 s2, s8, 2
	s_mul_i32 s4, s8, 12
	s_add_u32 s2, s2, s0
	s_addc_u32 s3, 0, s1
	s_add_u32 s2, s2, 0xc4
	s_addc_u32 s3, s3, 0
	;; [unrolled: 2-line block ×3, first 2 shown]
	.p2align	6
.LBB101_25:                             ; =>This Inner Loop Header: Depth=1
	s_clause 0x1
	s_load_b64 s[8:9], s[4:5], 0x4
	s_load_b32 s10, s[4:5], 0xc
	s_add_u32 s4, s4, 12
	s_addc_u32 s5, s5, 0
	s_waitcnt lgkmcnt(0)
	v_mul_hi_u32 v2, s9, v1
	s_load_b32 s9, s[2:3], 0x0
	s_add_u32 s2, s2, 4
	s_addc_u32 s3, s3, 0
	s_add_i32 s7, s7, -1
	s_delay_alu instid0(SALU_CYCLE_1) | instskip(NEXT) | instid1(VALU_DEP_1)
	s_cmp_lg_u32 s7, 0
	v_add_nc_u32_e32 v2, v1, v2
	s_delay_alu instid0(VALU_DEP_1) | instskip(NEXT) | instid1(VALU_DEP_1)
	v_lshrrev_b32_e32 v4, s10, v2
	v_mul_lo_u32 v2, v4, s8
	s_delay_alu instid0(VALU_DEP_1) | instskip(SKIP_1) | instid1(VALU_DEP_1)
	v_sub_nc_u32_e32 v1, v1, v2
	s_waitcnt lgkmcnt(0)
	v_mad_u64_u32 v[2:3], null, v1, s9, v[0:1]
	s_delay_alu instid0(VALU_DEP_1)
	v_dual_mov_b32 v1, v4 :: v_dual_mov_b32 v0, v2
	s_cbranch_scc1 .LBB101_25
.LBB101_26:
	s_and_not1_b32 vcc_lo, exec_lo, s6
	s_cbranch_vccnz .LBB101_29
; %bb.27:
	s_clause 0x1
	s_load_b128 s[4:7], s[0:1], 0x4
	s_load_b32 s2, s[0:1], 0xc4
	s_cmp_lt_u32 s18, 2
	s_waitcnt lgkmcnt(0)
	v_mul_hi_u32 v0, s5, v6
	s_delay_alu instid0(VALU_DEP_1) | instskip(NEXT) | instid1(VALU_DEP_1)
	v_add_nc_u32_e32 v0, v6, v0
	v_lshrrev_b32_e32 v1, s6, v0
	s_delay_alu instid0(VALU_DEP_1) | instskip(NEXT) | instid1(VALU_DEP_1)
	v_mul_lo_u32 v0, v1, s4
	v_sub_nc_u32_e32 v0, v6, v0
	s_delay_alu instid0(VALU_DEP_1)
	v_mul_lo_u32 v0, v0, s2
	s_cbranch_scc1 .LBB101_29
; %bb.28:
	s_clause 0x1
	s_load_b128 s[4:7], s[0:1], 0x10
	s_load_b32 s2, s[0:1], 0xc8
	s_waitcnt lgkmcnt(0)
	v_mul_hi_u32 v2, s5, v1
	s_delay_alu instid0(VALU_DEP_1) | instskip(NEXT) | instid1(VALU_DEP_1)
	v_add_nc_u32_e32 v2, v1, v2
	v_lshrrev_b32_e32 v2, s6, v2
	s_delay_alu instid0(VALU_DEP_1) | instskip(NEXT) | instid1(VALU_DEP_1)
	v_mul_lo_u32 v2, v2, s4
	v_sub_nc_u32_e32 v3, v1, v2
	s_delay_alu instid0(VALU_DEP_1) | instskip(NEXT) | instid1(VALU_DEP_1)
	v_mad_u64_u32 v[1:2], null, v3, s2, v[0:1]
	v_mov_b32_e32 v0, v1
.LBB101_29:
	v_cmp_ne_u32_e32 vcc_lo, 1, v7
	v_add_nc_u32_e32 v2, 0x80, v6
	s_cbranch_vccnz .LBB101_35
; %bb.30:
	v_mov_b32_e32 v1, 0
	s_cmp_eq_u32 s18, 0
	s_mov_b32 s6, 0
	s_cbranch_scc1 .LBB101_39
; %bb.31:
	s_min_u32 s7, s19, 15
	v_mov_b32_e32 v1, 0
	s_add_i32 s7, s7, 1
	s_cmp_eq_u32 s19, 2
	s_mov_b32 s8, 0
	s_cbranch_scc1 .LBB101_36
; %bb.32:
	v_mov_b32_e32 v1, 0
	v_mov_b32_e32 v3, v2
	s_add_u32 s2, s0, 0xc4
	s_addc_u32 s3, s1, 0
	s_and_b32 s8, s7, 28
	s_mov_b32 s9, 0
	s_mov_b64 s[4:5], s[0:1]
.LBB101_33:                             ; =>This Inner Loop Header: Depth=1
	s_clause 0x1
	s_load_b256 s[20:27], s[4:5], 0x4
	s_load_b128 s[12:15], s[4:5], 0x24
	s_load_b128 s[28:31], s[2:3], 0x0
	s_add_u32 s4, s4, 48
	s_addc_u32 s5, s5, 0
	s_add_i32 s9, s9, 4
	s_add_u32 s2, s2, 16
	s_addc_u32 s3, s3, 0
	s_cmp_lg_u32 s8, s9
	s_waitcnt lgkmcnt(0)
	v_mul_hi_u32 v4, s21, v3
	s_delay_alu instid0(VALU_DEP_1) | instskip(NEXT) | instid1(VALU_DEP_1)
	v_add_nc_u32_e32 v4, v3, v4
	v_lshrrev_b32_e32 v4, s22, v4
	s_delay_alu instid0(VALU_DEP_1) | instskip(SKIP_1) | instid1(VALU_DEP_2)
	v_mul_hi_u32 v5, s24, v4
	v_mul_lo_u32 v11, v4, s20
	v_add_nc_u32_e32 v5, v4, v5
	s_delay_alu instid0(VALU_DEP_2) | instskip(NEXT) | instid1(VALU_DEP_2)
	v_sub_nc_u32_e32 v11, v3, v11
	v_lshrrev_b32_e32 v5, s25, v5
	s_delay_alu instid0(VALU_DEP_2) | instskip(NEXT) | instid1(VALU_DEP_2)
	v_mul_lo_u32 v11, v11, s28
	v_mul_hi_u32 v9, s27, v5
	v_mul_lo_u32 v12, v5, s23
	s_delay_alu instid0(VALU_DEP_2) | instskip(NEXT) | instid1(VALU_DEP_2)
	v_add_nc_u32_e32 v9, v5, v9
	v_sub_nc_u32_e32 v4, v4, v12
	s_delay_alu instid0(VALU_DEP_2) | instskip(NEXT) | instid1(VALU_DEP_2)
	v_lshrrev_b32_e32 v9, s12, v9
	v_mul_lo_u32 v4, v4, s29
	s_delay_alu instid0(VALU_DEP_2) | instskip(NEXT) | instid1(VALU_DEP_2)
	v_mul_hi_u32 v10, s14, v9
	v_add3_u32 v1, v11, v1, v4
	s_delay_alu instid0(VALU_DEP_2) | instskip(NEXT) | instid1(VALU_DEP_1)
	v_add_nc_u32_e32 v10, v9, v10
	v_lshrrev_b32_e32 v3, s15, v10
	v_mul_lo_u32 v10, v9, s26
	s_delay_alu instid0(VALU_DEP_2) | instskip(NEXT) | instid1(VALU_DEP_2)
	v_mul_lo_u32 v13, v3, s13
	v_sub_nc_u32_e32 v5, v5, v10
	s_delay_alu instid0(VALU_DEP_2) | instskip(NEXT) | instid1(VALU_DEP_2)
	v_sub_nc_u32_e32 v9, v9, v13
	v_mul_lo_u32 v5, v5, s30
	s_delay_alu instid0(VALU_DEP_2) | instskip(NEXT) | instid1(VALU_DEP_1)
	v_mul_lo_u32 v9, v9, s31
	v_add3_u32 v1, v5, v1, v9
	s_cbranch_scc1 .LBB101_33
; %bb.34:
	s_and_b32 s7, s7, 3
	s_delay_alu instid0(SALU_CYCLE_1)
	s_cmp_eq_u32 s7, 0
	s_cbranch_scc0 .LBB101_37
	s_branch .LBB101_39
.LBB101_35:
	s_mov_b32 s6, -1
                                        ; implicit-def: $vgpr1
	s_branch .LBB101_39
.LBB101_36:
	v_mov_b32_e32 v3, v2
	s_and_b32 s7, s7, 3
	s_delay_alu instid0(SALU_CYCLE_1)
	s_cmp_eq_u32 s7, 0
	s_cbranch_scc1 .LBB101_39
.LBB101_37:
	s_lshl_b32 s2, s8, 2
	s_mul_i32 s4, s8, 12
	s_add_u32 s2, s2, s0
	s_addc_u32 s3, 0, s1
	s_add_u32 s2, s2, 0xc4
	s_addc_u32 s3, s3, 0
	s_add_u32 s4, s0, s4
	s_addc_u32 s5, 0, s1
	.p2align	6
.LBB101_38:                             ; =>This Inner Loop Header: Depth=1
	s_clause 0x1
	s_load_b64 s[8:9], s[4:5], 0x4
	s_load_b32 s10, s[4:5], 0xc
	s_add_u32 s4, s4, 12
	s_addc_u32 s5, s5, 0
	s_waitcnt lgkmcnt(0)
	v_mul_hi_u32 v4, s9, v3
	s_load_b32 s9, s[2:3], 0x0
	s_add_u32 s2, s2, 4
	s_addc_u32 s3, s3, 0
	s_add_i32 s7, s7, -1
	s_delay_alu instid0(SALU_CYCLE_1) | instskip(NEXT) | instid1(VALU_DEP_1)
	s_cmp_lg_u32 s7, 0
	v_add_nc_u32_e32 v4, v3, v4
	s_delay_alu instid0(VALU_DEP_1) | instskip(NEXT) | instid1(VALU_DEP_1)
	v_lshrrev_b32_e32 v9, s10, v4
	v_mul_lo_u32 v4, v9, s8
	s_delay_alu instid0(VALU_DEP_1) | instskip(SKIP_1) | instid1(VALU_DEP_1)
	v_sub_nc_u32_e32 v3, v3, v4
	s_waitcnt lgkmcnt(0)
	v_mad_u64_u32 v[4:5], null, v3, s9, v[1:2]
	v_mov_b32_e32 v3, v9
	s_delay_alu instid0(VALU_DEP_2)
	v_mov_b32_e32 v1, v4
	s_cbranch_scc1 .LBB101_38
.LBB101_39:
	s_and_not1_b32 vcc_lo, exec_lo, s6
	s_cbranch_vccnz .LBB101_42
; %bb.40:
	s_clause 0x1
	s_load_b128 s[4:7], s[0:1], 0x4
	s_load_b32 s2, s[0:1], 0xc4
	s_cmp_lt_u32 s18, 2
	s_waitcnt lgkmcnt(0)
	v_mul_hi_u32 v1, s5, v2
	s_delay_alu instid0(VALU_DEP_1) | instskip(NEXT) | instid1(VALU_DEP_1)
	v_add_nc_u32_e32 v1, v2, v1
	v_lshrrev_b32_e32 v3, s6, v1
	s_delay_alu instid0(VALU_DEP_1) | instskip(NEXT) | instid1(VALU_DEP_1)
	v_mul_lo_u32 v1, v3, s4
	v_sub_nc_u32_e32 v1, v2, v1
	s_delay_alu instid0(VALU_DEP_1)
	v_mul_lo_u32 v1, v1, s2
	s_cbranch_scc1 .LBB101_42
; %bb.41:
	s_clause 0x1
	s_load_b128 s[4:7], s[0:1], 0x10
	s_load_b32 s2, s[0:1], 0xc8
	s_waitcnt lgkmcnt(0)
	v_mul_hi_u32 v2, s5, v3
	s_delay_alu instid0(VALU_DEP_1) | instskip(NEXT) | instid1(VALU_DEP_1)
	v_add_nc_u32_e32 v2, v3, v2
	v_lshrrev_b32_e32 v2, s6, v2
	s_delay_alu instid0(VALU_DEP_1) | instskip(NEXT) | instid1(VALU_DEP_1)
	v_mul_lo_u32 v2, v2, s4
	v_sub_nc_u32_e32 v4, v3, v2
	s_delay_alu instid0(VALU_DEP_1) | instskip(NEXT) | instid1(VALU_DEP_1)
	v_mad_u64_u32 v[2:3], null, v4, s2, v[1:2]
	v_mov_b32_e32 v1, v2
.LBB101_42:
	v_cmp_ne_u32_e32 vcc_lo, 1, v7
	v_add_nc_u32_e32 v3, 0x100, v6
	s_cbranch_vccnz .LBB101_48
; %bb.43:
	v_mov_b32_e32 v2, 0
	s_cmp_eq_u32 s18, 0
	s_mov_b32 s6, 0
	s_cbranch_scc1 .LBB101_52
; %bb.44:
	s_min_u32 s7, s19, 15
	v_mov_b32_e32 v2, 0
	s_add_i32 s7, s7, 1
	s_cmp_eq_u32 s19, 2
	s_mov_b32 s8, 0
	s_cbranch_scc1 .LBB101_49
; %bb.45:
	v_mov_b32_e32 v2, 0
	v_mov_b32_e32 v4, v3
	s_add_u32 s2, s0, 0xc4
	s_addc_u32 s3, s1, 0
	s_and_b32 s8, s7, 28
	s_mov_b32 s9, 0
	s_mov_b64 s[4:5], s[0:1]
.LBB101_46:                             ; =>This Inner Loop Header: Depth=1
	s_clause 0x1
	s_load_b256 s[20:27], s[4:5], 0x4
	s_load_b128 s[12:15], s[4:5], 0x24
	s_load_b128 s[28:31], s[2:3], 0x0
	s_add_u32 s4, s4, 48
	s_addc_u32 s5, s5, 0
	s_add_i32 s9, s9, 4
	s_add_u32 s2, s2, 16
	s_addc_u32 s3, s3, 0
	s_cmp_lg_u32 s8, s9
	s_waitcnt lgkmcnt(0)
	v_mul_hi_u32 v5, s21, v4
	s_delay_alu instid0(VALU_DEP_1) | instskip(NEXT) | instid1(VALU_DEP_1)
	v_add_nc_u32_e32 v5, v4, v5
	v_lshrrev_b32_e32 v5, s22, v5
	s_delay_alu instid0(VALU_DEP_1) | instskip(SKIP_1) | instid1(VALU_DEP_2)
	v_mul_hi_u32 v9, s24, v5
	v_mul_lo_u32 v12, v5, s20
	v_add_nc_u32_e32 v9, v5, v9
	s_delay_alu instid0(VALU_DEP_2) | instskip(NEXT) | instid1(VALU_DEP_2)
	v_sub_nc_u32_e32 v12, v4, v12
	v_lshrrev_b32_e32 v9, s25, v9
	s_delay_alu instid0(VALU_DEP_2) | instskip(NEXT) | instid1(VALU_DEP_2)
	v_mul_lo_u32 v12, v12, s28
	v_mul_hi_u32 v10, s27, v9
	v_mul_lo_u32 v13, v9, s23
	s_delay_alu instid0(VALU_DEP_2) | instskip(NEXT) | instid1(VALU_DEP_2)
	v_add_nc_u32_e32 v10, v9, v10
	v_sub_nc_u32_e32 v5, v5, v13
	s_delay_alu instid0(VALU_DEP_2) | instskip(NEXT) | instid1(VALU_DEP_2)
	v_lshrrev_b32_e32 v10, s12, v10
	v_mul_lo_u32 v5, v5, s29
	s_delay_alu instid0(VALU_DEP_2) | instskip(NEXT) | instid1(VALU_DEP_2)
	v_mul_hi_u32 v11, s14, v10
	v_add3_u32 v2, v12, v2, v5
	s_delay_alu instid0(VALU_DEP_2) | instskip(NEXT) | instid1(VALU_DEP_1)
	v_add_nc_u32_e32 v11, v10, v11
	v_lshrrev_b32_e32 v4, s15, v11
	v_mul_lo_u32 v11, v10, s26
	s_delay_alu instid0(VALU_DEP_2) | instskip(NEXT) | instid1(VALU_DEP_2)
	v_mul_lo_u32 v14, v4, s13
	v_sub_nc_u32_e32 v9, v9, v11
	s_delay_alu instid0(VALU_DEP_2) | instskip(NEXT) | instid1(VALU_DEP_2)
	v_sub_nc_u32_e32 v10, v10, v14
	v_mul_lo_u32 v9, v9, s30
	s_delay_alu instid0(VALU_DEP_2) | instskip(NEXT) | instid1(VALU_DEP_1)
	v_mul_lo_u32 v10, v10, s31
	v_add3_u32 v2, v9, v2, v10
	s_cbranch_scc1 .LBB101_46
; %bb.47:
	s_and_b32 s7, s7, 3
	s_delay_alu instid0(SALU_CYCLE_1)
	s_cmp_eq_u32 s7, 0
	s_cbranch_scc0 .LBB101_50
	s_branch .LBB101_52
.LBB101_48:
	s_mov_b32 s6, -1
                                        ; implicit-def: $vgpr2
	s_branch .LBB101_52
.LBB101_49:
	v_mov_b32_e32 v4, v3
	s_and_b32 s7, s7, 3
	s_delay_alu instid0(SALU_CYCLE_1)
	s_cmp_eq_u32 s7, 0
	s_cbranch_scc1 .LBB101_52
.LBB101_50:
	s_lshl_b32 s2, s8, 2
	s_mul_i32 s4, s8, 12
	s_add_u32 s2, s2, s0
	s_addc_u32 s3, 0, s1
	s_add_u32 s2, s2, 0xc4
	s_addc_u32 s3, s3, 0
	;; [unrolled: 2-line block ×3, first 2 shown]
	.p2align	6
.LBB101_51:                             ; =>This Inner Loop Header: Depth=1
	s_clause 0x1
	s_load_b64 s[8:9], s[4:5], 0x4
	s_load_b32 s10, s[4:5], 0xc
	s_add_u32 s4, s4, 12
	s_addc_u32 s5, s5, 0
	s_waitcnt lgkmcnt(0)
	v_mul_hi_u32 v5, s9, v4
	s_load_b32 s9, s[2:3], 0x0
	s_add_u32 s2, s2, 4
	s_addc_u32 s3, s3, 0
	s_add_i32 s7, s7, -1
	s_delay_alu instid0(SALU_CYCLE_1) | instskip(NEXT) | instid1(VALU_DEP_1)
	s_cmp_lg_u32 s7, 0
	v_add_nc_u32_e32 v5, v4, v5
	s_delay_alu instid0(VALU_DEP_1) | instskip(NEXT) | instid1(VALU_DEP_1)
	v_lshrrev_b32_e32 v5, s10, v5
	v_mul_lo_u32 v9, v5, s8
	s_delay_alu instid0(VALU_DEP_1) | instskip(SKIP_1) | instid1(VALU_DEP_1)
	v_sub_nc_u32_e32 v4, v4, v9
	s_waitcnt lgkmcnt(0)
	v_mad_u64_u32 v[9:10], null, v4, s9, v[2:3]
	v_mov_b32_e32 v4, v5
	s_delay_alu instid0(VALU_DEP_2)
	v_mov_b32_e32 v2, v9
	s_cbranch_scc1 .LBB101_51
.LBB101_52:
	s_and_not1_b32 vcc_lo, exec_lo, s6
	s_cbranch_vccnz .LBB101_55
; %bb.53:
	s_clause 0x1
	s_load_b128 s[4:7], s[0:1], 0x4
	s_load_b32 s2, s[0:1], 0xc4
	s_cmp_lt_u32 s18, 2
	s_waitcnt lgkmcnt(0)
	v_mul_hi_u32 v2, s5, v3
	s_delay_alu instid0(VALU_DEP_1) | instskip(NEXT) | instid1(VALU_DEP_1)
	v_add_nc_u32_e32 v2, v3, v2
	v_lshrrev_b32_e32 v4, s6, v2
	s_delay_alu instid0(VALU_DEP_1) | instskip(NEXT) | instid1(VALU_DEP_1)
	v_mul_lo_u32 v2, v4, s4
	v_sub_nc_u32_e32 v2, v3, v2
	s_delay_alu instid0(VALU_DEP_1)
	v_mul_lo_u32 v2, v2, s2
	s_cbranch_scc1 .LBB101_55
; %bb.54:
	s_clause 0x1
	s_load_b128 s[4:7], s[0:1], 0x10
	s_load_b32 s2, s[0:1], 0xc8
	s_waitcnt lgkmcnt(0)
	v_mul_hi_u32 v3, s5, v4
	s_delay_alu instid0(VALU_DEP_1) | instskip(NEXT) | instid1(VALU_DEP_1)
	v_add_nc_u32_e32 v3, v4, v3
	v_lshrrev_b32_e32 v3, s6, v3
	s_delay_alu instid0(VALU_DEP_1) | instskip(NEXT) | instid1(VALU_DEP_1)
	v_mul_lo_u32 v3, v3, s4
	v_sub_nc_u32_e32 v5, v4, v3
	s_delay_alu instid0(VALU_DEP_1) | instskip(NEXT) | instid1(VALU_DEP_1)
	v_mad_u64_u32 v[3:4], null, v5, s2, v[2:3]
	v_mov_b32_e32 v2, v3
.LBB101_55:
	v_cmp_ne_u32_e32 vcc_lo, 1, v7
	v_add_nc_u32_e32 v4, 0x180, v6
	s_cbranch_vccnz .LBB101_61
; %bb.56:
	v_mov_b32_e32 v3, 0
	s_cmp_eq_u32 s18, 0
	s_mov_b32 s6, 0
	s_cbranch_scc1 .LBB101_65
; %bb.57:
	s_min_u32 s7, s19, 15
	v_mov_b32_e32 v3, 0
	s_add_i32 s7, s7, 1
	s_cmp_eq_u32 s19, 2
	s_mov_b32 s8, 0
	s_cbranch_scc1 .LBB101_62
; %bb.58:
	v_mov_b32_e32 v3, 0
	v_mov_b32_e32 v5, v4
	s_add_u32 s2, s0, 0xc4
	s_addc_u32 s3, s1, 0
	s_and_b32 s8, s7, 28
	s_mov_b32 s9, 0
	s_mov_b64 s[4:5], s[0:1]
.LBB101_59:                             ; =>This Inner Loop Header: Depth=1
	s_clause 0x1
	s_load_b256 s[20:27], s[4:5], 0x4
	s_load_b128 s[12:15], s[4:5], 0x24
	s_load_b128 s[28:31], s[2:3], 0x0
	s_add_u32 s4, s4, 48
	s_addc_u32 s5, s5, 0
	s_add_i32 s9, s9, 4
	s_add_u32 s2, s2, 16
	s_addc_u32 s3, s3, 0
	s_cmp_lg_u32 s8, s9
	s_waitcnt lgkmcnt(0)
	v_mul_hi_u32 v9, s21, v5
	s_delay_alu instid0(VALU_DEP_1) | instskip(NEXT) | instid1(VALU_DEP_1)
	v_add_nc_u32_e32 v9, v5, v9
	v_lshrrev_b32_e32 v9, s22, v9
	s_delay_alu instid0(VALU_DEP_1) | instskip(SKIP_1) | instid1(VALU_DEP_2)
	v_mul_hi_u32 v10, s24, v9
	v_mul_lo_u32 v13, v9, s20
	v_add_nc_u32_e32 v10, v9, v10
	s_delay_alu instid0(VALU_DEP_2) | instskip(NEXT) | instid1(VALU_DEP_2)
	v_sub_nc_u32_e32 v13, v5, v13
	v_lshrrev_b32_e32 v10, s25, v10
	s_delay_alu instid0(VALU_DEP_2) | instskip(NEXT) | instid1(VALU_DEP_2)
	v_mul_lo_u32 v13, v13, s28
	v_mul_hi_u32 v11, s27, v10
	v_mul_lo_u32 v14, v10, s23
	s_delay_alu instid0(VALU_DEP_2) | instskip(NEXT) | instid1(VALU_DEP_2)
	v_add_nc_u32_e32 v11, v10, v11
	v_sub_nc_u32_e32 v9, v9, v14
	s_delay_alu instid0(VALU_DEP_2) | instskip(NEXT) | instid1(VALU_DEP_2)
	v_lshrrev_b32_e32 v11, s12, v11
	v_mul_lo_u32 v9, v9, s29
	s_delay_alu instid0(VALU_DEP_2) | instskip(NEXT) | instid1(VALU_DEP_2)
	v_mul_hi_u32 v12, s14, v11
	v_add3_u32 v3, v13, v3, v9
	s_delay_alu instid0(VALU_DEP_2) | instskip(NEXT) | instid1(VALU_DEP_1)
	v_add_nc_u32_e32 v12, v11, v12
	v_lshrrev_b32_e32 v5, s15, v12
	v_mul_lo_u32 v12, v11, s26
	s_delay_alu instid0(VALU_DEP_2) | instskip(NEXT) | instid1(VALU_DEP_2)
	v_mul_lo_u32 v15, v5, s13
	v_sub_nc_u32_e32 v10, v10, v12
	s_delay_alu instid0(VALU_DEP_2) | instskip(NEXT) | instid1(VALU_DEP_2)
	v_sub_nc_u32_e32 v11, v11, v15
	v_mul_lo_u32 v10, v10, s30
	s_delay_alu instid0(VALU_DEP_2) | instskip(NEXT) | instid1(VALU_DEP_1)
	v_mul_lo_u32 v11, v11, s31
	v_add3_u32 v3, v10, v3, v11
	s_cbranch_scc1 .LBB101_59
; %bb.60:
	s_and_b32 s7, s7, 3
	s_delay_alu instid0(SALU_CYCLE_1)
	s_cmp_eq_u32 s7, 0
	s_cbranch_scc0 .LBB101_63
	s_branch .LBB101_65
.LBB101_61:
	s_mov_b32 s6, -1
                                        ; implicit-def: $vgpr3
	s_branch .LBB101_65
.LBB101_62:
	v_mov_b32_e32 v5, v4
	s_and_b32 s7, s7, 3
	s_delay_alu instid0(SALU_CYCLE_1)
	s_cmp_eq_u32 s7, 0
	s_cbranch_scc1 .LBB101_65
.LBB101_63:
	s_lshl_b32 s2, s8, 2
	s_mul_i32 s4, s8, 12
	s_add_u32 s2, s2, s0
	s_addc_u32 s3, 0, s1
	s_add_u32 s2, s2, 0xc4
	s_addc_u32 s3, s3, 0
	;; [unrolled: 2-line block ×3, first 2 shown]
	.p2align	6
.LBB101_64:                             ; =>This Inner Loop Header: Depth=1
	s_clause 0x1
	s_load_b64 s[8:9], s[4:5], 0x4
	s_load_b32 s10, s[4:5], 0xc
	s_add_u32 s4, s4, 12
	s_addc_u32 s5, s5, 0
	s_waitcnt lgkmcnt(0)
	v_mul_hi_u32 v9, s9, v5
	s_load_b32 s9, s[2:3], 0x0
	s_add_u32 s2, s2, 4
	s_addc_u32 s3, s3, 0
	s_add_i32 s7, s7, -1
	s_delay_alu instid0(SALU_CYCLE_1) | instskip(NEXT) | instid1(VALU_DEP_1)
	s_cmp_lg_u32 s7, 0
	v_add_nc_u32_e32 v9, v5, v9
	s_delay_alu instid0(VALU_DEP_1) | instskip(NEXT) | instid1(VALU_DEP_1)
	v_lshrrev_b32_e32 v11, s10, v9
	v_mul_lo_u32 v9, v11, s8
	s_delay_alu instid0(VALU_DEP_1) | instskip(SKIP_1) | instid1(VALU_DEP_1)
	v_sub_nc_u32_e32 v5, v5, v9
	s_waitcnt lgkmcnt(0)
	v_mad_u64_u32 v[9:10], null, v5, s9, v[3:4]
	v_mov_b32_e32 v5, v11
	s_delay_alu instid0(VALU_DEP_2)
	v_mov_b32_e32 v3, v9
	s_cbranch_scc1 .LBB101_64
.LBB101_65:
	s_and_not1_b32 vcc_lo, exec_lo, s6
	s_cbranch_vccnz .LBB101_68
; %bb.66:
	s_clause 0x1
	s_load_b128 s[4:7], s[0:1], 0x4
	s_load_b32 s2, s[0:1], 0xc4
	s_cmp_lt_u32 s18, 2
	s_waitcnt lgkmcnt(0)
	v_mul_hi_u32 v3, s5, v4
	s_delay_alu instid0(VALU_DEP_1) | instskip(NEXT) | instid1(VALU_DEP_1)
	v_add_nc_u32_e32 v3, v4, v3
	v_lshrrev_b32_e32 v5, s6, v3
	s_delay_alu instid0(VALU_DEP_1) | instskip(NEXT) | instid1(VALU_DEP_1)
	v_mul_lo_u32 v3, v5, s4
	v_sub_nc_u32_e32 v3, v4, v3
	s_delay_alu instid0(VALU_DEP_1)
	v_mul_lo_u32 v3, v3, s2
	s_cbranch_scc1 .LBB101_68
; %bb.67:
	s_clause 0x1
	s_load_b128 s[4:7], s[0:1], 0x10
	s_load_b32 s2, s[0:1], 0xc8
	s_waitcnt lgkmcnt(0)
	v_mul_hi_u32 v4, s5, v5
	s_delay_alu instid0(VALU_DEP_1) | instskip(NEXT) | instid1(VALU_DEP_1)
	v_add_nc_u32_e32 v4, v5, v4
	v_lshrrev_b32_e32 v4, s6, v4
	s_delay_alu instid0(VALU_DEP_1) | instskip(NEXT) | instid1(VALU_DEP_1)
	v_mul_lo_u32 v4, v4, s4
	v_sub_nc_u32_e32 v9, v5, v4
	s_delay_alu instid0(VALU_DEP_1) | instskip(NEXT) | instid1(VALU_DEP_1)
	v_mad_u64_u32 v[4:5], null, v9, s2, v[3:4]
	v_mov_b32_e32 v3, v4
.LBB101_68:
	v_cmp_ne_u32_e32 vcc_lo, 1, v7
	v_add_nc_u32_e32 v5, 0x200, v6
	s_cbranch_vccnz .LBB101_74
; %bb.69:
	v_mov_b32_e32 v4, 0
	s_cmp_eq_u32 s18, 0
	s_mov_b32 s6, 0
	s_cbranch_scc1 .LBB101_78
; %bb.70:
	s_min_u32 s7, s19, 15
	v_mov_b32_e32 v4, 0
	s_add_i32 s7, s7, 1
	s_cmp_eq_u32 s19, 2
	s_mov_b32 s8, 0
	s_cbranch_scc1 .LBB101_75
; %bb.71:
	v_dual_mov_b32 v4, 0 :: v_dual_mov_b32 v9, v5
	s_add_u32 s2, s0, 0xc4
	s_addc_u32 s3, s1, 0
	s_and_b32 s8, s7, 28
	s_mov_b32 s9, 0
	s_mov_b64 s[4:5], s[0:1]
.LBB101_72:                             ; =>This Inner Loop Header: Depth=1
	s_clause 0x1
	s_load_b256 s[20:27], s[4:5], 0x4
	s_load_b128 s[12:15], s[4:5], 0x24
	s_load_b128 s[28:31], s[2:3], 0x0
	s_add_u32 s4, s4, 48
	s_addc_u32 s5, s5, 0
	s_add_i32 s9, s9, 4
	s_add_u32 s2, s2, 16
	s_addc_u32 s3, s3, 0
	s_cmp_lg_u32 s8, s9
	s_waitcnt lgkmcnt(0)
	v_mul_hi_u32 v10, s21, v9
	s_delay_alu instid0(VALU_DEP_1) | instskip(NEXT) | instid1(VALU_DEP_1)
	v_add_nc_u32_e32 v10, v9, v10
	v_lshrrev_b32_e32 v10, s22, v10
	s_delay_alu instid0(VALU_DEP_1) | instskip(SKIP_1) | instid1(VALU_DEP_2)
	v_mul_hi_u32 v11, s24, v10
	v_mul_lo_u32 v14, v10, s20
	v_add_nc_u32_e32 v11, v10, v11
	s_delay_alu instid0(VALU_DEP_2) | instskip(NEXT) | instid1(VALU_DEP_2)
	v_sub_nc_u32_e32 v14, v9, v14
	v_lshrrev_b32_e32 v11, s25, v11
	s_delay_alu instid0(VALU_DEP_2) | instskip(NEXT) | instid1(VALU_DEP_2)
	v_mul_lo_u32 v14, v14, s28
	v_mul_hi_u32 v12, s27, v11
	v_mul_lo_u32 v15, v11, s23
	s_delay_alu instid0(VALU_DEP_2) | instskip(NEXT) | instid1(VALU_DEP_2)
	v_add_nc_u32_e32 v12, v11, v12
	v_sub_nc_u32_e32 v10, v10, v15
	s_delay_alu instid0(VALU_DEP_2) | instskip(NEXT) | instid1(VALU_DEP_2)
	v_lshrrev_b32_e32 v12, s12, v12
	v_mul_lo_u32 v10, v10, s29
	s_delay_alu instid0(VALU_DEP_2) | instskip(NEXT) | instid1(VALU_DEP_2)
	v_mul_hi_u32 v13, s14, v12
	v_add3_u32 v4, v14, v4, v10
	s_delay_alu instid0(VALU_DEP_2) | instskip(NEXT) | instid1(VALU_DEP_1)
	v_add_nc_u32_e32 v13, v12, v13
	v_lshrrev_b32_e32 v9, s15, v13
	v_mul_lo_u32 v13, v12, s26
	s_delay_alu instid0(VALU_DEP_2) | instskip(NEXT) | instid1(VALU_DEP_2)
	v_mul_lo_u32 v16, v9, s13
	v_sub_nc_u32_e32 v11, v11, v13
	s_delay_alu instid0(VALU_DEP_2) | instskip(NEXT) | instid1(VALU_DEP_2)
	v_sub_nc_u32_e32 v12, v12, v16
	v_mul_lo_u32 v11, v11, s30
	s_delay_alu instid0(VALU_DEP_2) | instskip(NEXT) | instid1(VALU_DEP_1)
	v_mul_lo_u32 v12, v12, s31
	v_add3_u32 v4, v11, v4, v12
	s_cbranch_scc1 .LBB101_72
; %bb.73:
	s_and_b32 s7, s7, 3
	s_delay_alu instid0(SALU_CYCLE_1)
	s_cmp_eq_u32 s7, 0
	s_cbranch_scc0 .LBB101_76
	s_branch .LBB101_78
.LBB101_74:
	s_mov_b32 s6, -1
                                        ; implicit-def: $vgpr4
	s_branch .LBB101_78
.LBB101_75:
	v_mov_b32_e32 v9, v5
	s_and_b32 s7, s7, 3
	s_delay_alu instid0(SALU_CYCLE_1)
	s_cmp_eq_u32 s7, 0
	s_cbranch_scc1 .LBB101_78
.LBB101_76:
	s_lshl_b32 s2, s8, 2
	s_mul_i32 s4, s8, 12
	s_add_u32 s2, s2, s0
	s_addc_u32 s3, 0, s1
	s_add_u32 s2, s2, 0xc4
	s_addc_u32 s3, s3, 0
	;; [unrolled: 2-line block ×3, first 2 shown]
	.p2align	6
.LBB101_77:                             ; =>This Inner Loop Header: Depth=1
	s_clause 0x1
	s_load_b64 s[8:9], s[4:5], 0x4
	s_load_b32 s10, s[4:5], 0xc
	s_add_u32 s4, s4, 12
	s_addc_u32 s5, s5, 0
	s_waitcnt lgkmcnt(0)
	v_mul_hi_u32 v10, s9, v9
	s_load_b32 s9, s[2:3], 0x0
	s_add_u32 s2, s2, 4
	s_addc_u32 s3, s3, 0
	s_add_i32 s7, s7, -1
	s_delay_alu instid0(SALU_CYCLE_1) | instskip(NEXT) | instid1(VALU_DEP_1)
	s_cmp_lg_u32 s7, 0
	v_add_nc_u32_e32 v10, v9, v10
	s_delay_alu instid0(VALU_DEP_1) | instskip(NEXT) | instid1(VALU_DEP_1)
	v_lshrrev_b32_e32 v12, s10, v10
	v_mul_lo_u32 v10, v12, s8
	s_delay_alu instid0(VALU_DEP_1) | instskip(SKIP_1) | instid1(VALU_DEP_1)
	v_sub_nc_u32_e32 v9, v9, v10
	s_waitcnt lgkmcnt(0)
	v_mad_u64_u32 v[10:11], null, v9, s9, v[4:5]
	s_delay_alu instid0(VALU_DEP_1)
	v_dual_mov_b32 v9, v12 :: v_dual_mov_b32 v4, v10
	s_cbranch_scc1 .LBB101_77
.LBB101_78:
	s_and_not1_b32 vcc_lo, exec_lo, s6
	s_cbranch_vccnz .LBB101_81
; %bb.79:
	s_clause 0x1
	s_load_b128 s[4:7], s[0:1], 0x4
	s_load_b32 s2, s[0:1], 0xc4
	s_cmp_lt_u32 s18, 2
	s_waitcnt lgkmcnt(0)
	v_mul_hi_u32 v4, s5, v5
	s_delay_alu instid0(VALU_DEP_1) | instskip(NEXT) | instid1(VALU_DEP_1)
	v_add_nc_u32_e32 v4, v5, v4
	v_lshrrev_b32_e32 v9, s6, v4
	s_delay_alu instid0(VALU_DEP_1) | instskip(NEXT) | instid1(VALU_DEP_1)
	v_mul_lo_u32 v4, v9, s4
	v_sub_nc_u32_e32 v4, v5, v4
	s_delay_alu instid0(VALU_DEP_1)
	v_mul_lo_u32 v4, v4, s2
	s_cbranch_scc1 .LBB101_81
; %bb.80:
	s_clause 0x1
	s_load_b128 s[4:7], s[0:1], 0x10
	s_load_b32 s2, s[0:1], 0xc8
	s_waitcnt lgkmcnt(0)
	v_mul_hi_u32 v5, s5, v9
	s_delay_alu instid0(VALU_DEP_1) | instskip(NEXT) | instid1(VALU_DEP_1)
	v_add_nc_u32_e32 v5, v9, v5
	v_lshrrev_b32_e32 v5, s6, v5
	s_delay_alu instid0(VALU_DEP_1) | instskip(NEXT) | instid1(VALU_DEP_1)
	v_mul_lo_u32 v5, v5, s4
	v_sub_nc_u32_e32 v5, v9, v5
	s_delay_alu instid0(VALU_DEP_1) | instskip(NEXT) | instid1(VALU_DEP_1)
	v_mad_u64_u32 v[9:10], null, v5, s2, v[4:5]
	v_mov_b32_e32 v4, v9
.LBB101_81:
	v_cmp_ne_u32_e32 vcc_lo, 1, v7
	v_add_nc_u32_e32 v9, 0x280, v6
	s_cbranch_vccnz .LBB101_87
; %bb.82:
	v_mov_b32_e32 v5, 0
	s_cmp_eq_u32 s18, 0
	s_mov_b32 s6, 0
	s_cbranch_scc1 .LBB101_91
; %bb.83:
	s_min_u32 s7, s19, 15
	v_mov_b32_e32 v5, 0
	s_add_i32 s7, s7, 1
	s_cmp_eq_u32 s19, 2
	s_mov_b32 s8, 0
	s_cbranch_scc1 .LBB101_88
; %bb.84:
	v_dual_mov_b32 v5, 0 :: v_dual_mov_b32 v10, v9
	s_add_u32 s2, s0, 0xc4
	s_addc_u32 s3, s1, 0
	s_and_b32 s8, s7, 28
	s_mov_b32 s9, 0
	s_mov_b64 s[4:5], s[0:1]
.LBB101_85:                             ; =>This Inner Loop Header: Depth=1
	s_clause 0x1
	s_load_b256 s[20:27], s[4:5], 0x4
	s_load_b128 s[12:15], s[4:5], 0x24
	s_load_b128 s[28:31], s[2:3], 0x0
	s_add_u32 s4, s4, 48
	s_addc_u32 s5, s5, 0
	s_add_i32 s9, s9, 4
	s_add_u32 s2, s2, 16
	s_addc_u32 s3, s3, 0
	s_cmp_lg_u32 s8, s9
	s_waitcnt lgkmcnt(0)
	v_mul_hi_u32 v11, s21, v10
	s_delay_alu instid0(VALU_DEP_1) | instskip(NEXT) | instid1(VALU_DEP_1)
	v_add_nc_u32_e32 v11, v10, v11
	v_lshrrev_b32_e32 v11, s22, v11
	s_delay_alu instid0(VALU_DEP_1) | instskip(SKIP_1) | instid1(VALU_DEP_2)
	v_mul_hi_u32 v12, s24, v11
	v_mul_lo_u32 v15, v11, s20
	v_add_nc_u32_e32 v12, v11, v12
	s_delay_alu instid0(VALU_DEP_2) | instskip(NEXT) | instid1(VALU_DEP_2)
	v_sub_nc_u32_e32 v15, v10, v15
	v_lshrrev_b32_e32 v12, s25, v12
	s_delay_alu instid0(VALU_DEP_2) | instskip(NEXT) | instid1(VALU_DEP_2)
	v_mul_lo_u32 v15, v15, s28
	v_mul_hi_u32 v13, s27, v12
	v_mul_lo_u32 v16, v12, s23
	s_delay_alu instid0(VALU_DEP_2) | instskip(NEXT) | instid1(VALU_DEP_2)
	v_add_nc_u32_e32 v13, v12, v13
	v_sub_nc_u32_e32 v11, v11, v16
	s_delay_alu instid0(VALU_DEP_2) | instskip(NEXT) | instid1(VALU_DEP_2)
	v_lshrrev_b32_e32 v13, s12, v13
	v_mul_lo_u32 v11, v11, s29
	s_delay_alu instid0(VALU_DEP_2) | instskip(NEXT) | instid1(VALU_DEP_2)
	v_mul_hi_u32 v14, s14, v13
	v_add3_u32 v5, v15, v5, v11
	s_delay_alu instid0(VALU_DEP_2) | instskip(NEXT) | instid1(VALU_DEP_1)
	v_add_nc_u32_e32 v14, v13, v14
	v_lshrrev_b32_e32 v10, s15, v14
	v_mul_lo_u32 v14, v13, s26
	s_delay_alu instid0(VALU_DEP_2) | instskip(NEXT) | instid1(VALU_DEP_2)
	v_mul_lo_u32 v17, v10, s13
	v_sub_nc_u32_e32 v12, v12, v14
	s_delay_alu instid0(VALU_DEP_2) | instskip(NEXT) | instid1(VALU_DEP_2)
	v_sub_nc_u32_e32 v13, v13, v17
	v_mul_lo_u32 v12, v12, s30
	s_delay_alu instid0(VALU_DEP_2) | instskip(NEXT) | instid1(VALU_DEP_1)
	v_mul_lo_u32 v13, v13, s31
	v_add3_u32 v5, v12, v5, v13
	s_cbranch_scc1 .LBB101_85
; %bb.86:
	s_and_b32 s7, s7, 3
	s_delay_alu instid0(SALU_CYCLE_1)
	s_cmp_eq_u32 s7, 0
	s_cbranch_scc0 .LBB101_89
	s_branch .LBB101_91
.LBB101_87:
	s_mov_b32 s6, -1
                                        ; implicit-def: $vgpr5
	s_branch .LBB101_91
.LBB101_88:
	v_mov_b32_e32 v10, v9
	s_and_b32 s7, s7, 3
	s_delay_alu instid0(SALU_CYCLE_1)
	s_cmp_eq_u32 s7, 0
	s_cbranch_scc1 .LBB101_91
.LBB101_89:
	s_lshl_b32 s2, s8, 2
	s_mul_i32 s4, s8, 12
	s_add_u32 s2, s2, s0
	s_addc_u32 s3, 0, s1
	s_add_u32 s2, s2, 0xc4
	s_addc_u32 s3, s3, 0
	;; [unrolled: 2-line block ×3, first 2 shown]
	.p2align	6
.LBB101_90:                             ; =>This Inner Loop Header: Depth=1
	s_clause 0x1
	s_load_b64 s[8:9], s[4:5], 0x4
	s_load_b32 s10, s[4:5], 0xc
	s_add_u32 s4, s4, 12
	s_addc_u32 s5, s5, 0
	s_waitcnt lgkmcnt(0)
	v_mul_hi_u32 v11, s9, v10
	s_load_b32 s9, s[2:3], 0x0
	s_add_u32 s2, s2, 4
	s_addc_u32 s3, s3, 0
	s_add_i32 s7, s7, -1
	s_delay_alu instid0(SALU_CYCLE_1) | instskip(NEXT) | instid1(VALU_DEP_1)
	s_cmp_lg_u32 s7, 0
	v_add_nc_u32_e32 v11, v10, v11
	s_delay_alu instid0(VALU_DEP_1) | instskip(NEXT) | instid1(VALU_DEP_1)
	v_lshrrev_b32_e32 v13, s10, v11
	v_mul_lo_u32 v11, v13, s8
	s_delay_alu instid0(VALU_DEP_1) | instskip(SKIP_1) | instid1(VALU_DEP_1)
	v_sub_nc_u32_e32 v10, v10, v11
	s_waitcnt lgkmcnt(0)
	v_mad_u64_u32 v[11:12], null, v10, s9, v[5:6]
	s_delay_alu instid0(VALU_DEP_1)
	v_dual_mov_b32 v10, v13 :: v_dual_mov_b32 v5, v11
	s_cbranch_scc1 .LBB101_90
.LBB101_91:
	s_and_not1_b32 vcc_lo, exec_lo, s6
	s_cbranch_vccnz .LBB101_94
; %bb.92:
	s_clause 0x1
	s_load_b128 s[4:7], s[0:1], 0x4
	s_load_b32 s2, s[0:1], 0xc4
	s_cmp_lt_u32 s18, 2
	s_waitcnt lgkmcnt(0)
	v_mul_hi_u32 v5, s5, v9
	s_delay_alu instid0(VALU_DEP_1) | instskip(NEXT) | instid1(VALU_DEP_1)
	v_add_nc_u32_e32 v5, v9, v5
	v_lshrrev_b32_e32 v10, s6, v5
	s_delay_alu instid0(VALU_DEP_1) | instskip(NEXT) | instid1(VALU_DEP_1)
	v_mul_lo_u32 v5, v10, s4
	v_sub_nc_u32_e32 v5, v9, v5
	s_delay_alu instid0(VALU_DEP_1)
	v_mul_lo_u32 v5, v5, s2
	s_cbranch_scc1 .LBB101_94
; %bb.93:
	s_clause 0x1
	s_load_b128 s[4:7], s[0:1], 0x10
	s_load_b32 s2, s[0:1], 0xc8
	s_waitcnt lgkmcnt(0)
	v_mul_hi_u32 v9, s5, v10
	s_delay_alu instid0(VALU_DEP_1) | instskip(NEXT) | instid1(VALU_DEP_1)
	v_add_nc_u32_e32 v9, v10, v9
	v_lshrrev_b32_e32 v9, s6, v9
	s_delay_alu instid0(VALU_DEP_1) | instskip(NEXT) | instid1(VALU_DEP_1)
	v_mul_lo_u32 v9, v9, s4
	v_sub_nc_u32_e32 v11, v10, v9
	s_delay_alu instid0(VALU_DEP_1) | instskip(NEXT) | instid1(VALU_DEP_1)
	v_mad_u64_u32 v[9:10], null, v11, s2, v[5:6]
	v_mov_b32_e32 v5, v9
.LBB101_94:
	v_cmp_ne_u32_e32 vcc_lo, 1, v7
	v_add_nc_u32_e32 v9, 0x300, v6
	s_cbranch_vccnz .LBB101_100
; %bb.95:
	v_mov_b32_e32 v6, 0
	s_cmp_eq_u32 s18, 0
	s_mov_b32 s6, 0
	s_cbranch_scc1 .LBB101_104
; %bb.96:
	s_min_u32 s7, s19, 15
	v_mov_b32_e32 v6, 0
	s_add_i32 s7, s7, 1
	s_cmp_eq_u32 s19, 2
	s_mov_b32 s8, 0
	s_cbranch_scc1 .LBB101_101
; %bb.97:
	v_mov_b32_e32 v6, 0
	v_mov_b32_e32 v10, v9
	s_add_u32 s2, s0, 0xc4
	s_addc_u32 s3, s1, 0
	s_and_b32 s8, s7, 28
	s_mov_b32 s9, 0
	s_mov_b64 s[4:5], s[0:1]
.LBB101_98:                             ; =>This Inner Loop Header: Depth=1
	s_clause 0x1
	s_load_b256 s[20:27], s[4:5], 0x4
	s_load_b128 s[12:15], s[4:5], 0x24
	s_load_b128 s[28:31], s[2:3], 0x0
	s_add_u32 s4, s4, 48
	s_addc_u32 s5, s5, 0
	s_add_i32 s9, s9, 4
	s_add_u32 s2, s2, 16
	s_addc_u32 s3, s3, 0
	s_cmp_lg_u32 s8, s9
	s_waitcnt lgkmcnt(0)
	v_mul_hi_u32 v11, s21, v10
	s_delay_alu instid0(VALU_DEP_1) | instskip(NEXT) | instid1(VALU_DEP_1)
	v_add_nc_u32_e32 v11, v10, v11
	v_lshrrev_b32_e32 v11, s22, v11
	s_delay_alu instid0(VALU_DEP_1) | instskip(SKIP_1) | instid1(VALU_DEP_2)
	v_mul_hi_u32 v12, s24, v11
	v_mul_lo_u32 v15, v11, s20
	v_add_nc_u32_e32 v12, v11, v12
	s_delay_alu instid0(VALU_DEP_2) | instskip(NEXT) | instid1(VALU_DEP_2)
	v_sub_nc_u32_e32 v15, v10, v15
	v_lshrrev_b32_e32 v12, s25, v12
	s_delay_alu instid0(VALU_DEP_2) | instskip(NEXT) | instid1(VALU_DEP_2)
	v_mul_lo_u32 v15, v15, s28
	v_mul_hi_u32 v13, s27, v12
	v_mul_lo_u32 v16, v12, s23
	s_delay_alu instid0(VALU_DEP_2) | instskip(NEXT) | instid1(VALU_DEP_2)
	v_add_nc_u32_e32 v13, v12, v13
	v_sub_nc_u32_e32 v11, v11, v16
	s_delay_alu instid0(VALU_DEP_2) | instskip(NEXT) | instid1(VALU_DEP_2)
	v_lshrrev_b32_e32 v13, s12, v13
	v_mul_lo_u32 v11, v11, s29
	s_delay_alu instid0(VALU_DEP_2) | instskip(NEXT) | instid1(VALU_DEP_2)
	v_mul_hi_u32 v14, s14, v13
	v_add3_u32 v6, v15, v6, v11
	s_delay_alu instid0(VALU_DEP_2) | instskip(NEXT) | instid1(VALU_DEP_1)
	v_add_nc_u32_e32 v14, v13, v14
	v_lshrrev_b32_e32 v10, s15, v14
	v_mul_lo_u32 v14, v13, s26
	s_delay_alu instid0(VALU_DEP_2) | instskip(NEXT) | instid1(VALU_DEP_2)
	v_mul_lo_u32 v17, v10, s13
	v_sub_nc_u32_e32 v12, v12, v14
	s_delay_alu instid0(VALU_DEP_2) | instskip(NEXT) | instid1(VALU_DEP_2)
	v_sub_nc_u32_e32 v13, v13, v17
	v_mul_lo_u32 v12, v12, s30
	s_delay_alu instid0(VALU_DEP_2) | instskip(NEXT) | instid1(VALU_DEP_1)
	v_mul_lo_u32 v13, v13, s31
	v_add3_u32 v6, v12, v6, v13
	s_cbranch_scc1 .LBB101_98
; %bb.99:
	s_and_b32 s7, s7, 3
	s_delay_alu instid0(SALU_CYCLE_1)
	s_cmp_eq_u32 s7, 0
	s_cbranch_scc0 .LBB101_102
	s_branch .LBB101_104
.LBB101_100:
	s_mov_b32 s6, -1
                                        ; implicit-def: $vgpr6
	s_branch .LBB101_104
.LBB101_101:
	v_mov_b32_e32 v10, v9
	s_and_b32 s7, s7, 3
	s_delay_alu instid0(SALU_CYCLE_1)
	s_cmp_eq_u32 s7, 0
	s_cbranch_scc1 .LBB101_104
.LBB101_102:
	s_lshl_b32 s2, s8, 2
	s_mul_i32 s4, s8, 12
	s_add_u32 s2, s2, s0
	s_addc_u32 s3, 0, s1
	s_add_u32 s2, s2, 0xc4
	s_addc_u32 s3, s3, 0
	;; [unrolled: 2-line block ×3, first 2 shown]
	.p2align	6
.LBB101_103:                            ; =>This Inner Loop Header: Depth=1
	s_clause 0x1
	s_load_b64 s[8:9], s[4:5], 0x4
	s_load_b32 s10, s[4:5], 0xc
	s_add_u32 s4, s4, 12
	s_addc_u32 s5, s5, 0
	s_waitcnt lgkmcnt(0)
	v_mul_hi_u32 v11, s9, v10
	s_load_b32 s9, s[2:3], 0x0
	s_add_u32 s2, s2, 4
	s_addc_u32 s3, s3, 0
	s_add_i32 s7, s7, -1
	s_delay_alu instid0(SALU_CYCLE_1) | instskip(NEXT) | instid1(VALU_DEP_1)
	s_cmp_lg_u32 s7, 0
	v_add_nc_u32_e32 v11, v10, v11
	s_delay_alu instid0(VALU_DEP_1) | instskip(NEXT) | instid1(VALU_DEP_1)
	v_lshrrev_b32_e32 v13, s10, v11
	v_mul_lo_u32 v11, v13, s8
	s_delay_alu instid0(VALU_DEP_1) | instskip(SKIP_1) | instid1(VALU_DEP_1)
	v_sub_nc_u32_e32 v10, v10, v11
	s_waitcnt lgkmcnt(0)
	v_mad_u64_u32 v[11:12], null, v10, s9, v[6:7]
	v_mov_b32_e32 v10, v13
	s_delay_alu instid0(VALU_DEP_2)
	v_mov_b32_e32 v6, v11
	s_cbranch_scc1 .LBB101_103
.LBB101_104:
	s_and_not1_b32 vcc_lo, exec_lo, s6
	s_cbranch_vccnz .LBB101_107
; %bb.105:
	s_clause 0x1
	s_load_b128 s[4:7], s[0:1], 0x4
	s_load_b32 s2, s[0:1], 0xc4
	s_cmp_lt_u32 s18, 2
	s_waitcnt lgkmcnt(0)
	v_mul_hi_u32 v6, s5, v9
	s_delay_alu instid0(VALU_DEP_1) | instskip(NEXT) | instid1(VALU_DEP_1)
	v_add_nc_u32_e32 v6, v9, v6
	v_lshrrev_b32_e32 v10, s6, v6
	s_delay_alu instid0(VALU_DEP_1) | instskip(NEXT) | instid1(VALU_DEP_1)
	v_mul_lo_u32 v6, v10, s4
	v_sub_nc_u32_e32 v6, v9, v6
	s_delay_alu instid0(VALU_DEP_1)
	v_mul_lo_u32 v6, v6, s2
	s_cbranch_scc1 .LBB101_107
; %bb.106:
	s_clause 0x1
	s_load_b128 s[4:7], s[0:1], 0x10
	s_load_b32 s2, s[0:1], 0xc8
	s_waitcnt lgkmcnt(0)
	v_mul_hi_u32 v9, s5, v10
	s_delay_alu instid0(VALU_DEP_1) | instskip(NEXT) | instid1(VALU_DEP_1)
	v_add_nc_u32_e32 v9, v10, v9
	v_lshrrev_b32_e32 v9, s6, v9
	s_delay_alu instid0(VALU_DEP_1) | instskip(NEXT) | instid1(VALU_DEP_1)
	v_mul_lo_u32 v9, v9, s4
	v_sub_nc_u32_e32 v11, v10, v9
	s_delay_alu instid0(VALU_DEP_1) | instskip(NEXT) | instid1(VALU_DEP_1)
	v_mad_u64_u32 v[9:10], null, v11, s2, v[6:7]
	v_mov_b32_e32 v6, v9
.LBB101_107:
	v_cmp_ne_u32_e32 vcc_lo, 1, v7
	s_cbranch_vccnz .LBB101_113
; %bb.108:
	v_mov_b32_e32 v7, 0
	s_cmp_eq_u32 s18, 0
	s_mov_b32 s6, 0
	s_cbranch_scc1 .LBB101_117
; %bb.109:
	s_min_u32 s7, s19, 15
	v_mov_b32_e32 v7, 0
	s_add_i32 s7, s7, 1
	s_cmp_eq_u32 s19, 2
	s_mov_b32 s8, 0
	s_cbranch_scc1 .LBB101_114
; %bb.110:
	v_mov_b32_e32 v7, 0
	v_mov_b32_e32 v9, v8
	s_add_u32 s2, s0, 0xc4
	s_addc_u32 s3, s1, 0
	s_and_b32 s8, s7, 28
	s_mov_b32 s9, 0
	s_mov_b64 s[4:5], s[0:1]
.LBB101_111:                            ; =>This Inner Loop Header: Depth=1
	s_clause 0x1
	s_load_b256 s[20:27], s[4:5], 0x4
	s_load_b128 s[12:15], s[4:5], 0x24
	s_load_b128 s[28:31], s[2:3], 0x0
	s_add_u32 s4, s4, 48
	s_addc_u32 s5, s5, 0
	s_add_i32 s9, s9, 4
	s_add_u32 s2, s2, 16
	s_addc_u32 s3, s3, 0
	s_cmp_lg_u32 s8, s9
	s_waitcnt lgkmcnt(0)
	v_mul_hi_u32 v10, s21, v9
	s_delay_alu instid0(VALU_DEP_1) | instskip(NEXT) | instid1(VALU_DEP_1)
	v_add_nc_u32_e32 v10, v9, v10
	v_lshrrev_b32_e32 v10, s22, v10
	s_delay_alu instid0(VALU_DEP_1) | instskip(SKIP_1) | instid1(VALU_DEP_2)
	v_mul_hi_u32 v11, s24, v10
	v_mul_lo_u32 v14, v10, s20
	v_add_nc_u32_e32 v11, v10, v11
	s_delay_alu instid0(VALU_DEP_2) | instskip(NEXT) | instid1(VALU_DEP_2)
	v_sub_nc_u32_e32 v14, v9, v14
	v_lshrrev_b32_e32 v11, s25, v11
	s_delay_alu instid0(VALU_DEP_2) | instskip(NEXT) | instid1(VALU_DEP_2)
	v_mul_lo_u32 v14, v14, s28
	v_mul_hi_u32 v12, s27, v11
	v_mul_lo_u32 v15, v11, s23
	s_delay_alu instid0(VALU_DEP_2) | instskip(NEXT) | instid1(VALU_DEP_2)
	v_add_nc_u32_e32 v12, v11, v12
	v_sub_nc_u32_e32 v10, v10, v15
	s_delay_alu instid0(VALU_DEP_2) | instskip(NEXT) | instid1(VALU_DEP_2)
	v_lshrrev_b32_e32 v12, s12, v12
	v_mul_lo_u32 v10, v10, s29
	s_delay_alu instid0(VALU_DEP_2) | instskip(NEXT) | instid1(VALU_DEP_2)
	v_mul_hi_u32 v13, s14, v12
	v_add3_u32 v7, v14, v7, v10
	s_delay_alu instid0(VALU_DEP_2) | instskip(NEXT) | instid1(VALU_DEP_1)
	v_add_nc_u32_e32 v13, v12, v13
	v_lshrrev_b32_e32 v9, s15, v13
	v_mul_lo_u32 v13, v12, s26
	s_delay_alu instid0(VALU_DEP_2) | instskip(NEXT) | instid1(VALU_DEP_2)
	v_mul_lo_u32 v16, v9, s13
	v_sub_nc_u32_e32 v11, v11, v13
	s_delay_alu instid0(VALU_DEP_2) | instskip(NEXT) | instid1(VALU_DEP_2)
	v_sub_nc_u32_e32 v12, v12, v16
	v_mul_lo_u32 v11, v11, s30
	s_delay_alu instid0(VALU_DEP_2) | instskip(NEXT) | instid1(VALU_DEP_1)
	v_mul_lo_u32 v12, v12, s31
	v_add3_u32 v7, v11, v7, v12
	s_cbranch_scc1 .LBB101_111
; %bb.112:
	s_and_b32 s7, s7, 3
	s_delay_alu instid0(SALU_CYCLE_1)
	s_cmp_eq_u32 s7, 0
	s_cbranch_scc0 .LBB101_115
	s_branch .LBB101_117
.LBB101_113:
	s_mov_b32 s6, -1
                                        ; implicit-def: $vgpr7
	s_branch .LBB101_117
.LBB101_114:
	v_mov_b32_e32 v9, v8
	s_and_b32 s7, s7, 3
	s_delay_alu instid0(SALU_CYCLE_1)
	s_cmp_eq_u32 s7, 0
	s_cbranch_scc1 .LBB101_117
.LBB101_115:
	s_lshl_b32 s2, s8, 2
	s_mul_i32 s4, s8, 12
	s_add_u32 s2, s2, s0
	s_addc_u32 s3, 0, s1
	s_add_u32 s2, s2, 0xc4
	s_addc_u32 s3, s3, 0
	s_add_u32 s4, s0, s4
	s_addc_u32 s5, 0, s1
	.p2align	6
.LBB101_116:                            ; =>This Inner Loop Header: Depth=1
	s_clause 0x1
	s_load_b64 s[8:9], s[4:5], 0x4
	s_load_b32 s10, s[4:5], 0xc
	s_add_u32 s4, s4, 12
	s_addc_u32 s5, s5, 0
	s_waitcnt lgkmcnt(0)
	v_mul_hi_u32 v10, s9, v9
	s_load_b32 s9, s[2:3], 0x0
	s_add_u32 s2, s2, 4
	s_addc_u32 s3, s3, 0
	s_add_i32 s7, s7, -1
	s_delay_alu instid0(SALU_CYCLE_1) | instskip(NEXT) | instid1(VALU_DEP_1)
	s_cmp_lg_u32 s7, 0
	v_add_nc_u32_e32 v10, v9, v10
	s_delay_alu instid0(VALU_DEP_1) | instskip(NEXT) | instid1(VALU_DEP_1)
	v_lshrrev_b32_e32 v12, s10, v10
	v_mul_lo_u32 v10, v12, s8
	s_delay_alu instid0(VALU_DEP_1) | instskip(SKIP_1) | instid1(VALU_DEP_1)
	v_sub_nc_u32_e32 v9, v9, v10
	s_waitcnt lgkmcnt(0)
	v_mad_u64_u32 v[10:11], null, v9, s9, v[7:8]
	v_mov_b32_e32 v9, v12
	s_delay_alu instid0(VALU_DEP_2)
	v_mov_b32_e32 v7, v10
	s_cbranch_scc1 .LBB101_116
.LBB101_117:
	s_and_not1_b32 vcc_lo, exec_lo, s6
	s_cbranch_vccnz .LBB101_120
; %bb.118:
	s_clause 0x1
	s_load_b128 s[4:7], s[0:1], 0x4
	s_load_b32 s2, s[0:1], 0xc4
	s_cmp_lt_u32 s18, 2
	s_waitcnt lgkmcnt(0)
	v_mul_hi_u32 v7, s5, v8
	s_delay_alu instid0(VALU_DEP_1) | instskip(NEXT) | instid1(VALU_DEP_1)
	v_add_nc_u32_e32 v7, v8, v7
	v_lshrrev_b32_e32 v9, s6, v7
	s_delay_alu instid0(VALU_DEP_1) | instskip(NEXT) | instid1(VALU_DEP_1)
	v_mul_lo_u32 v7, v9, s4
	v_sub_nc_u32_e32 v7, v8, v7
	s_delay_alu instid0(VALU_DEP_1)
	v_mul_lo_u32 v7, v7, s2
	s_cbranch_scc1 .LBB101_120
; %bb.119:
	s_clause 0x1
	s_load_b128 s[4:7], s[0:1], 0x10
	s_load_b32 s2, s[0:1], 0xc8
	s_waitcnt lgkmcnt(0)
	v_mul_hi_u32 v8, s5, v9
	s_delay_alu instid0(VALU_DEP_1) | instskip(NEXT) | instid1(VALU_DEP_1)
	v_add_nc_u32_e32 v8, v9, v8
	v_lshrrev_b32_e32 v8, s6, v8
	s_delay_alu instid0(VALU_DEP_1) | instskip(NEXT) | instid1(VALU_DEP_1)
	v_mul_lo_u32 v8, v8, s4
	v_sub_nc_u32_e32 v10, v9, v8
	s_delay_alu instid0(VALU_DEP_1) | instskip(NEXT) | instid1(VALU_DEP_1)
	v_mad_u64_u32 v[8:9], null, v10, s2, v[7:8]
	v_mov_b32_e32 v7, v8
.LBB101_120:
	s_clause 0x1
	s_load_b32 s2, s[0:1], 0x110
	s_load_b64 s[0:1], s[0:1], 0x108
	s_waitcnt lgkmcnt(0)
	v_mov_b32_e32 v8, s2
	s_clause 0x7
	global_store_b16 v0, v8, s[0:1]
	global_store_b16 v1, v8, s[0:1]
	;; [unrolled: 1-line block ×8, first 2 shown]
	s_nop 0
	s_sendmsg sendmsg(MSG_DEALLOC_VGPRS)
	s_endpgm
.LBB101_121:
	v_mov_b32_e32 v1, v6
.LBB101_122:
	s_and_b32 s29, s29, 3
	s_delay_alu instid0(SALU_CYCLE_1)
	s_cmp_eq_u32 s29, 0
	s_cbranch_scc1 .LBB101_125
; %bb.123:
	s_lshl_b32 s14, s28, 2
	s_mul_i32 s16, s28, 12
	s_add_u32 s14, s14, s0
	s_addc_u32 s15, s1, 0
	s_add_u32 s14, s14, 0xc4
	s_addc_u32 s15, s15, 0
	;; [unrolled: 2-line block ×3, first 2 shown]
	.p2align	6
.LBB101_124:                            ; =>This Inner Loop Header: Depth=1
	s_clause 0x1
	s_load_b64 s[30:31], s[16:17], 0x4
	s_load_b32 s28, s[16:17], 0xc
	s_add_u32 s16, s16, 12
	s_addc_u32 s17, s17, 0
	s_waitcnt lgkmcnt(0)
	v_mul_hi_u32 v2, s31, v1
	s_load_b32 s31, s[14:15], 0x0
	s_add_u32 s14, s14, 4
	s_addc_u32 s15, s15, 0
	s_add_i32 s29, s29, -1
	s_delay_alu instid0(SALU_CYCLE_1) | instskip(NEXT) | instid1(VALU_DEP_1)
	s_cmp_lg_u32 s29, 0
	v_add_nc_u32_e32 v2, v1, v2
	s_delay_alu instid0(VALU_DEP_1) | instskip(NEXT) | instid1(VALU_DEP_1)
	v_lshrrev_b32_e32 v4, s28, v2
	v_mul_lo_u32 v2, v4, s30
	s_delay_alu instid0(VALU_DEP_1) | instskip(SKIP_1) | instid1(VALU_DEP_1)
	v_sub_nc_u32_e32 v1, v1, v2
	s_waitcnt lgkmcnt(0)
	v_mad_u64_u32 v[2:3], null, v1, s31, v[0:1]
	s_delay_alu instid0(VALU_DEP_1)
	v_dual_mov_b32 v1, v4 :: v_dual_mov_b32 v0, v2
	s_cbranch_scc1 .LBB101_124
.LBB101_125:
	s_cbranch_execnz .LBB101_128
.LBB101_126:
	s_waitcnt lgkmcnt(0)
	v_mul_hi_u32 v0, s5, v6
	s_and_not1_b32 vcc_lo, exec_lo, s23
	s_delay_alu instid0(VALU_DEP_1) | instskip(NEXT) | instid1(VALU_DEP_1)
	v_add_nc_u32_e32 v0, v6, v0
	v_lshrrev_b32_e32 v1, s6, v0
	s_delay_alu instid0(VALU_DEP_1) | instskip(NEXT) | instid1(VALU_DEP_1)
	v_mul_lo_u32 v0, v1, s4
	v_sub_nc_u32_e32 v0, v6, v0
	s_delay_alu instid0(VALU_DEP_1)
	v_mul_lo_u32 v0, v0, s8
	s_cbranch_vccnz .LBB101_128
; %bb.127:
	v_mul_hi_u32 v2, s10, v1
	s_delay_alu instid0(VALU_DEP_1) | instskip(NEXT) | instid1(VALU_DEP_1)
	v_add_nc_u32_e32 v2, v1, v2
	v_lshrrev_b32_e32 v2, s11, v2
	s_delay_alu instid0(VALU_DEP_1) | instskip(NEXT) | instid1(VALU_DEP_1)
	v_mul_lo_u32 v2, v2, s7
	v_sub_nc_u32_e32 v3, v1, v2
	s_delay_alu instid0(VALU_DEP_1) | instskip(NEXT) | instid1(VALU_DEP_1)
	v_mad_u64_u32 v[1:2], null, v3, s9, v[0:1]
	v_mov_b32_e32 v0, v1
.LBB101_128:
	s_waitcnt lgkmcnt(0)
	v_dual_mov_b32 v1, s22 :: v_dual_add_nc_u32 v6, 0x80, v6
	global_store_b16 v0, v1, s[2:3]
	s_or_b32 exec_lo, exec_lo, s27
	s_delay_alu instid0(SALU_CYCLE_1)
	s_mov_b32 s27, exec_lo
	v_cmpx_gt_i32_e64 s24, v6
	s_cbranch_execnz .LBB101_15
.LBB101_129:
	s_or_b32 exec_lo, exec_lo, s27
	s_delay_alu instid0(SALU_CYCLE_1)
	s_mov_b32 s27, exec_lo
	v_cmpx_gt_i32_e64 s24, v6
	s_cbranch_execz .LBB101_144
.LBB101_130:
	s_and_not1_b32 vcc_lo, exec_lo, s20
	s_cbranch_vccnz .LBB101_135
; %bb.131:
	v_mov_b32_e32 v0, 0
	s_and_not1_b32 vcc_lo, exec_lo, s26
	s_cbranch_vccnz .LBB101_155
; %bb.132:
	s_add_i32 s29, s25, 1
	s_cmp_eq_u32 s19, 2
	s_mov_b32 s28, 0
	s_cbranch_scc1 .LBB101_151
; %bb.133:
	v_dual_mov_b32 v0, 0 :: v_dual_mov_b32 v1, v6
	s_and_b32 s28, s29, 28
	s_mov_b32 s30, 0
	s_mov_b64 s[14:15], s[0:1]
	s_mov_b64 s[16:17], s[12:13]
.LBB101_134:                            ; =>This Inner Loop Header: Depth=1
	s_clause 0x1
	s_load_b256 s[36:43], s[14:15], 0x4
	s_load_b128 s[44:47], s[14:15], 0x24
	s_load_b128 s[48:51], s[16:17], 0x0
	s_add_u32 s14, s14, 48
	s_addc_u32 s15, s15, 0
	s_add_i32 s30, s30, 4
	s_add_u32 s16, s16, 16
	s_addc_u32 s17, s17, 0
	s_cmp_eq_u32 s28, s30
	s_waitcnt lgkmcnt(0)
	v_mul_hi_u32 v2, s37, v1
	s_delay_alu instid0(VALU_DEP_1) | instskip(NEXT) | instid1(VALU_DEP_1)
	v_add_nc_u32_e32 v2, v1, v2
	v_lshrrev_b32_e32 v2, s38, v2
	s_delay_alu instid0(VALU_DEP_1) | instskip(SKIP_1) | instid1(VALU_DEP_2)
	v_mul_hi_u32 v3, s40, v2
	v_mul_lo_u32 v7, v2, s36
	v_add_nc_u32_e32 v3, v2, v3
	s_delay_alu instid0(VALU_DEP_2) | instskip(NEXT) | instid1(VALU_DEP_2)
	v_sub_nc_u32_e32 v7, v1, v7
	v_lshrrev_b32_e32 v3, s41, v3
	s_delay_alu instid0(VALU_DEP_2) | instskip(NEXT) | instid1(VALU_DEP_2)
	v_mul_lo_u32 v7, v7, s48
	v_mul_hi_u32 v4, s43, v3
	v_mul_lo_u32 v8, v3, s39
	s_delay_alu instid0(VALU_DEP_2) | instskip(NEXT) | instid1(VALU_DEP_2)
	v_add_nc_u32_e32 v4, v3, v4
	v_sub_nc_u32_e32 v2, v2, v8
	s_delay_alu instid0(VALU_DEP_2) | instskip(NEXT) | instid1(VALU_DEP_2)
	v_lshrrev_b32_e32 v4, s44, v4
	v_mul_lo_u32 v2, v2, s49
	s_delay_alu instid0(VALU_DEP_2) | instskip(NEXT) | instid1(VALU_DEP_2)
	v_mul_hi_u32 v5, s46, v4
	v_add3_u32 v0, v7, v0, v2
	s_delay_alu instid0(VALU_DEP_2) | instskip(NEXT) | instid1(VALU_DEP_1)
	v_add_nc_u32_e32 v5, v4, v5
	v_lshrrev_b32_e32 v1, s47, v5
	v_mul_lo_u32 v5, v4, s42
	s_delay_alu instid0(VALU_DEP_2) | instskip(NEXT) | instid1(VALU_DEP_2)
	v_mul_lo_u32 v9, v1, s45
	v_sub_nc_u32_e32 v3, v3, v5
	s_delay_alu instid0(VALU_DEP_2) | instskip(NEXT) | instid1(VALU_DEP_2)
	v_sub_nc_u32_e32 v4, v4, v9
	v_mul_lo_u32 v3, v3, s50
	s_delay_alu instid0(VALU_DEP_2) | instskip(NEXT) | instid1(VALU_DEP_1)
	v_mul_lo_u32 v4, v4, s51
	v_add3_u32 v0, v3, v0, v4
	s_cbranch_scc0 .LBB101_134
	s_branch .LBB101_152
.LBB101_135:
                                        ; implicit-def: $vgpr0
	s_branch .LBB101_156
.LBB101_136:
	v_mov_b32_e32 v1, v6
.LBB101_137:
	s_and_b32 s29, s29, 3
	s_delay_alu instid0(SALU_CYCLE_1)
	s_cmp_eq_u32 s29, 0
	s_cbranch_scc1 .LBB101_140
; %bb.138:
	s_lshl_b32 s14, s28, 2
	s_mul_i32 s16, s28, 12
	s_add_u32 s14, s14, s0
	s_addc_u32 s15, s1, 0
	s_add_u32 s14, s14, 0xc4
	s_addc_u32 s15, s15, 0
	;; [unrolled: 2-line block ×3, first 2 shown]
	.p2align	6
.LBB101_139:                            ; =>This Inner Loop Header: Depth=1
	s_clause 0x1
	s_load_b64 s[30:31], s[16:17], 0x4
	s_load_b32 s28, s[16:17], 0xc
	s_add_u32 s16, s16, 12
	s_addc_u32 s17, s17, 0
	s_waitcnt lgkmcnt(0)
	v_mul_hi_u32 v2, s31, v1
	s_load_b32 s31, s[14:15], 0x0
	s_add_u32 s14, s14, 4
	s_addc_u32 s15, s15, 0
	s_add_i32 s29, s29, -1
	s_delay_alu instid0(SALU_CYCLE_1) | instskip(NEXT) | instid1(VALU_DEP_1)
	s_cmp_lg_u32 s29, 0
	v_add_nc_u32_e32 v2, v1, v2
	s_delay_alu instid0(VALU_DEP_1) | instskip(NEXT) | instid1(VALU_DEP_1)
	v_lshrrev_b32_e32 v4, s28, v2
	v_mul_lo_u32 v2, v4, s30
	s_delay_alu instid0(VALU_DEP_1) | instskip(SKIP_1) | instid1(VALU_DEP_1)
	v_sub_nc_u32_e32 v1, v1, v2
	s_waitcnt lgkmcnt(0)
	v_mad_u64_u32 v[2:3], null, v1, s31, v[0:1]
	s_delay_alu instid0(VALU_DEP_1)
	v_dual_mov_b32 v1, v4 :: v_dual_mov_b32 v0, v2
	s_cbranch_scc1 .LBB101_139
.LBB101_140:
	s_cbranch_execnz .LBB101_143
.LBB101_141:
	s_waitcnt lgkmcnt(0)
	v_mul_hi_u32 v0, s5, v6
	s_and_not1_b32 vcc_lo, exec_lo, s23
	s_delay_alu instid0(VALU_DEP_1) | instskip(NEXT) | instid1(VALU_DEP_1)
	v_add_nc_u32_e32 v0, v6, v0
	v_lshrrev_b32_e32 v1, s6, v0
	s_delay_alu instid0(VALU_DEP_1) | instskip(NEXT) | instid1(VALU_DEP_1)
	v_mul_lo_u32 v0, v1, s4
	v_sub_nc_u32_e32 v0, v6, v0
	s_delay_alu instid0(VALU_DEP_1)
	v_mul_lo_u32 v0, v0, s8
	s_cbranch_vccnz .LBB101_143
; %bb.142:
	v_mul_hi_u32 v2, s10, v1
	s_delay_alu instid0(VALU_DEP_1) | instskip(NEXT) | instid1(VALU_DEP_1)
	v_add_nc_u32_e32 v2, v1, v2
	v_lshrrev_b32_e32 v2, s11, v2
	s_delay_alu instid0(VALU_DEP_1) | instskip(NEXT) | instid1(VALU_DEP_1)
	v_mul_lo_u32 v2, v2, s7
	v_sub_nc_u32_e32 v3, v1, v2
	s_delay_alu instid0(VALU_DEP_1) | instskip(NEXT) | instid1(VALU_DEP_1)
	v_mad_u64_u32 v[1:2], null, v3, s9, v[0:1]
	v_mov_b32_e32 v0, v1
.LBB101_143:
	s_waitcnt lgkmcnt(0)
	v_dual_mov_b32 v1, s22 :: v_dual_add_nc_u32 v6, 0x80, v6
	global_store_b16 v0, v1, s[2:3]
	s_or_b32 exec_lo, exec_lo, s27
	s_delay_alu instid0(SALU_CYCLE_1)
	s_mov_b32 s27, exec_lo
	v_cmpx_gt_i32_e64 s24, v6
	s_cbranch_execnz .LBB101_130
.LBB101_144:
	s_or_b32 exec_lo, exec_lo, s27
	s_delay_alu instid0(SALU_CYCLE_1)
	s_mov_b32 s27, exec_lo
	v_cmpx_gt_i32_e64 s24, v6
	s_cbranch_execz .LBB101_159
.LBB101_145:
	s_and_not1_b32 vcc_lo, exec_lo, s20
	s_cbranch_vccnz .LBB101_150
; %bb.146:
	v_mov_b32_e32 v0, 0
	s_and_not1_b32 vcc_lo, exec_lo, s26
	s_cbranch_vccnz .LBB101_170
; %bb.147:
	s_add_i32 s29, s25, 1
	s_cmp_eq_u32 s19, 2
	s_mov_b32 s28, 0
	s_cbranch_scc1 .LBB101_166
; %bb.148:
	v_dual_mov_b32 v0, 0 :: v_dual_mov_b32 v1, v6
	s_and_b32 s28, s29, 28
	s_mov_b32 s30, 0
	s_mov_b64 s[14:15], s[0:1]
	s_mov_b64 s[16:17], s[12:13]
.LBB101_149:                            ; =>This Inner Loop Header: Depth=1
	s_clause 0x1
	s_load_b256 s[36:43], s[14:15], 0x4
	s_load_b128 s[44:47], s[14:15], 0x24
	s_load_b128 s[48:51], s[16:17], 0x0
	s_add_u32 s14, s14, 48
	s_addc_u32 s15, s15, 0
	s_add_i32 s30, s30, 4
	s_add_u32 s16, s16, 16
	s_addc_u32 s17, s17, 0
	s_cmp_eq_u32 s28, s30
	s_waitcnt lgkmcnt(0)
	v_mul_hi_u32 v2, s37, v1
	s_delay_alu instid0(VALU_DEP_1) | instskip(NEXT) | instid1(VALU_DEP_1)
	v_add_nc_u32_e32 v2, v1, v2
	v_lshrrev_b32_e32 v2, s38, v2
	s_delay_alu instid0(VALU_DEP_1) | instskip(SKIP_1) | instid1(VALU_DEP_2)
	v_mul_hi_u32 v3, s40, v2
	v_mul_lo_u32 v7, v2, s36
	v_add_nc_u32_e32 v3, v2, v3
	s_delay_alu instid0(VALU_DEP_2) | instskip(NEXT) | instid1(VALU_DEP_2)
	v_sub_nc_u32_e32 v7, v1, v7
	v_lshrrev_b32_e32 v3, s41, v3
	s_delay_alu instid0(VALU_DEP_2) | instskip(NEXT) | instid1(VALU_DEP_2)
	v_mul_lo_u32 v7, v7, s48
	v_mul_hi_u32 v4, s43, v3
	v_mul_lo_u32 v8, v3, s39
	s_delay_alu instid0(VALU_DEP_2) | instskip(NEXT) | instid1(VALU_DEP_2)
	v_add_nc_u32_e32 v4, v3, v4
	v_sub_nc_u32_e32 v2, v2, v8
	s_delay_alu instid0(VALU_DEP_2) | instskip(NEXT) | instid1(VALU_DEP_2)
	v_lshrrev_b32_e32 v4, s44, v4
	v_mul_lo_u32 v2, v2, s49
	s_delay_alu instid0(VALU_DEP_2) | instskip(NEXT) | instid1(VALU_DEP_2)
	v_mul_hi_u32 v5, s46, v4
	v_add3_u32 v0, v7, v0, v2
	s_delay_alu instid0(VALU_DEP_2) | instskip(NEXT) | instid1(VALU_DEP_1)
	v_add_nc_u32_e32 v5, v4, v5
	v_lshrrev_b32_e32 v1, s47, v5
	v_mul_lo_u32 v5, v4, s42
	s_delay_alu instid0(VALU_DEP_2) | instskip(NEXT) | instid1(VALU_DEP_2)
	v_mul_lo_u32 v9, v1, s45
	v_sub_nc_u32_e32 v3, v3, v5
	s_delay_alu instid0(VALU_DEP_2) | instskip(NEXT) | instid1(VALU_DEP_2)
	v_sub_nc_u32_e32 v4, v4, v9
	v_mul_lo_u32 v3, v3, s50
	s_delay_alu instid0(VALU_DEP_2) | instskip(NEXT) | instid1(VALU_DEP_1)
	v_mul_lo_u32 v4, v4, s51
	v_add3_u32 v0, v3, v0, v4
	s_cbranch_scc0 .LBB101_149
	s_branch .LBB101_167
.LBB101_150:
                                        ; implicit-def: $vgpr0
	s_branch .LBB101_171
.LBB101_151:
	v_mov_b32_e32 v1, v6
.LBB101_152:
	s_and_b32 s29, s29, 3
	s_delay_alu instid0(SALU_CYCLE_1)
	s_cmp_eq_u32 s29, 0
	s_cbranch_scc1 .LBB101_155
; %bb.153:
	s_lshl_b32 s14, s28, 2
	s_mul_i32 s16, s28, 12
	s_add_u32 s14, s14, s0
	s_addc_u32 s15, s1, 0
	s_add_u32 s14, s14, 0xc4
	s_addc_u32 s15, s15, 0
	;; [unrolled: 2-line block ×3, first 2 shown]
	.p2align	6
.LBB101_154:                            ; =>This Inner Loop Header: Depth=1
	s_clause 0x1
	s_load_b64 s[30:31], s[16:17], 0x4
	s_load_b32 s28, s[16:17], 0xc
	s_add_u32 s16, s16, 12
	s_addc_u32 s17, s17, 0
	s_waitcnt lgkmcnt(0)
	v_mul_hi_u32 v2, s31, v1
	s_load_b32 s31, s[14:15], 0x0
	s_add_u32 s14, s14, 4
	s_addc_u32 s15, s15, 0
	s_add_i32 s29, s29, -1
	s_delay_alu instid0(SALU_CYCLE_1) | instskip(NEXT) | instid1(VALU_DEP_1)
	s_cmp_lg_u32 s29, 0
	v_add_nc_u32_e32 v2, v1, v2
	s_delay_alu instid0(VALU_DEP_1) | instskip(NEXT) | instid1(VALU_DEP_1)
	v_lshrrev_b32_e32 v4, s28, v2
	v_mul_lo_u32 v2, v4, s30
	s_delay_alu instid0(VALU_DEP_1) | instskip(SKIP_1) | instid1(VALU_DEP_1)
	v_sub_nc_u32_e32 v1, v1, v2
	s_waitcnt lgkmcnt(0)
	v_mad_u64_u32 v[2:3], null, v1, s31, v[0:1]
	s_delay_alu instid0(VALU_DEP_1)
	v_dual_mov_b32 v1, v4 :: v_dual_mov_b32 v0, v2
	s_cbranch_scc1 .LBB101_154
.LBB101_155:
	s_cbranch_execnz .LBB101_158
.LBB101_156:
	s_waitcnt lgkmcnt(0)
	v_mul_hi_u32 v0, s5, v6
	s_and_not1_b32 vcc_lo, exec_lo, s23
	s_delay_alu instid0(VALU_DEP_1) | instskip(NEXT) | instid1(VALU_DEP_1)
	v_add_nc_u32_e32 v0, v6, v0
	v_lshrrev_b32_e32 v1, s6, v0
	s_delay_alu instid0(VALU_DEP_1) | instskip(NEXT) | instid1(VALU_DEP_1)
	v_mul_lo_u32 v0, v1, s4
	v_sub_nc_u32_e32 v0, v6, v0
	s_delay_alu instid0(VALU_DEP_1)
	v_mul_lo_u32 v0, v0, s8
	s_cbranch_vccnz .LBB101_158
; %bb.157:
	v_mul_hi_u32 v2, s10, v1
	s_delay_alu instid0(VALU_DEP_1) | instskip(NEXT) | instid1(VALU_DEP_1)
	v_add_nc_u32_e32 v2, v1, v2
	v_lshrrev_b32_e32 v2, s11, v2
	s_delay_alu instid0(VALU_DEP_1) | instskip(NEXT) | instid1(VALU_DEP_1)
	v_mul_lo_u32 v2, v2, s7
	v_sub_nc_u32_e32 v3, v1, v2
	s_delay_alu instid0(VALU_DEP_1) | instskip(NEXT) | instid1(VALU_DEP_1)
	v_mad_u64_u32 v[1:2], null, v3, s9, v[0:1]
	v_mov_b32_e32 v0, v1
.LBB101_158:
	s_waitcnt lgkmcnt(0)
	v_dual_mov_b32 v1, s22 :: v_dual_add_nc_u32 v6, 0x80, v6
	global_store_b16 v0, v1, s[2:3]
	s_or_b32 exec_lo, exec_lo, s27
	s_delay_alu instid0(SALU_CYCLE_1)
	s_mov_b32 s27, exec_lo
	v_cmpx_gt_i32_e64 s24, v6
	s_cbranch_execnz .LBB101_145
.LBB101_159:
	s_or_b32 exec_lo, exec_lo, s27
	s_delay_alu instid0(SALU_CYCLE_1)
	s_mov_b32 s27, exec_lo
	v_cmpx_gt_i32_e64 s24, v6
	s_cbranch_execz .LBB101_174
.LBB101_160:
	s_and_not1_b32 vcc_lo, exec_lo, s20
	s_cbranch_vccnz .LBB101_165
; %bb.161:
	v_mov_b32_e32 v0, 0
	s_and_not1_b32 vcc_lo, exec_lo, s26
	s_cbranch_vccnz .LBB101_185
; %bb.162:
	s_add_i32 s29, s25, 1
	s_cmp_eq_u32 s19, 2
	s_mov_b32 s28, 0
	s_cbranch_scc1 .LBB101_181
; %bb.163:
	v_dual_mov_b32 v0, 0 :: v_dual_mov_b32 v1, v6
	s_and_b32 s28, s29, 28
	s_mov_b32 s30, 0
	s_mov_b64 s[14:15], s[0:1]
	s_mov_b64 s[16:17], s[12:13]
.LBB101_164:                            ; =>This Inner Loop Header: Depth=1
	s_clause 0x1
	s_load_b256 s[36:43], s[14:15], 0x4
	s_load_b128 s[44:47], s[14:15], 0x24
	s_load_b128 s[48:51], s[16:17], 0x0
	s_add_u32 s14, s14, 48
	s_addc_u32 s15, s15, 0
	s_add_i32 s30, s30, 4
	s_add_u32 s16, s16, 16
	s_addc_u32 s17, s17, 0
	s_cmp_eq_u32 s28, s30
	s_waitcnt lgkmcnt(0)
	v_mul_hi_u32 v2, s37, v1
	s_delay_alu instid0(VALU_DEP_1) | instskip(NEXT) | instid1(VALU_DEP_1)
	v_add_nc_u32_e32 v2, v1, v2
	v_lshrrev_b32_e32 v2, s38, v2
	s_delay_alu instid0(VALU_DEP_1) | instskip(SKIP_1) | instid1(VALU_DEP_2)
	v_mul_hi_u32 v3, s40, v2
	v_mul_lo_u32 v7, v2, s36
	v_add_nc_u32_e32 v3, v2, v3
	s_delay_alu instid0(VALU_DEP_2) | instskip(NEXT) | instid1(VALU_DEP_2)
	v_sub_nc_u32_e32 v7, v1, v7
	v_lshrrev_b32_e32 v3, s41, v3
	s_delay_alu instid0(VALU_DEP_2) | instskip(NEXT) | instid1(VALU_DEP_2)
	v_mul_lo_u32 v7, v7, s48
	v_mul_hi_u32 v4, s43, v3
	v_mul_lo_u32 v8, v3, s39
	s_delay_alu instid0(VALU_DEP_2) | instskip(NEXT) | instid1(VALU_DEP_2)
	v_add_nc_u32_e32 v4, v3, v4
	v_sub_nc_u32_e32 v2, v2, v8
	s_delay_alu instid0(VALU_DEP_2) | instskip(NEXT) | instid1(VALU_DEP_2)
	v_lshrrev_b32_e32 v4, s44, v4
	v_mul_lo_u32 v2, v2, s49
	s_delay_alu instid0(VALU_DEP_2) | instskip(NEXT) | instid1(VALU_DEP_2)
	v_mul_hi_u32 v5, s46, v4
	v_add3_u32 v0, v7, v0, v2
	s_delay_alu instid0(VALU_DEP_2) | instskip(NEXT) | instid1(VALU_DEP_1)
	v_add_nc_u32_e32 v5, v4, v5
	v_lshrrev_b32_e32 v1, s47, v5
	v_mul_lo_u32 v5, v4, s42
	s_delay_alu instid0(VALU_DEP_2) | instskip(NEXT) | instid1(VALU_DEP_2)
	v_mul_lo_u32 v9, v1, s45
	v_sub_nc_u32_e32 v3, v3, v5
	s_delay_alu instid0(VALU_DEP_2) | instskip(NEXT) | instid1(VALU_DEP_2)
	v_sub_nc_u32_e32 v4, v4, v9
	v_mul_lo_u32 v3, v3, s50
	s_delay_alu instid0(VALU_DEP_2) | instskip(NEXT) | instid1(VALU_DEP_1)
	v_mul_lo_u32 v4, v4, s51
	v_add3_u32 v0, v3, v0, v4
	s_cbranch_scc0 .LBB101_164
	s_branch .LBB101_182
.LBB101_165:
                                        ; implicit-def: $vgpr0
	s_branch .LBB101_186
.LBB101_166:
	v_mov_b32_e32 v1, v6
.LBB101_167:
	s_and_b32 s29, s29, 3
	s_delay_alu instid0(SALU_CYCLE_1)
	s_cmp_eq_u32 s29, 0
	s_cbranch_scc1 .LBB101_170
; %bb.168:
	s_lshl_b32 s14, s28, 2
	s_mul_i32 s16, s28, 12
	s_add_u32 s14, s14, s0
	s_addc_u32 s15, s1, 0
	s_add_u32 s14, s14, 0xc4
	s_addc_u32 s15, s15, 0
	;; [unrolled: 2-line block ×3, first 2 shown]
	.p2align	6
.LBB101_169:                            ; =>This Inner Loop Header: Depth=1
	s_clause 0x1
	s_load_b64 s[30:31], s[16:17], 0x4
	s_load_b32 s28, s[16:17], 0xc
	s_add_u32 s16, s16, 12
	s_addc_u32 s17, s17, 0
	s_waitcnt lgkmcnt(0)
	v_mul_hi_u32 v2, s31, v1
	s_load_b32 s31, s[14:15], 0x0
	s_add_u32 s14, s14, 4
	s_addc_u32 s15, s15, 0
	s_add_i32 s29, s29, -1
	s_delay_alu instid0(SALU_CYCLE_1) | instskip(NEXT) | instid1(VALU_DEP_1)
	s_cmp_lg_u32 s29, 0
	v_add_nc_u32_e32 v2, v1, v2
	s_delay_alu instid0(VALU_DEP_1) | instskip(NEXT) | instid1(VALU_DEP_1)
	v_lshrrev_b32_e32 v4, s28, v2
	v_mul_lo_u32 v2, v4, s30
	s_delay_alu instid0(VALU_DEP_1) | instskip(SKIP_1) | instid1(VALU_DEP_1)
	v_sub_nc_u32_e32 v1, v1, v2
	s_waitcnt lgkmcnt(0)
	v_mad_u64_u32 v[2:3], null, v1, s31, v[0:1]
	s_delay_alu instid0(VALU_DEP_1)
	v_dual_mov_b32 v1, v4 :: v_dual_mov_b32 v0, v2
	s_cbranch_scc1 .LBB101_169
.LBB101_170:
	s_cbranch_execnz .LBB101_173
.LBB101_171:
	s_waitcnt lgkmcnt(0)
	v_mul_hi_u32 v0, s5, v6
	s_and_not1_b32 vcc_lo, exec_lo, s23
	s_delay_alu instid0(VALU_DEP_1) | instskip(NEXT) | instid1(VALU_DEP_1)
	v_add_nc_u32_e32 v0, v6, v0
	v_lshrrev_b32_e32 v1, s6, v0
	s_delay_alu instid0(VALU_DEP_1) | instskip(NEXT) | instid1(VALU_DEP_1)
	v_mul_lo_u32 v0, v1, s4
	v_sub_nc_u32_e32 v0, v6, v0
	s_delay_alu instid0(VALU_DEP_1)
	v_mul_lo_u32 v0, v0, s8
	s_cbranch_vccnz .LBB101_173
; %bb.172:
	v_mul_hi_u32 v2, s10, v1
	s_delay_alu instid0(VALU_DEP_1) | instskip(NEXT) | instid1(VALU_DEP_1)
	v_add_nc_u32_e32 v2, v1, v2
	v_lshrrev_b32_e32 v2, s11, v2
	s_delay_alu instid0(VALU_DEP_1) | instskip(NEXT) | instid1(VALU_DEP_1)
	v_mul_lo_u32 v2, v2, s7
	v_sub_nc_u32_e32 v3, v1, v2
	s_delay_alu instid0(VALU_DEP_1) | instskip(NEXT) | instid1(VALU_DEP_1)
	v_mad_u64_u32 v[1:2], null, v3, s9, v[0:1]
	v_mov_b32_e32 v0, v1
.LBB101_173:
	s_waitcnt lgkmcnt(0)
	v_dual_mov_b32 v1, s22 :: v_dual_add_nc_u32 v6, 0x80, v6
	global_store_b16 v0, v1, s[2:3]
	s_or_b32 exec_lo, exec_lo, s27
	s_delay_alu instid0(SALU_CYCLE_1)
	s_mov_b32 s27, exec_lo
	v_cmpx_gt_i32_e64 s24, v6
	s_cbranch_execnz .LBB101_160
.LBB101_174:
	s_or_b32 exec_lo, exec_lo, s27
	s_delay_alu instid0(SALU_CYCLE_1)
	s_mov_b32 s27, exec_lo
	v_cmpx_gt_i32_e64 s24, v6
	s_cbranch_execz .LBB101_189
.LBB101_175:
	s_and_not1_b32 vcc_lo, exec_lo, s20
	s_cbranch_vccnz .LBB101_180
; %bb.176:
	v_mov_b32_e32 v0, 0
	s_and_not1_b32 vcc_lo, exec_lo, s26
	s_cbranch_vccnz .LBB101_200
; %bb.177:
	s_add_i32 s29, s25, 1
	s_cmp_eq_u32 s19, 2
	s_mov_b32 s28, 0
	s_cbranch_scc1 .LBB101_196
; %bb.178:
	v_dual_mov_b32 v0, 0 :: v_dual_mov_b32 v1, v6
	s_and_b32 s28, s29, 28
	s_mov_b32 s30, 0
	s_mov_b64 s[14:15], s[0:1]
	s_mov_b64 s[16:17], s[12:13]
.LBB101_179:                            ; =>This Inner Loop Header: Depth=1
	s_clause 0x1
	s_load_b256 s[36:43], s[14:15], 0x4
	s_load_b128 s[44:47], s[14:15], 0x24
	s_load_b128 s[48:51], s[16:17], 0x0
	s_add_u32 s14, s14, 48
	s_addc_u32 s15, s15, 0
	s_add_i32 s30, s30, 4
	s_add_u32 s16, s16, 16
	s_addc_u32 s17, s17, 0
	s_cmp_eq_u32 s28, s30
	s_waitcnt lgkmcnt(0)
	v_mul_hi_u32 v2, s37, v1
	s_delay_alu instid0(VALU_DEP_1) | instskip(NEXT) | instid1(VALU_DEP_1)
	v_add_nc_u32_e32 v2, v1, v2
	v_lshrrev_b32_e32 v2, s38, v2
	s_delay_alu instid0(VALU_DEP_1) | instskip(SKIP_1) | instid1(VALU_DEP_2)
	v_mul_hi_u32 v3, s40, v2
	v_mul_lo_u32 v7, v2, s36
	v_add_nc_u32_e32 v3, v2, v3
	s_delay_alu instid0(VALU_DEP_2) | instskip(NEXT) | instid1(VALU_DEP_2)
	v_sub_nc_u32_e32 v7, v1, v7
	v_lshrrev_b32_e32 v3, s41, v3
	s_delay_alu instid0(VALU_DEP_2) | instskip(NEXT) | instid1(VALU_DEP_2)
	v_mul_lo_u32 v7, v7, s48
	v_mul_hi_u32 v4, s43, v3
	v_mul_lo_u32 v8, v3, s39
	s_delay_alu instid0(VALU_DEP_2) | instskip(NEXT) | instid1(VALU_DEP_2)
	v_add_nc_u32_e32 v4, v3, v4
	v_sub_nc_u32_e32 v2, v2, v8
	s_delay_alu instid0(VALU_DEP_2) | instskip(NEXT) | instid1(VALU_DEP_2)
	v_lshrrev_b32_e32 v4, s44, v4
	v_mul_lo_u32 v2, v2, s49
	s_delay_alu instid0(VALU_DEP_2) | instskip(NEXT) | instid1(VALU_DEP_2)
	v_mul_hi_u32 v5, s46, v4
	v_add3_u32 v0, v7, v0, v2
	s_delay_alu instid0(VALU_DEP_2) | instskip(NEXT) | instid1(VALU_DEP_1)
	v_add_nc_u32_e32 v5, v4, v5
	v_lshrrev_b32_e32 v1, s47, v5
	v_mul_lo_u32 v5, v4, s42
	s_delay_alu instid0(VALU_DEP_2) | instskip(NEXT) | instid1(VALU_DEP_2)
	v_mul_lo_u32 v9, v1, s45
	v_sub_nc_u32_e32 v3, v3, v5
	s_delay_alu instid0(VALU_DEP_2) | instskip(NEXT) | instid1(VALU_DEP_2)
	v_sub_nc_u32_e32 v4, v4, v9
	v_mul_lo_u32 v3, v3, s50
	s_delay_alu instid0(VALU_DEP_2) | instskip(NEXT) | instid1(VALU_DEP_1)
	v_mul_lo_u32 v4, v4, s51
	v_add3_u32 v0, v3, v0, v4
	s_cbranch_scc0 .LBB101_179
	s_branch .LBB101_197
.LBB101_180:
                                        ; implicit-def: $vgpr0
	s_branch .LBB101_201
.LBB101_181:
	v_mov_b32_e32 v1, v6
.LBB101_182:
	s_and_b32 s29, s29, 3
	s_delay_alu instid0(SALU_CYCLE_1)
	s_cmp_eq_u32 s29, 0
	s_cbranch_scc1 .LBB101_185
; %bb.183:
	s_lshl_b32 s14, s28, 2
	s_mul_i32 s16, s28, 12
	s_add_u32 s14, s14, s0
	s_addc_u32 s15, s1, 0
	s_add_u32 s14, s14, 0xc4
	s_addc_u32 s15, s15, 0
	s_add_u32 s16, s0, s16
	s_addc_u32 s17, s1, 0
	.p2align	6
.LBB101_184:                            ; =>This Inner Loop Header: Depth=1
	s_clause 0x1
	s_load_b64 s[30:31], s[16:17], 0x4
	s_load_b32 s28, s[16:17], 0xc
	s_add_u32 s16, s16, 12
	s_addc_u32 s17, s17, 0
	s_waitcnt lgkmcnt(0)
	v_mul_hi_u32 v2, s31, v1
	s_load_b32 s31, s[14:15], 0x0
	s_add_u32 s14, s14, 4
	s_addc_u32 s15, s15, 0
	s_add_i32 s29, s29, -1
	s_delay_alu instid0(SALU_CYCLE_1) | instskip(NEXT) | instid1(VALU_DEP_1)
	s_cmp_lg_u32 s29, 0
	v_add_nc_u32_e32 v2, v1, v2
	s_delay_alu instid0(VALU_DEP_1) | instskip(NEXT) | instid1(VALU_DEP_1)
	v_lshrrev_b32_e32 v4, s28, v2
	v_mul_lo_u32 v2, v4, s30
	s_delay_alu instid0(VALU_DEP_1) | instskip(SKIP_1) | instid1(VALU_DEP_1)
	v_sub_nc_u32_e32 v1, v1, v2
	s_waitcnt lgkmcnt(0)
	v_mad_u64_u32 v[2:3], null, v1, s31, v[0:1]
	s_delay_alu instid0(VALU_DEP_1)
	v_dual_mov_b32 v1, v4 :: v_dual_mov_b32 v0, v2
	s_cbranch_scc1 .LBB101_184
.LBB101_185:
	s_cbranch_execnz .LBB101_188
.LBB101_186:
	s_waitcnt lgkmcnt(0)
	v_mul_hi_u32 v0, s5, v6
	s_and_not1_b32 vcc_lo, exec_lo, s23
	s_delay_alu instid0(VALU_DEP_1) | instskip(NEXT) | instid1(VALU_DEP_1)
	v_add_nc_u32_e32 v0, v6, v0
	v_lshrrev_b32_e32 v1, s6, v0
	s_delay_alu instid0(VALU_DEP_1) | instskip(NEXT) | instid1(VALU_DEP_1)
	v_mul_lo_u32 v0, v1, s4
	v_sub_nc_u32_e32 v0, v6, v0
	s_delay_alu instid0(VALU_DEP_1)
	v_mul_lo_u32 v0, v0, s8
	s_cbranch_vccnz .LBB101_188
; %bb.187:
	v_mul_hi_u32 v2, s10, v1
	s_delay_alu instid0(VALU_DEP_1) | instskip(NEXT) | instid1(VALU_DEP_1)
	v_add_nc_u32_e32 v2, v1, v2
	v_lshrrev_b32_e32 v2, s11, v2
	s_delay_alu instid0(VALU_DEP_1) | instskip(NEXT) | instid1(VALU_DEP_1)
	v_mul_lo_u32 v2, v2, s7
	v_sub_nc_u32_e32 v3, v1, v2
	s_delay_alu instid0(VALU_DEP_1) | instskip(NEXT) | instid1(VALU_DEP_1)
	v_mad_u64_u32 v[1:2], null, v3, s9, v[0:1]
	v_mov_b32_e32 v0, v1
.LBB101_188:
	s_waitcnt lgkmcnt(0)
	v_dual_mov_b32 v1, s22 :: v_dual_add_nc_u32 v6, 0x80, v6
	global_store_b16 v0, v1, s[2:3]
	s_or_b32 exec_lo, exec_lo, s27
	s_delay_alu instid0(SALU_CYCLE_1)
	s_mov_b32 s27, exec_lo
	v_cmpx_gt_i32_e64 s24, v6
	s_cbranch_execnz .LBB101_175
.LBB101_189:
	s_or_b32 exec_lo, exec_lo, s27
	s_delay_alu instid0(SALU_CYCLE_1)
	s_mov_b32 s27, exec_lo
	v_cmpx_gt_i32_e64 s24, v6
	s_cbranch_execz .LBB101_204
.LBB101_190:
	s_and_not1_b32 vcc_lo, exec_lo, s20
	s_cbranch_vccnz .LBB101_195
; %bb.191:
	v_mov_b32_e32 v0, 0
	s_and_not1_b32 vcc_lo, exec_lo, s26
	s_cbranch_vccnz .LBB101_211
; %bb.192:
	s_add_i32 s29, s25, 1
	s_cmp_eq_u32 s19, 2
	s_mov_b32 s28, 0
	s_cbranch_scc1 .LBB101_207
; %bb.193:
	v_dual_mov_b32 v0, 0 :: v_dual_mov_b32 v1, v6
	s_and_b32 s28, s29, 28
	s_mov_b32 s30, 0
	s_mov_b64 s[14:15], s[0:1]
	s_mov_b64 s[16:17], s[12:13]
.LBB101_194:                            ; =>This Inner Loop Header: Depth=1
	s_clause 0x1
	s_load_b256 s[36:43], s[14:15], 0x4
	s_load_b128 s[44:47], s[14:15], 0x24
	s_load_b128 s[48:51], s[16:17], 0x0
	s_add_u32 s14, s14, 48
	s_addc_u32 s15, s15, 0
	s_add_i32 s30, s30, 4
	s_add_u32 s16, s16, 16
	s_addc_u32 s17, s17, 0
	s_cmp_eq_u32 s28, s30
	s_waitcnt lgkmcnt(0)
	v_mul_hi_u32 v2, s37, v1
	s_delay_alu instid0(VALU_DEP_1) | instskip(NEXT) | instid1(VALU_DEP_1)
	v_add_nc_u32_e32 v2, v1, v2
	v_lshrrev_b32_e32 v2, s38, v2
	s_delay_alu instid0(VALU_DEP_1) | instskip(SKIP_1) | instid1(VALU_DEP_2)
	v_mul_hi_u32 v3, s40, v2
	v_mul_lo_u32 v7, v2, s36
	v_add_nc_u32_e32 v3, v2, v3
	s_delay_alu instid0(VALU_DEP_2) | instskip(NEXT) | instid1(VALU_DEP_2)
	v_sub_nc_u32_e32 v7, v1, v7
	v_lshrrev_b32_e32 v3, s41, v3
	s_delay_alu instid0(VALU_DEP_2) | instskip(NEXT) | instid1(VALU_DEP_2)
	v_mul_lo_u32 v7, v7, s48
	v_mul_hi_u32 v4, s43, v3
	v_mul_lo_u32 v8, v3, s39
	s_delay_alu instid0(VALU_DEP_2) | instskip(NEXT) | instid1(VALU_DEP_2)
	v_add_nc_u32_e32 v4, v3, v4
	v_sub_nc_u32_e32 v2, v2, v8
	s_delay_alu instid0(VALU_DEP_2) | instskip(NEXT) | instid1(VALU_DEP_2)
	v_lshrrev_b32_e32 v4, s44, v4
	v_mul_lo_u32 v2, v2, s49
	s_delay_alu instid0(VALU_DEP_2) | instskip(NEXT) | instid1(VALU_DEP_2)
	v_mul_hi_u32 v5, s46, v4
	v_add3_u32 v0, v7, v0, v2
	s_delay_alu instid0(VALU_DEP_2) | instskip(NEXT) | instid1(VALU_DEP_1)
	v_add_nc_u32_e32 v5, v4, v5
	v_lshrrev_b32_e32 v1, s47, v5
	v_mul_lo_u32 v5, v4, s42
	s_delay_alu instid0(VALU_DEP_2) | instskip(NEXT) | instid1(VALU_DEP_2)
	v_mul_lo_u32 v9, v1, s45
	v_sub_nc_u32_e32 v3, v3, v5
	s_delay_alu instid0(VALU_DEP_2) | instskip(NEXT) | instid1(VALU_DEP_2)
	v_sub_nc_u32_e32 v4, v4, v9
	v_mul_lo_u32 v3, v3, s50
	s_delay_alu instid0(VALU_DEP_2) | instskip(NEXT) | instid1(VALU_DEP_1)
	v_mul_lo_u32 v4, v4, s51
	v_add3_u32 v0, v3, v0, v4
	s_cbranch_scc0 .LBB101_194
	s_branch .LBB101_208
.LBB101_195:
                                        ; implicit-def: $vgpr0
	s_branch .LBB101_212
.LBB101_196:
	v_mov_b32_e32 v1, v6
.LBB101_197:
	s_and_b32 s29, s29, 3
	s_delay_alu instid0(SALU_CYCLE_1)
	s_cmp_eq_u32 s29, 0
	s_cbranch_scc1 .LBB101_200
; %bb.198:
	s_lshl_b32 s14, s28, 2
	s_mul_i32 s16, s28, 12
	s_add_u32 s14, s14, s0
	s_addc_u32 s15, s1, 0
	s_add_u32 s14, s14, 0xc4
	s_addc_u32 s15, s15, 0
	;; [unrolled: 2-line block ×3, first 2 shown]
	.p2align	6
.LBB101_199:                            ; =>This Inner Loop Header: Depth=1
	s_clause 0x1
	s_load_b64 s[30:31], s[16:17], 0x4
	s_load_b32 s28, s[16:17], 0xc
	s_add_u32 s16, s16, 12
	s_addc_u32 s17, s17, 0
	s_waitcnt lgkmcnt(0)
	v_mul_hi_u32 v2, s31, v1
	s_load_b32 s31, s[14:15], 0x0
	s_add_u32 s14, s14, 4
	s_addc_u32 s15, s15, 0
	s_add_i32 s29, s29, -1
	s_delay_alu instid0(SALU_CYCLE_1) | instskip(NEXT) | instid1(VALU_DEP_1)
	s_cmp_lg_u32 s29, 0
	v_add_nc_u32_e32 v2, v1, v2
	s_delay_alu instid0(VALU_DEP_1) | instskip(NEXT) | instid1(VALU_DEP_1)
	v_lshrrev_b32_e32 v4, s28, v2
	v_mul_lo_u32 v2, v4, s30
	s_delay_alu instid0(VALU_DEP_1) | instskip(SKIP_1) | instid1(VALU_DEP_1)
	v_sub_nc_u32_e32 v1, v1, v2
	s_waitcnt lgkmcnt(0)
	v_mad_u64_u32 v[2:3], null, v1, s31, v[0:1]
	s_delay_alu instid0(VALU_DEP_1)
	v_dual_mov_b32 v1, v4 :: v_dual_mov_b32 v0, v2
	s_cbranch_scc1 .LBB101_199
.LBB101_200:
	s_cbranch_execnz .LBB101_203
.LBB101_201:
	s_waitcnt lgkmcnt(0)
	v_mul_hi_u32 v0, s5, v6
	s_and_not1_b32 vcc_lo, exec_lo, s23
	s_delay_alu instid0(VALU_DEP_1) | instskip(NEXT) | instid1(VALU_DEP_1)
	v_add_nc_u32_e32 v0, v6, v0
	v_lshrrev_b32_e32 v1, s6, v0
	s_delay_alu instid0(VALU_DEP_1) | instskip(NEXT) | instid1(VALU_DEP_1)
	v_mul_lo_u32 v0, v1, s4
	v_sub_nc_u32_e32 v0, v6, v0
	s_delay_alu instid0(VALU_DEP_1)
	v_mul_lo_u32 v0, v0, s8
	s_cbranch_vccnz .LBB101_203
; %bb.202:
	v_mul_hi_u32 v2, s10, v1
	s_delay_alu instid0(VALU_DEP_1) | instskip(NEXT) | instid1(VALU_DEP_1)
	v_add_nc_u32_e32 v2, v1, v2
	v_lshrrev_b32_e32 v2, s11, v2
	s_delay_alu instid0(VALU_DEP_1) | instskip(NEXT) | instid1(VALU_DEP_1)
	v_mul_lo_u32 v2, v2, s7
	v_sub_nc_u32_e32 v3, v1, v2
	s_delay_alu instid0(VALU_DEP_1) | instskip(NEXT) | instid1(VALU_DEP_1)
	v_mad_u64_u32 v[1:2], null, v3, s9, v[0:1]
	v_mov_b32_e32 v0, v1
.LBB101_203:
	s_waitcnt lgkmcnt(0)
	v_dual_mov_b32 v1, s22 :: v_dual_add_nc_u32 v6, 0x80, v6
	global_store_b16 v0, v1, s[2:3]
	s_or_b32 exec_lo, exec_lo, s27
	s_delay_alu instid0(SALU_CYCLE_1)
	s_mov_b32 s27, exec_lo
	v_cmpx_gt_i32_e64 s24, v6
	s_cbranch_execnz .LBB101_190
.LBB101_204:
	s_or_b32 exec_lo, exec_lo, s27
	s_delay_alu instid0(SALU_CYCLE_1)
	s_mov_b32 s16, exec_lo
	v_cmpx_gt_i32_e64 s24, v6
	s_cbranch_execnz .LBB101_215
.LBB101_205:
	s_or_b32 exec_lo, exec_lo, s16
                                        ; implicit-def: $vgpr8
                                        ; implicit-def: $vgpr6
	s_waitcnt lgkmcnt(0)
	s_and_not1_saveexec_b32 s2, s21
	s_cbranch_execnz .LBB101_8
.LBB101_206:
	s_nop 0
	s_sendmsg sendmsg(MSG_DEALLOC_VGPRS)
	s_endpgm
.LBB101_207:
	v_mov_b32_e32 v1, v6
.LBB101_208:
	s_and_b32 s29, s29, 3
	s_delay_alu instid0(SALU_CYCLE_1)
	s_cmp_eq_u32 s29, 0
	s_cbranch_scc1 .LBB101_211
; %bb.209:
	s_lshl_b32 s14, s28, 2
	s_mul_i32 s16, s28, 12
	s_add_u32 s14, s14, s0
	s_addc_u32 s15, s1, 0
	s_add_u32 s14, s14, 0xc4
	s_addc_u32 s15, s15, 0
	;; [unrolled: 2-line block ×3, first 2 shown]
	.p2align	6
.LBB101_210:                            ; =>This Inner Loop Header: Depth=1
	s_clause 0x1
	s_load_b64 s[30:31], s[16:17], 0x4
	s_load_b32 s28, s[16:17], 0xc
	s_add_u32 s16, s16, 12
	s_addc_u32 s17, s17, 0
	s_waitcnt lgkmcnt(0)
	v_mul_hi_u32 v2, s31, v1
	s_load_b32 s31, s[14:15], 0x0
	s_add_u32 s14, s14, 4
	s_addc_u32 s15, s15, 0
	s_add_i32 s29, s29, -1
	s_delay_alu instid0(SALU_CYCLE_1) | instskip(NEXT) | instid1(VALU_DEP_1)
	s_cmp_lg_u32 s29, 0
	v_add_nc_u32_e32 v2, v1, v2
	s_delay_alu instid0(VALU_DEP_1) | instskip(NEXT) | instid1(VALU_DEP_1)
	v_lshrrev_b32_e32 v4, s28, v2
	v_mul_lo_u32 v2, v4, s30
	s_delay_alu instid0(VALU_DEP_1) | instskip(SKIP_1) | instid1(VALU_DEP_1)
	v_sub_nc_u32_e32 v1, v1, v2
	s_waitcnt lgkmcnt(0)
	v_mad_u64_u32 v[2:3], null, v1, s31, v[0:1]
	s_delay_alu instid0(VALU_DEP_1)
	v_dual_mov_b32 v1, v4 :: v_dual_mov_b32 v0, v2
	s_cbranch_scc1 .LBB101_210
.LBB101_211:
	s_cbranch_execnz .LBB101_214
.LBB101_212:
	s_waitcnt lgkmcnt(0)
	v_mul_hi_u32 v0, s5, v6
	s_and_not1_b32 vcc_lo, exec_lo, s23
	s_delay_alu instid0(VALU_DEP_1) | instskip(NEXT) | instid1(VALU_DEP_1)
	v_add_nc_u32_e32 v0, v6, v0
	v_lshrrev_b32_e32 v1, s6, v0
	s_delay_alu instid0(VALU_DEP_1) | instskip(NEXT) | instid1(VALU_DEP_1)
	v_mul_lo_u32 v0, v1, s4
	v_sub_nc_u32_e32 v0, v6, v0
	s_delay_alu instid0(VALU_DEP_1)
	v_mul_lo_u32 v0, v0, s8
	s_cbranch_vccnz .LBB101_214
; %bb.213:
	v_mul_hi_u32 v2, s10, v1
	s_delay_alu instid0(VALU_DEP_1) | instskip(NEXT) | instid1(VALU_DEP_1)
	v_add_nc_u32_e32 v2, v1, v2
	v_lshrrev_b32_e32 v2, s11, v2
	s_delay_alu instid0(VALU_DEP_1) | instskip(NEXT) | instid1(VALU_DEP_1)
	v_mul_lo_u32 v2, v2, s7
	v_sub_nc_u32_e32 v3, v1, v2
	s_delay_alu instid0(VALU_DEP_1) | instskip(NEXT) | instid1(VALU_DEP_1)
	v_mad_u64_u32 v[1:2], null, v3, s9, v[0:1]
	v_mov_b32_e32 v0, v1
.LBB101_214:
	s_waitcnt lgkmcnt(0)
	v_dual_mov_b32 v1, s22 :: v_dual_add_nc_u32 v6, 0x80, v6
	global_store_b16 v0, v1, s[2:3]
	s_or_b32 exec_lo, exec_lo, s27
	s_delay_alu instid0(SALU_CYCLE_1)
	s_mov_b32 s16, exec_lo
	v_cmpx_gt_i32_e64 s24, v6
	s_cbranch_execz .LBB101_205
.LBB101_215:
	s_and_not1_b32 vcc_lo, exec_lo, s20
	s_cbranch_vccnz .LBB101_220
; %bb.216:
	v_mov_b32_e32 v0, 0
	s_and_not1_b32 vcc_lo, exec_lo, s26
	s_cbranch_vccnz .LBB101_225
; %bb.217:
	s_add_i32 s25, s25, 1
	s_cmp_eq_u32 s19, 2
	s_mov_b32 s17, 0
	s_cbranch_scc1 .LBB101_221
; %bb.218:
	v_dual_mov_b32 v0, 0 :: v_dual_mov_b32 v1, v6
	s_and_b32 s17, s25, 28
	s_mov_b32 s24, 0
	s_mov_b64 s[14:15], s[0:1]
.LBB101_219:                            ; =>This Inner Loop Header: Depth=1
	s_clause 0x1
	s_load_b256 s[36:43], s[14:15], 0x4
	s_load_b128 s[28:31], s[14:15], 0x24
	s_load_b128 s[44:47], s[12:13], 0x0
	s_add_u32 s14, s14, 48
	s_addc_u32 s15, s15, 0
	s_add_i32 s24, s24, 4
	s_add_u32 s12, s12, 16
	s_addc_u32 s13, s13, 0
	s_cmp_eq_u32 s17, s24
	s_waitcnt lgkmcnt(0)
	v_mul_hi_u32 v2, s37, v1
	s_delay_alu instid0(VALU_DEP_1) | instskip(NEXT) | instid1(VALU_DEP_1)
	v_add_nc_u32_e32 v2, v1, v2
	v_lshrrev_b32_e32 v2, s38, v2
	s_delay_alu instid0(VALU_DEP_1) | instskip(SKIP_1) | instid1(VALU_DEP_2)
	v_mul_hi_u32 v3, s40, v2
	v_mul_lo_u32 v7, v2, s36
	v_add_nc_u32_e32 v3, v2, v3
	s_delay_alu instid0(VALU_DEP_2) | instskip(NEXT) | instid1(VALU_DEP_2)
	v_sub_nc_u32_e32 v7, v1, v7
	v_lshrrev_b32_e32 v3, s41, v3
	s_delay_alu instid0(VALU_DEP_2) | instskip(NEXT) | instid1(VALU_DEP_2)
	v_mul_lo_u32 v7, v7, s44
	v_mul_hi_u32 v4, s43, v3
	v_mul_lo_u32 v8, v3, s39
	s_delay_alu instid0(VALU_DEP_2) | instskip(NEXT) | instid1(VALU_DEP_2)
	v_add_nc_u32_e32 v4, v3, v4
	v_sub_nc_u32_e32 v2, v2, v8
	s_delay_alu instid0(VALU_DEP_2) | instskip(NEXT) | instid1(VALU_DEP_2)
	v_lshrrev_b32_e32 v4, s28, v4
	v_mul_lo_u32 v2, v2, s45
	s_delay_alu instid0(VALU_DEP_2) | instskip(NEXT) | instid1(VALU_DEP_2)
	v_mul_hi_u32 v5, s30, v4
	v_add3_u32 v0, v7, v0, v2
	s_delay_alu instid0(VALU_DEP_2) | instskip(NEXT) | instid1(VALU_DEP_1)
	v_add_nc_u32_e32 v5, v4, v5
	v_lshrrev_b32_e32 v1, s31, v5
	v_mul_lo_u32 v5, v4, s42
	s_delay_alu instid0(VALU_DEP_2) | instskip(NEXT) | instid1(VALU_DEP_2)
	v_mul_lo_u32 v9, v1, s29
	v_sub_nc_u32_e32 v3, v3, v5
	s_delay_alu instid0(VALU_DEP_2) | instskip(NEXT) | instid1(VALU_DEP_2)
	v_sub_nc_u32_e32 v4, v4, v9
	v_mul_lo_u32 v3, v3, s46
	s_delay_alu instid0(VALU_DEP_2) | instskip(NEXT) | instid1(VALU_DEP_1)
	v_mul_lo_u32 v4, v4, s47
	v_add3_u32 v0, v3, v0, v4
	s_cbranch_scc0 .LBB101_219
	s_branch .LBB101_222
.LBB101_220:
                                        ; implicit-def: $vgpr0
	s_branch .LBB101_226
.LBB101_221:
	v_mov_b32_e32 v1, v6
.LBB101_222:
	s_and_b32 s24, s25, 3
	s_delay_alu instid0(SALU_CYCLE_1)
	s_cmp_eq_u32 s24, 0
	s_cbranch_scc1 .LBB101_225
; %bb.223:
	s_lshl_b32 s12, s17, 2
	s_mul_i32 s14, s17, 12
	s_add_u32 s12, s12, s0
	s_addc_u32 s13, s1, 0
	s_add_u32 s12, s12, 0xc4
	s_addc_u32 s13, s13, 0
	;; [unrolled: 2-line block ×3, first 2 shown]
	.p2align	6
.LBB101_224:                            ; =>This Inner Loop Header: Depth=1
	s_clause 0x1
	s_load_b64 s[26:27], s[14:15], 0x4
	s_load_b32 s17, s[14:15], 0xc
	s_load_b32 s25, s[12:13], 0x0
	s_add_u32 s14, s14, 12
	s_addc_u32 s15, s15, 0
	s_add_u32 s12, s12, 4
	s_addc_u32 s13, s13, 0
	s_add_i32 s24, s24, -1
	s_delay_alu instid0(SALU_CYCLE_1) | instskip(SKIP_2) | instid1(VALU_DEP_1)
	s_cmp_lg_u32 s24, 0
	s_waitcnt lgkmcnt(0)
	v_mul_hi_u32 v2, s27, v1
	v_add_nc_u32_e32 v2, v1, v2
	s_delay_alu instid0(VALU_DEP_1) | instskip(NEXT) | instid1(VALU_DEP_1)
	v_lshrrev_b32_e32 v4, s17, v2
	v_mul_lo_u32 v2, v4, s26
	s_delay_alu instid0(VALU_DEP_1) | instskip(NEXT) | instid1(VALU_DEP_1)
	v_sub_nc_u32_e32 v1, v1, v2
	v_mad_u64_u32 v[2:3], null, v1, s25, v[0:1]
	s_delay_alu instid0(VALU_DEP_1)
	v_dual_mov_b32 v1, v4 :: v_dual_mov_b32 v0, v2
	s_cbranch_scc1 .LBB101_224
.LBB101_225:
	s_cbranch_execnz .LBB101_228
.LBB101_226:
	s_waitcnt lgkmcnt(0)
	v_mul_hi_u32 v0, s5, v6
	s_and_not1_b32 vcc_lo, exec_lo, s23
	s_delay_alu instid0(VALU_DEP_1) | instskip(NEXT) | instid1(VALU_DEP_1)
	v_add_nc_u32_e32 v0, v6, v0
	v_lshrrev_b32_e32 v1, s6, v0
	s_delay_alu instid0(VALU_DEP_1) | instskip(NEXT) | instid1(VALU_DEP_1)
	v_mul_lo_u32 v0, v1, s4
	v_sub_nc_u32_e32 v0, v6, v0
	s_delay_alu instid0(VALU_DEP_1)
	v_mul_lo_u32 v0, v0, s8
	s_cbranch_vccnz .LBB101_228
; %bb.227:
	v_mul_hi_u32 v2, s10, v1
	s_delay_alu instid0(VALU_DEP_1) | instskip(NEXT) | instid1(VALU_DEP_1)
	v_add_nc_u32_e32 v2, v1, v2
	v_lshrrev_b32_e32 v2, s11, v2
	s_delay_alu instid0(VALU_DEP_1) | instskip(NEXT) | instid1(VALU_DEP_1)
	v_mul_lo_u32 v2, v2, s7
	v_sub_nc_u32_e32 v3, v1, v2
	s_delay_alu instid0(VALU_DEP_1) | instskip(NEXT) | instid1(VALU_DEP_1)
	v_mad_u64_u32 v[1:2], null, v3, s9, v[0:1]
	v_mov_b32_e32 v0, v1
.LBB101_228:
	s_waitcnt lgkmcnt(0)
	v_mov_b32_e32 v1, s22
	global_store_b16 v0, v1, s[2:3]
	s_or_b32 exec_lo, exec_lo, s16
                                        ; implicit-def: $vgpr8
                                        ; implicit-def: $vgpr6
	s_and_not1_saveexec_b32 s2, s21
	s_cbranch_execz .LBB101_206
	s_branch .LBB101_8
	.section	.rodata,"a",@progbits
	.p2align	6, 0x0
	.amdhsa_kernel _ZN2at6native32elementwise_kernel_manual_unrollILi128ELi8EZNS0_22gpu_kernel_impl_nocastINS0_11FillFunctorIN3c104HalfEEEEEvRNS_18TensorIteratorBaseERKT_EUlibE_EEviT1_
		.amdhsa_group_segment_fixed_size 0
		.amdhsa_private_segment_fixed_size 0
		.amdhsa_kernarg_size 288
		.amdhsa_user_sgpr_count 15
		.amdhsa_user_sgpr_dispatch_ptr 0
		.amdhsa_user_sgpr_queue_ptr 0
		.amdhsa_user_sgpr_kernarg_segment_ptr 1
		.amdhsa_user_sgpr_dispatch_id 0
		.amdhsa_user_sgpr_private_segment_size 0
		.amdhsa_wavefront_size32 1
		.amdhsa_uses_dynamic_stack 0
		.amdhsa_enable_private_segment 0
		.amdhsa_system_sgpr_workgroup_id_x 1
		.amdhsa_system_sgpr_workgroup_id_y 0
		.amdhsa_system_sgpr_workgroup_id_z 0
		.amdhsa_system_sgpr_workgroup_info 0
		.amdhsa_system_vgpr_workitem_id 0
		.amdhsa_next_free_vgpr 18
		.amdhsa_next_free_sgpr 52
		.amdhsa_reserve_vcc 1
		.amdhsa_float_round_mode_32 0
		.amdhsa_float_round_mode_16_64 0
		.amdhsa_float_denorm_mode_32 3
		.amdhsa_float_denorm_mode_16_64 3
		.amdhsa_dx10_clamp 1
		.amdhsa_ieee_mode 1
		.amdhsa_fp16_overflow 0
		.amdhsa_workgroup_processor_mode 1
		.amdhsa_memory_ordered 1
		.amdhsa_forward_progress 0
		.amdhsa_shared_vgpr_count 0
		.amdhsa_exception_fp_ieee_invalid_op 0
		.amdhsa_exception_fp_denorm_src 0
		.amdhsa_exception_fp_ieee_div_zero 0
		.amdhsa_exception_fp_ieee_overflow 0
		.amdhsa_exception_fp_ieee_underflow 0
		.amdhsa_exception_fp_ieee_inexact 0
		.amdhsa_exception_int_div_zero 0
	.end_amdhsa_kernel
	.section	.text._ZN2at6native32elementwise_kernel_manual_unrollILi128ELi8EZNS0_22gpu_kernel_impl_nocastINS0_11FillFunctorIN3c104HalfEEEEEvRNS_18TensorIteratorBaseERKT_EUlibE_EEviT1_,"axG",@progbits,_ZN2at6native32elementwise_kernel_manual_unrollILi128ELi8EZNS0_22gpu_kernel_impl_nocastINS0_11FillFunctorIN3c104HalfEEEEEvRNS_18TensorIteratorBaseERKT_EUlibE_EEviT1_,comdat
.Lfunc_end101:
	.size	_ZN2at6native32elementwise_kernel_manual_unrollILi128ELi8EZNS0_22gpu_kernel_impl_nocastINS0_11FillFunctorIN3c104HalfEEEEEvRNS_18TensorIteratorBaseERKT_EUlibE_EEviT1_, .Lfunc_end101-_ZN2at6native32elementwise_kernel_manual_unrollILi128ELi8EZNS0_22gpu_kernel_impl_nocastINS0_11FillFunctorIN3c104HalfEEEEEvRNS_18TensorIteratorBaseERKT_EUlibE_EEviT1_
                                        ; -- End function
	.section	.AMDGPU.csdata,"",@progbits
; Kernel info:
; codeLenInByte = 11652
; NumSgprs: 54
; NumVgprs: 18
; ScratchSize: 0
; MemoryBound: 0
; FloatMode: 240
; IeeeMode: 1
; LDSByteSize: 0 bytes/workgroup (compile time only)
; SGPRBlocks: 6
; VGPRBlocks: 2
; NumSGPRsForWavesPerEU: 54
; NumVGPRsForWavesPerEU: 18
; Occupancy: 16
; WaveLimiterHint : 1
; COMPUTE_PGM_RSRC2:SCRATCH_EN: 0
; COMPUTE_PGM_RSRC2:USER_SGPR: 15
; COMPUTE_PGM_RSRC2:TRAP_HANDLER: 0
; COMPUTE_PGM_RSRC2:TGID_X_EN: 1
; COMPUTE_PGM_RSRC2:TGID_Y_EN: 0
; COMPUTE_PGM_RSRC2:TGID_Z_EN: 0
; COMPUTE_PGM_RSRC2:TIDIG_COMP_CNT: 0
	.section	.text._ZN2at6native32elementwise_kernel_manual_unrollILi128ELi4EZNS0_15gpu_kernel_implINS0_11FillFunctorIN3c104HalfEEEEEvRNS_18TensorIteratorBaseERKT_EUlibE_EEviT1_,"axG",@progbits,_ZN2at6native32elementwise_kernel_manual_unrollILi128ELi4EZNS0_15gpu_kernel_implINS0_11FillFunctorIN3c104HalfEEEEEvRNS_18TensorIteratorBaseERKT_EUlibE_EEviT1_,comdat
	.protected	_ZN2at6native32elementwise_kernel_manual_unrollILi128ELi4EZNS0_15gpu_kernel_implINS0_11FillFunctorIN3c104HalfEEEEEvRNS_18TensorIteratorBaseERKT_EUlibE_EEviT1_ ; -- Begin function _ZN2at6native32elementwise_kernel_manual_unrollILi128ELi4EZNS0_15gpu_kernel_implINS0_11FillFunctorIN3c104HalfEEEEEvRNS_18TensorIteratorBaseERKT_EUlibE_EEviT1_
	.globl	_ZN2at6native32elementwise_kernel_manual_unrollILi128ELi4EZNS0_15gpu_kernel_implINS0_11FillFunctorIN3c104HalfEEEEEvRNS_18TensorIteratorBaseERKT_EUlibE_EEviT1_
	.p2align	8
	.type	_ZN2at6native32elementwise_kernel_manual_unrollILi128ELi4EZNS0_15gpu_kernel_implINS0_11FillFunctorIN3c104HalfEEEEEvRNS_18TensorIteratorBaseERKT_EUlibE_EEviT1_,@function
_ZN2at6native32elementwise_kernel_manual_unrollILi128ELi4EZNS0_15gpu_kernel_implINS0_11FillFunctorIN3c104HalfEEEEEvRNS_18TensorIteratorBaseERKT_EUlibE_EEviT1_: ; @_ZN2at6native32elementwise_kernel_manual_unrollILi128ELi4EZNS0_15gpu_kernel_implINS0_11FillFunctorIN3c104HalfEEEEEvRNS_18TensorIteratorBaseERKT_EUlibE_EEviT1_
; %bb.0:
	s_clause 0x1
	s_load_b32 s28, s[0:1], 0x0
	s_load_b128 s[4:7], s[0:1], 0x8
	v_lshl_or_b32 v19, s15, 9, v0
	s_mov_b32 s3, 0
	s_mov_b32 s1, 0
	s_mov_b32 s0, exec_lo
	s_delay_alu instid0(VALU_DEP_1) | instskip(SKIP_2) | instid1(VALU_DEP_1)
	v_or_b32_e32 v0, 0x180, v19
	s_waitcnt lgkmcnt(0)
	s_lshr_b32 s8, s7, 16
	v_cmpx_le_i32_e64 s28, v0
	s_xor_b32 s2, exec_lo, s0
	s_cbranch_execz .LBB102_151
; %bb.1:
	v_cvt_f32_f16_e32 v6, s7
	s_and_b32 s9, 0xffff, s7
	v_cvt_u16_f16_e32 v18, s7
	v_cvt_i16_f16_e32 v12, s7
	s_mov_b32 s31, 0
	v_bfe_u32 v2, v6, 23, 8
	v_dual_mov_b32 v9, 0 :: v_dual_and_b32 v0, 0x3fffff, v6
	v_and_b32_e32 v1, 0x400000, v6
	v_readfirstlane_b32 s1, v6
	v_add_f32_e64 v17, 0x46000000, |v6|
	s_delay_alu instid0(VALU_DEP_4)
	v_or_b32_e32 v0, v2, v0
	v_add_f32_e64 v14, 0x42800000, |v6|
	v_cmp_ne_u32_e32 vcc_lo, 0, v1
	s_and_b32 s18, s1, 0x7fffffff
	v_lshrrev_b32_e32 v3, 23, v6
	v_cmp_ne_u32_e64 s0, 0, v0
	v_cvt_f64_f32_e32 v[0:1], v6
	v_bfe_u32 v5, v6, 16, 1
	v_lshrrev_b32_e32 v4, 24, v6
	v_cvt_u32_f32_e32 v8, v6
	s_and_b32 s14, vcc_lo, s0
	s_cmp_lt_u32 s18, 0x43800000
	v_readfirstlane_b32 s0, v17
	s_cselect_b32 s26, -1, 0
	s_cmp_gt_u32 s18, 0x3bffffff
	v_and_b32_e32 v16, 0x80, v4
	s_cselect_b32 s21, -1, 0
	s_bfe_u32 s10, s1, 0x10014
	s_and_b32 s0, s0, 0xff
	s_add_i32 s15, s1, s10
	v_add_f32_e64 v4, 0x43000000, |v6|
	s_add_i32 s10, s15, 0x487ffff
	v_cmp_o_f16_e64 vcc_lo, s7, s7
	s_lshr_b32 s25, s10, 20
	s_cmp_lg_u32 s0, 0
	v_readfirstlane_b32 s0, v14
	s_cselect_b32 s27, -1, 0
	s_cmp_gt_u32 s18, 0x477fffff
	s_mov_b32 s33, -1
	s_cselect_b32 s10, -1, 0
	s_cmp_lt_u32 s18, 0x47800000
	s_mov_b32 s29, 0
	s_cselect_b32 s13, -1, 0
	s_cmp_gt_u32 s18, 0x37ffffff
	s_mov_b32 s30, exec_lo
	s_cselect_b32 s11, -1, 0
	s_bfe_u32 s12, s1, 0x10015
	s_and_b32 s0, s0, 0xff
	s_add_i32 s1, s1, s12
	s_delay_alu instid0(SALU_CYCLE_1) | instskip(NEXT) | instid1(SALU_CYCLE_1)
	s_add_i32 s12, s1, 0x88fffff
	s_lshr_b32 s12, s12, 21
	s_cmp_lg_u32 s0, 0
	v_cmp_eq_u32_e64 s0, 0xff, v2
	v_cndmask_b32_e64 v2, 0, 1, s14
	s_cselect_b32 s23, -1, 0
	s_cmp_gt_u32 s18, 0x43efffff
	s_cselect_b32 s16, -1, 0
	s_delay_alu instid0(VALU_DEP_1)
	v_add_nc_u32_e32 v20, v3, v2
	v_add_nc_u32_e32 v2, v6, v5
	s_cmp_lt_u32 s18, 0x3c800000
	v_add_f32_e64 v3, 0x46800000, |v6|
	s_cselect_b32 s17, -1, 0
	s_add_i32 s15, s15, 0x407ffff
	v_add_nc_u32_e32 v2, 0x7fff, v2
	s_and_b32 s14, s15, 0xff00000
	s_lshr_b32 s15, s15, 20
	s_cmp_lg_u32 s14, 0x7f00000
	v_readfirstlane_b32 s24, v3
	s_cselect_b32 s19, s15, 0x7e
	s_cmp_lt_u32 s18, 0x38800000
	v_lshrrev_b32_e32 v2, 16, v2
	v_and_b32_e64 v3, 0x7fff, s7
	s_cselect_b32 s14, -1, 0
	s_add_i32 s1, s1, 0x80fffff
	s_delay_alu instid0(SALU_CYCLE_1)
	s_lshr_b32 s15, s1, 21
	s_cmp_gt_u32 s18, 0x7f800000
	v_readfirstlane_b32 s18, v4
	v_cvt_i32_f32_e32 v4, v6
	v_cndmask_b32_e32 v15, 0x7fc0, v2, vcc_lo
	v_cmp_ne_u16_e32 vcc_lo, 0, v3
	s_movk_i32 s1, 0x7f
	s_delay_alu instid0(VALU_DEP_3) | instskip(SKIP_3) | instid1(SALU_CYCLE_1)
	v_ashrrev_i32_e32 v5, 31, v4
	s_cselect_b32 s22, s1, 0x7e
	v_cndmask_b32_e64 v13, 0, 1, vcc_lo
	s_movk_i32 s1, 0x7c
	s_cselect_b32 s20, 0x7f, s1
	v_cmpx_gt_i32_e64 s28, v19
	s_cbranch_execz .LBB102_100
; %bb.2:
	v_mul_lo_u32 v2, v19, s6
	v_and_b32_e64 v21, 0xff, s8
	s_delay_alu instid0(VALU_DEP_1) | instskip(NEXT) | instid1(VALU_DEP_3)
	v_cmp_gt_i16_e32 vcc_lo, 11, v21
	v_ashrrev_i32_e32 v3, 31, v2
	v_add_co_u32 v10, s1, s4, v2
	s_delay_alu instid0(VALU_DEP_1)
	v_add_co_ci_u32_e64 v11, s1, s5, v3, s1
	s_cbranch_vccnz .LBB102_9
; %bb.3:
	v_cmp_lt_i16_e32 vcc_lo, 25, v21
	s_cbranch_vccz .LBB102_12
; %bb.4:
	v_cmp_lt_i16_e32 vcc_lo, 28, v21
	s_cbranch_vccz .LBB102_13
	;; [unrolled: 3-line block ×4, first 2 shown]
; %bb.7:
	v_cmp_eq_u16_e32 vcc_lo, 46, v21
	s_mov_b32 s33, 0
	s_mov_b32 s1, -1
	s_cbranch_vccz .LBB102_16
; %bb.8:
	s_mov_b32 s29, -1
	s_mov_b32 s1, 0
	global_store_b32 v[10:11], v15, off
	s_branch .LBB102_16
.LBB102_9:
	s_mov_b32 s1, 0
	s_and_b32 vcc_lo, exec_lo, s33
	s_cbranch_vccnz .LBB102_60
.LBB102_10:
	s_and_not1_b32 vcc_lo, exec_lo, s29
	s_cbranch_vccnz .LBB102_98
.LBB102_11:
	v_add_nc_u32_e32 v19, 0x80, v19
	s_mov_b32 s33, -1
	s_branch .LBB102_99
.LBB102_12:
	s_mov_b32 s1, 0
	s_and_b32 vcc_lo, exec_lo, s33
	s_cbranch_vccnz .LBB102_38
	s_branch .LBB102_59
.LBB102_13:
	s_mov_b32 s1, 0
	s_branch .LBB102_24
.LBB102_14:
	s_mov_b32 s1, 0
	s_branch .LBB102_20
.LBB102_15:
	s_mov_b32 s1, 0
.LBB102_16:
	s_and_b32 vcc_lo, exec_lo, s33
	s_cbranch_vccz .LBB102_19
; %bb.17:
	v_cmp_eq_u16_e32 vcc_lo, 44, v21
	s_mov_b32 s1, -1
	s_cbranch_vccz .LBB102_19
; %bb.18:
	v_cndmask_b32_e64 v2, v20, 0xff, s0
	s_mov_b32 s29, -1
	s_mov_b32 s1, 0
	s_mov_b32 s33, 0
	global_store_b8 v[10:11], v2, off
	s_branch .LBB102_20
.LBB102_19:
	s_mov_b32 s33, 0
.LBB102_20:
	s_delay_alu instid0(SALU_CYCLE_1)
	s_and_b32 vcc_lo, exec_lo, s33
	s_cbranch_vccz .LBB102_23
; %bb.21:
	v_cmp_eq_u16_e32 vcc_lo, 29, v21
	s_mov_b32 s1, -1
	s_cbranch_vccz .LBB102_23
; %bb.22:
	s_mov_b32 s29, -1
	s_mov_b32 s1, 0
	global_store_b64 v[10:11], v[8:9], off
.LBB102_23:
	s_mov_b32 s33, 0
.LBB102_24:
	s_delay_alu instid0(SALU_CYCLE_1)
	s_and_b32 vcc_lo, exec_lo, s33
	s_cbranch_vccz .LBB102_37
; %bb.25:
	v_cmp_gt_i16_e32 vcc_lo, 27, v21
	s_mov_b32 s29, -1
	s_cbranch_vccnz .LBB102_31
; %bb.26:
	v_cmp_lt_i16_e32 vcc_lo, 27, v21
	s_cbranch_vccz .LBB102_28
; %bb.27:
	s_mov_b32 s29, 0
	global_store_b32 v[10:11], v8, off
.LBB102_28:
	s_and_not1_b32 vcc_lo, exec_lo, s29
	s_cbranch_vccnz .LBB102_30
; %bb.29:
	global_store_b16 v[10:11], v18, off
.LBB102_30:
	s_mov_b32 s29, 0
.LBB102_31:
	s_delay_alu instid0(SALU_CYCLE_1)
	s_and_not1_b32 vcc_lo, exec_lo, s29
	s_cbranch_vccnz .LBB102_36
; %bb.32:
	v_mov_b32_e32 v2, 0x80
	s_and_not1_b32 vcc_lo, exec_lo, s26
	s_cbranch_vccnz .LBB102_35
; %bb.33:
	v_mov_b32_e32 v2, 0
	s_or_b32 s29, s21, s27
	s_delay_alu instid0(SALU_CYCLE_1)
	s_and_not1_b32 vcc_lo, exec_lo, s29
	s_cbranch_vccnz .LBB102_35
; %bb.34:
	v_cndmask_b32_e64 v2, v17, s25, s21
	s_delay_alu instid0(VALU_DEP_1)
	v_or_b32_e32 v2, v2, v16
.LBB102_35:
	global_store_b8 v[10:11], v2, off
.LBB102_36:
	s_mov_b32 s29, -1
.LBB102_37:
	s_branch .LBB102_59
.LBB102_38:
	v_cmp_lt_i16_e32 vcc_lo, 22, v21
	s_mov_b32 s33, -1
	s_cbranch_vccz .LBB102_51
; %bb.39:
	v_cmp_gt_i16_e32 vcc_lo, 24, v21
	s_mov_b32 s29, -1
	s_cbranch_vccnz .LBB102_48
; %bb.40:
	v_cmp_lt_i16_e32 vcc_lo, 24, v21
	s_cbranch_vccz .LBB102_45
; %bb.41:
	v_mov_b32_e32 v2, 0x80
	s_and_not1_b32 vcc_lo, exec_lo, s13
	s_cbranch_vccnz .LBB102_44
; %bb.42:
	v_mov_b32_e32 v2, 0
	s_or_b32 s29, s11, s23
	s_delay_alu instid0(SALU_CYCLE_1)
	s_and_not1_b32 vcc_lo, exec_lo, s29
	s_cbranch_vccnz .LBB102_44
; %bb.43:
	v_cndmask_b32_e64 v2, v14, s12, s11
	s_delay_alu instid0(VALU_DEP_1)
	v_or_b32_e32 v2, v2, v16
.LBB102_44:
	s_mov_b32 s29, 0
	global_store_b8 v[10:11], v2, off
.LBB102_45:
	s_and_b32 vcc_lo, exec_lo, s29
	s_cbranch_vccz .LBB102_47
; %bb.46:
	s_and_b32 s29, s17, exec_lo
	s_cselect_b32 s29, s24, s19
	s_and_b32 s33, s16, exec_lo
	s_cselect_b32 s29, s22, s29
	s_delay_alu instid0(SALU_CYCLE_1)
	v_or_b32_e32 v2, s29, v16
	global_store_b8 v[10:11], v2, off
.LBB102_47:
	s_mov_b32 s29, 0
.LBB102_48:
	s_delay_alu instid0(SALU_CYCLE_1)
	s_and_not1_b32 vcc_lo, exec_lo, s29
	s_cbranch_vccnz .LBB102_50
; %bb.49:
	s_and_b32 s29, s14, exec_lo
	s_cselect_b32 s29, s18, s15
	s_and_b32 s33, s10, exec_lo
	s_cselect_b32 s29, s20, s29
	s_delay_alu instid0(SALU_CYCLE_1)
	v_or_b32_e32 v2, s29, v16
	global_store_b8 v[10:11], v2, off
.LBB102_50:
	s_mov_b32 s33, 0
	s_mov_b32 s29, -1
.LBB102_51:
	s_and_not1_b32 vcc_lo, exec_lo, s33
	s_cbranch_vccnz .LBB102_59
; %bb.52:
	v_cmp_lt_i16_e32 vcc_lo, 14, v21
	s_mov_b32 s33, -1
	s_cbranch_vccz .LBB102_56
; %bb.53:
	v_cmp_eq_u16_e32 vcc_lo, 15, v21
	s_mov_b32 s1, -1
	s_cbranch_vccz .LBB102_55
; %bb.54:
	s_mov_b32 s29, -1
	s_mov_b32 s1, 0
	global_store_b16 v[10:11], v15, off
.LBB102_55:
	s_mov_b32 s33, 0
.LBB102_56:
	s_delay_alu instid0(SALU_CYCLE_1)
	s_and_b32 vcc_lo, exec_lo, s33
	s_cbranch_vccz .LBB102_59
; %bb.57:
	v_cmp_eq_u16_e32 vcc_lo, 11, v21
	s_mov_b32 s1, -1
	s_cbranch_vccz .LBB102_59
; %bb.58:
	s_mov_b32 s29, -1
	s_mov_b32 s1, 0
	global_store_b8 v[10:11], v13, off
.LBB102_59:
	s_branch .LBB102_10
.LBB102_60:
	v_cmp_gt_i16_e32 vcc_lo, 5, v21
	s_mov_b32 s29, -1
	s_cbranch_vccnz .LBB102_81
; %bb.61:
	v_cmp_gt_i16_e32 vcc_lo, 8, v21
	s_cbranch_vccnz .LBB102_71
; %bb.62:
	v_cmp_gt_i16_e32 vcc_lo, 9, v21
	s_cbranch_vccnz .LBB102_68
; %bb.63:
	v_cmp_lt_i16_e32 vcc_lo, 9, v21
	s_cbranch_vccz .LBB102_65
; %bb.64:
	v_mov_b32_e32 v2, 0
	s_mov_b32 s29, 0
	s_delay_alu instid0(VALU_DEP_1)
	v_mov_b32_e32 v3, v2
	global_store_b128 v[10:11], v[0:3], off
.LBB102_65:
	s_and_not1_b32 vcc_lo, exec_lo, s29
	s_cbranch_vccnz .LBB102_67
; %bb.66:
	v_mov_b32_e32 v7, 0
	global_store_b64 v[10:11], v[6:7], off
.LBB102_67:
	s_mov_b32 s29, 0
.LBB102_68:
	s_delay_alu instid0(SALU_CYCLE_1)
	s_and_not1_b32 vcc_lo, exec_lo, s29
	s_cbranch_vccnz .LBB102_70
; %bb.69:
	v_mov_b32_e32 v2, s9
	global_store_b32 v[10:11], v2, off
.LBB102_70:
	s_mov_b32 s29, 0
.LBB102_71:
	s_delay_alu instid0(SALU_CYCLE_1)
	s_and_not1_b32 vcc_lo, exec_lo, s29
	s_cbranch_vccnz .LBB102_80
; %bb.72:
	v_cmp_gt_i16_e32 vcc_lo, 6, v21
	s_mov_b32 s29, -1
	s_cbranch_vccnz .LBB102_78
; %bb.73:
	v_cmp_lt_i16_e32 vcc_lo, 6, v21
	s_cbranch_vccz .LBB102_75
; %bb.74:
	s_mov_b32 s29, 0
	global_store_b64 v[10:11], v[0:1], off
.LBB102_75:
	s_and_not1_b32 vcc_lo, exec_lo, s29
	s_cbranch_vccnz .LBB102_77
; %bb.76:
	global_store_b32 v[10:11], v6, off
.LBB102_77:
	s_mov_b32 s29, 0
.LBB102_78:
	s_delay_alu instid0(SALU_CYCLE_1)
	s_and_not1_b32 vcc_lo, exec_lo, s29
	s_cbranch_vccnz .LBB102_80
; %bb.79:
	v_mov_b32_e32 v2, s7
	global_store_b16 v[10:11], v2, off
.LBB102_80:
	s_mov_b32 s29, 0
.LBB102_81:
	s_delay_alu instid0(SALU_CYCLE_1)
	s_and_not1_b32 vcc_lo, exec_lo, s29
	s_cbranch_vccnz .LBB102_97
; %bb.82:
	v_cmp_gt_i16_e32 vcc_lo, 2, v21
	s_mov_b32 s29, -1
	s_cbranch_vccnz .LBB102_92
; %bb.83:
	v_cmp_gt_i16_e32 vcc_lo, 3, v21
	s_cbranch_vccnz .LBB102_89
; %bb.84:
	v_cmp_lt_i16_e32 vcc_lo, 3, v21
	s_cbranch_vccz .LBB102_86
; %bb.85:
	s_mov_b32 s29, 0
	global_store_b64 v[10:11], v[4:5], off
.LBB102_86:
	s_and_not1_b32 vcc_lo, exec_lo, s29
	s_cbranch_vccnz .LBB102_88
; %bb.87:
	global_store_b32 v[10:11], v4, off
.LBB102_88:
	s_mov_b32 s29, 0
.LBB102_89:
	s_delay_alu instid0(SALU_CYCLE_1)
	s_and_not1_b32 vcc_lo, exec_lo, s29
	s_cbranch_vccnz .LBB102_91
; %bb.90:
	global_store_b16 v[10:11], v12, off
.LBB102_91:
	s_mov_b32 s29, 0
.LBB102_92:
	s_delay_alu instid0(SALU_CYCLE_1)
	s_and_not1_b32 vcc_lo, exec_lo, s29
	s_cbranch_vccnz .LBB102_97
; %bb.93:
	v_cmp_lt_i16_e32 vcc_lo, 0, v21
	s_mov_b32 s29, -1
	s_cbranch_vccz .LBB102_95
; %bb.94:
	s_mov_b32 s29, 0
	global_store_b8 v[10:11], v12, off
.LBB102_95:
	s_and_not1_b32 vcc_lo, exec_lo, s29
	s_cbranch_vccnz .LBB102_97
; %bb.96:
	global_store_b8 v[10:11], v4, off
.LBB102_97:
	s_branch .LBB102_11
.LBB102_98:
	s_mov_b32 s33, 0
                                        ; implicit-def: $vgpr19
.LBB102_99:
	s_and_b32 s29, s1, exec_lo
	s_or_not1_b32 s33, s33, exec_lo
.LBB102_100:
	s_or_b32 exec_lo, exec_lo, s30
	s_mov_b32 s1, 0
                                        ; implicit-def: $vgpr21
                                        ; implicit-def: $vgpr10_vgpr11
	s_and_saveexec_b32 s30, s33
	s_cbranch_execz .LBB102_109
; %bb.101:
	s_mov_b32 s1, -1
	s_mov_b32 s31, s29
	s_mov_b32 s33, exec_lo
	v_cmpx_gt_i32_e64 s28, v19
	s_cbranch_execz .LBB102_326
; %bb.102:
	v_mul_lo_u32 v2, v19, s6
	v_and_b32_e64 v21, 0xff, s8
	s_delay_alu instid0(VALU_DEP_1) | instskip(NEXT) | instid1(VALU_DEP_3)
	v_cmp_gt_i16_e32 vcc_lo, 11, v21
	v_ashrrev_i32_e32 v3, 31, v2
	v_add_co_u32 v10, s1, s4, v2
	s_delay_alu instid0(VALU_DEP_1)
	v_add_co_ci_u32_e64 v11, s1, s5, v3, s1
	s_cbranch_vccnz .LBB102_219
; %bb.103:
	v_cmp_lt_i16_e32 vcc_lo, 25, v21
	s_cbranch_vccz .LBB102_222
; %bb.104:
	v_cmp_lt_i16_e32 vcc_lo, 28, v21
	s_cbranch_vccz .LBB102_223
	;; [unrolled: 3-line block ×4, first 2 shown]
; %bb.107:
	v_cmp_eq_u16_e32 vcc_lo, 46, v21
	s_mov_b32 s34, 0
	s_mov_b32 s1, -1
	s_mov_b32 s31, 0
	s_cbranch_vccz .LBB102_241
; %bb.108:
	s_mov_b32 s31, -1
	s_mov_b32 s1, 0
	global_store_b32 v[10:11], v15, off
	s_branch .LBB102_241
.LBB102_109:
	s_or_b32 exec_lo, exec_lo, s30
	s_mov_b32 s0, 0
	s_and_saveexec_b32 s10, s29
	s_cbranch_execnz .LBB102_791
.LBB102_110:
	s_or_b32 exec_lo, exec_lo, s10
	s_and_saveexec_b32 s10, s31
	s_delay_alu instid0(SALU_CYCLE_1)
	s_xor_b32 s10, exec_lo, s10
	s_cbranch_execz .LBB102_112
.LBB102_111:
	global_store_b8 v[10:11], v13, off
.LBB102_112:
	s_or_b32 exec_lo, exec_lo, s10
	s_and_saveexec_b32 s10, s1
	s_delay_alu instid0(SALU_CYCLE_1)
	s_xor_b32 s1, exec_lo, s10
	s_cbranch_execz .LBB102_150
; %bb.113:
	v_cmp_gt_i16_e32 vcc_lo, 5, v21
	s_mov_b32 s10, -1
	s_cbranch_vccnz .LBB102_134
; %bb.114:
	v_cmp_gt_i16_e32 vcc_lo, 8, v21
	s_cbranch_vccnz .LBB102_124
; %bb.115:
	v_cmp_gt_i16_e32 vcc_lo, 9, v21
	s_cbranch_vccnz .LBB102_121
; %bb.116:
	v_cmp_lt_i16_e32 vcc_lo, 9, v21
	s_cbranch_vccz .LBB102_118
; %bb.117:
	v_mov_b32_e32 v2, 0
	s_mov_b32 s10, 0
	s_delay_alu instid0(VALU_DEP_1)
	v_mov_b32_e32 v3, v2
	global_store_b128 v[10:11], v[0:3], off
.LBB102_118:
	s_and_not1_b32 vcc_lo, exec_lo, s10
	s_cbranch_vccnz .LBB102_120
; %bb.119:
	v_mov_b32_e32 v7, 0
	global_store_b64 v[10:11], v[6:7], off
.LBB102_120:
	s_mov_b32 s10, 0
.LBB102_121:
	s_delay_alu instid0(SALU_CYCLE_1)
	s_and_not1_b32 vcc_lo, exec_lo, s10
	s_cbranch_vccnz .LBB102_123
; %bb.122:
	v_mov_b32_e32 v2, s9
	global_store_b32 v[10:11], v2, off
.LBB102_123:
	s_mov_b32 s10, 0
.LBB102_124:
	s_delay_alu instid0(SALU_CYCLE_1)
	s_and_not1_b32 vcc_lo, exec_lo, s10
	s_cbranch_vccnz .LBB102_133
; %bb.125:
	v_cmp_gt_i16_e32 vcc_lo, 6, v21
	s_mov_b32 s9, -1
	s_cbranch_vccnz .LBB102_131
; %bb.126:
	v_cmp_lt_i16_e32 vcc_lo, 6, v21
	s_cbranch_vccz .LBB102_128
; %bb.127:
	s_mov_b32 s9, 0
	global_store_b64 v[10:11], v[0:1], off
.LBB102_128:
	s_and_not1_b32 vcc_lo, exec_lo, s9
	s_cbranch_vccnz .LBB102_130
; %bb.129:
	global_store_b32 v[10:11], v6, off
.LBB102_130:
	s_mov_b32 s9, 0
.LBB102_131:
	s_delay_alu instid0(SALU_CYCLE_1)
	s_and_not1_b32 vcc_lo, exec_lo, s9
	s_cbranch_vccnz .LBB102_133
; %bb.132:
	v_mov_b32_e32 v0, s7
	global_store_b16 v[10:11], v0, off
.LBB102_133:
	s_mov_b32 s10, 0
.LBB102_134:
	s_delay_alu instid0(SALU_CYCLE_1)
	s_and_not1_b32 vcc_lo, exec_lo, s10
	s_cbranch_vccnz .LBB102_150
; %bb.135:
	v_cmp_gt_i16_e32 vcc_lo, 2, v21
	s_mov_b32 s9, -1
	s_cbranch_vccnz .LBB102_145
; %bb.136:
	v_cmp_gt_i16_e32 vcc_lo, 3, v21
	s_cbranch_vccnz .LBB102_142
; %bb.137:
	v_cmp_lt_i16_e32 vcc_lo, 3, v21
	s_cbranch_vccz .LBB102_139
; %bb.138:
	s_mov_b32 s9, 0
	global_store_b64 v[10:11], v[4:5], off
.LBB102_139:
	s_and_not1_b32 vcc_lo, exec_lo, s9
	s_cbranch_vccnz .LBB102_141
; %bb.140:
	global_store_b32 v[10:11], v4, off
.LBB102_141:
	s_mov_b32 s9, 0
.LBB102_142:
	s_delay_alu instid0(SALU_CYCLE_1)
	s_and_not1_b32 vcc_lo, exec_lo, s9
	s_cbranch_vccnz .LBB102_144
; %bb.143:
	global_store_b16 v[10:11], v12, off
.LBB102_144:
	s_mov_b32 s9, 0
.LBB102_145:
	s_delay_alu instid0(SALU_CYCLE_1)
	s_and_not1_b32 vcc_lo, exec_lo, s9
	s_cbranch_vccnz .LBB102_150
; %bb.146:
	v_cmp_lt_i16_e32 vcc_lo, 0, v21
	s_mov_b32 s9, -1
	s_cbranch_vccz .LBB102_148
; %bb.147:
	s_mov_b32 s9, 0
	global_store_b8 v[10:11], v12, off
.LBB102_148:
	s_and_not1_b32 vcc_lo, exec_lo, s9
	s_cbranch_vccnz .LBB102_150
; %bb.149:
	global_store_b8 v[10:11], v4, off
.LBB102_150:
	s_or_b32 exec_lo, exec_lo, s1
	s_delay_alu instid0(SALU_CYCLE_1)
	s_and_b32 s1, s0, exec_lo
                                        ; implicit-def: $vgpr19
.LBB102_151:
	s_or_saveexec_b32 s2, s2
	s_mov_b32 s0, 0
                                        ; implicit-def: $vgpr2
                                        ; implicit-def: $vgpr0_vgpr1
	s_xor_b32 exec_lo, exec_lo, s2
	s_cbranch_execz .LBB102_685
; %bb.152:
	v_mul_lo_u32 v3, s6, v19
	v_and_b32_e64 v2, 0xff, s8
	s_delay_alu instid0(VALU_DEP_1) | instskip(NEXT) | instid1(VALU_DEP_3)
	v_cmp_gt_i16_e32 vcc_lo, 11, v2
	v_ashrrev_i32_e32 v1, 31, v3
	v_add_co_u32 v0, s0, s4, v3
	s_delay_alu instid0(VALU_DEP_1)
	v_add_co_ci_u32_e64 v1, s0, s5, v1, s0
	s_cbranch_vccnz .LBB102_180
; %bb.153:
	v_cmp_lt_i16_e32 vcc_lo, 25, v2
	s_mov_b32 s3, -1
	s_mov_b32 s8, 0
	s_mov_b32 s9, 0
	s_mov_b32 s0, 0
	s_cbranch_vccz .LBB102_233
; %bb.154:
	v_cmp_lt_i16_e32 vcc_lo, 28, v2
	s_cbranch_vccz .LBB102_169
; %bb.155:
	v_cmp_lt_i16_e32 vcc_lo, 43, v2
	;; [unrolled: 3-line block ×3, first 2 shown]
	s_cbranch_vccz .LBB102_159
; %bb.157:
	v_cmp_eq_u16_e32 vcc_lo, 46, v2
	s_mov_b32 s0, -1
	s_mov_b32 s3, 0
	s_cbranch_vccz .LBB102_159
; %bb.158:
	v_cvt_f32_f16_e32 v4, s7
	v_cmp_o_f16_e64 vcc_lo, s7, s7
	s_mov_b32 s0, 0
	s_mov_b32 s9, -1
	s_delay_alu instid0(VALU_DEP_2) | instskip(NEXT) | instid1(VALU_DEP_1)
	v_bfe_u32 v5, v4, 16, 1
	v_add_nc_u32_e32 v4, v4, v5
	s_delay_alu instid0(VALU_DEP_1) | instskip(NEXT) | instid1(VALU_DEP_1)
	v_add_nc_u32_e32 v4, 0x7fff, v4
	v_lshrrev_b32_e32 v4, 16, v4
	s_delay_alu instid0(VALU_DEP_1)
	v_cndmask_b32_e32 v4, 0x7fc0, v4, vcc_lo
	global_store_b32 v[0:1], v4, off
.LBB102_159:
	s_and_b32 vcc_lo, exec_lo, s3
	s_cbranch_vccz .LBB102_164
; %bb.160:
	v_cmp_eq_u16_e32 vcc_lo, 44, v2
	s_mov_b32 s0, -1
	s_cbranch_vccz .LBB102_164
; %bb.161:
	v_cvt_f32_f16_e32 v4, s7
	v_mov_b32_e32 v5, 0xff
	s_delay_alu instid0(VALU_DEP_2) | instskip(NEXT) | instid1(VALU_DEP_1)
	v_readfirstlane_b32 s0, v4
	s_bfe_u32 s3, s0, 0x80017
	s_delay_alu instid0(SALU_CYCLE_1)
	s_cmpk_eq_i32 s3, 0xff
	s_cbranch_scc1 .LBB102_163
; %bb.162:
	s_bitcmp1_b32 s0, 22
	v_lshrrev_b32_e32 v4, 23, v4
	s_cselect_b32 s9, -1, 0
	s_and_b32 s0, s0, 0x3fffff
	s_delay_alu instid0(SALU_CYCLE_1) | instskip(NEXT) | instid1(SALU_CYCLE_1)
	s_or_b32 s0, s3, s0
	s_cmp_lg_u32 s0, 0
	s_cselect_b32 s0, -1, 0
	s_delay_alu instid0(SALU_CYCLE_1) | instskip(NEXT) | instid1(SALU_CYCLE_1)
	s_and_b32 s0, s9, s0
	v_cndmask_b32_e64 v5, 0, 1, s0
	s_delay_alu instid0(VALU_DEP_1)
	v_add_nc_u32_e32 v5, v4, v5
.LBB102_163:
	s_mov_b32 s0, 0
	s_mov_b32 s9, -1
	global_store_b8 v[0:1], v5, off
.LBB102_164:
	s_mov_b32 s3, 0
.LBB102_165:
	s_delay_alu instid0(SALU_CYCLE_1)
	s_and_b32 vcc_lo, exec_lo, s3
	s_cbranch_vccz .LBB102_168
; %bb.166:
	v_cmp_eq_u16_e32 vcc_lo, 29, v2
	s_mov_b32 s0, -1
	s_cbranch_vccz .LBB102_168
; %bb.167:
	v_cvt_f32_f16_e32 v4, s7
	v_mov_b32_e32 v5, 0
	s_mov_b32 s0, 0
	s_mov_b32 s9, -1
	s_delay_alu instid0(VALU_DEP_2)
	v_cvt_u32_f32_e32 v4, v4
	global_store_b64 v[0:1], v[4:5], off
.LBB102_168:
	s_mov_b32 s3, 0
.LBB102_169:
	s_delay_alu instid0(SALU_CYCLE_1)
	s_and_b32 vcc_lo, exec_lo, s3
	s_cbranch_vccz .LBB102_232
; %bb.170:
	v_cmp_gt_i16_e32 vcc_lo, 27, v2
	s_mov_b32 s3, -1
	s_cbranch_vccnz .LBB102_176
; %bb.171:
	v_cmp_lt_i16_e32 vcc_lo, 27, v2
	s_cbranch_vccz .LBB102_173
; %bb.172:
	v_cvt_f32_f16_e32 v4, s7
	s_mov_b32 s3, 0
	s_delay_alu instid0(VALU_DEP_1)
	v_cvt_u32_f32_e32 v4, v4
	global_store_b32 v[0:1], v4, off
.LBB102_173:
	s_and_not1_b32 vcc_lo, exec_lo, s3
	s_cbranch_vccnz .LBB102_175
; %bb.174:
	v_cvt_u16_f16_e32 v4, s7
	global_store_b16 v[0:1], v4, off
.LBB102_175:
	s_mov_b32 s3, 0
.LBB102_176:
	s_delay_alu instid0(SALU_CYCLE_1)
	s_and_not1_b32 vcc_lo, exec_lo, s3
	s_cbranch_vccnz .LBB102_231
; %bb.177:
	v_cvt_f32_f16_e32 v4, s7
	v_mov_b32_e32 v5, 0x80
	s_delay_alu instid0(VALU_DEP_2) | instskip(NEXT) | instid1(VALU_DEP_1)
	v_readfirstlane_b32 s3, v4
	s_and_b32 s9, s3, 0x7fffffff
	s_delay_alu instid0(SALU_CYCLE_1)
	s_cmp_gt_u32 s9, 0x437fffff
	s_cbranch_scc1 .LBB102_230
; %bb.178:
	s_cmp_gt_u32 s9, 0x3bffffff
	s_cbranch_scc0 .LBB102_225
; %bb.179:
	s_bfe_u32 s9, s3, 0x10014
	s_mov_b32 s10, 0
	s_add_i32 s9, s3, s9
	s_delay_alu instid0(SALU_CYCLE_1) | instskip(NEXT) | instid1(SALU_CYCLE_1)
	s_add_i32 s9, s9, 0x487ffff
	s_lshr_b32 s11, s9, 20
	s_mov_b32 s9, -1
	s_branch .LBB102_226
.LBB102_180:
	s_mov_b32 s9, 0
	s_mov_b32 s3, s1
	s_cbranch_execz .LBB102_382
; %bb.181:
	v_cmp_gt_i16_e32 vcc_lo, 5, v2
	s_mov_b32 s0, -1
	s_cbranch_vccnz .LBB102_202
; %bb.182:
	v_cmp_gt_i16_e32 vcc_lo, 8, v2
	s_cbranch_vccnz .LBB102_192
; %bb.183:
	v_cmp_gt_i16_e32 vcc_lo, 9, v2
	s_cbranch_vccnz .LBB102_189
; %bb.184:
	v_cmp_lt_i16_e32 vcc_lo, 9, v2
	s_cbranch_vccz .LBB102_186
; %bb.185:
	v_cvt_f32_f16_e32 v4, s7
	v_mov_b32_e32 v6, 0
	s_mov_b32 s0, 0
	s_delay_alu instid0(VALU_DEP_2) | instskip(NEXT) | instid1(VALU_DEP_2)
	v_cvt_f64_f32_e32 v[4:5], v4
	v_mov_b32_e32 v7, v6
	global_store_b128 v[0:1], v[4:7], off
.LBB102_186:
	s_and_not1_b32 vcc_lo, exec_lo, s0
	s_cbranch_vccnz .LBB102_188
; %bb.187:
	v_cvt_f32_f16_e32 v4, s7
	v_mov_b32_e32 v5, 0
	global_store_b64 v[0:1], v[4:5], off
.LBB102_188:
	s_mov_b32 s0, 0
.LBB102_189:
	s_delay_alu instid0(SALU_CYCLE_1)
	s_and_not1_b32 vcc_lo, exec_lo, s0
	s_cbranch_vccnz .LBB102_191
; %bb.190:
	s_and_b32 s0, 0xffff, s7
	s_delay_alu instid0(SALU_CYCLE_1)
	v_mov_b32_e32 v4, s0
	global_store_b32 v[0:1], v4, off
.LBB102_191:
	s_mov_b32 s0, 0
.LBB102_192:
	s_delay_alu instid0(SALU_CYCLE_1)
	s_and_not1_b32 vcc_lo, exec_lo, s0
	s_cbranch_vccnz .LBB102_201
; %bb.193:
	v_cmp_gt_i16_e32 vcc_lo, 6, v2
	s_mov_b32 s0, -1
	s_cbranch_vccnz .LBB102_199
; %bb.194:
	v_cmp_lt_i16_e32 vcc_lo, 6, v2
	s_cbranch_vccz .LBB102_196
; %bb.195:
	v_cvt_f32_f16_e32 v4, s7
	s_mov_b32 s0, 0
	s_delay_alu instid0(VALU_DEP_1)
	v_cvt_f64_f32_e32 v[4:5], v4
	global_store_b64 v[0:1], v[4:5], off
.LBB102_196:
	s_and_not1_b32 vcc_lo, exec_lo, s0
	s_cbranch_vccnz .LBB102_198
; %bb.197:
	v_cvt_f32_f16_e32 v4, s7
	global_store_b32 v[0:1], v4, off
.LBB102_198:
	s_mov_b32 s0, 0
.LBB102_199:
	s_delay_alu instid0(SALU_CYCLE_1)
	s_and_not1_b32 vcc_lo, exec_lo, s0
	s_cbranch_vccnz .LBB102_201
; %bb.200:
	v_mov_b32_e32 v4, s7
	global_store_b16 v[0:1], v4, off
.LBB102_201:
	s_mov_b32 s0, 0
.LBB102_202:
	s_delay_alu instid0(SALU_CYCLE_1)
	s_and_not1_b32 vcc_lo, exec_lo, s0
	s_cbranch_vccnz .LBB102_218
; %bb.203:
	v_cmp_gt_i16_e32 vcc_lo, 2, v2
	s_mov_b32 s0, -1
	s_cbranch_vccnz .LBB102_213
; %bb.204:
	v_cmp_gt_i16_e32 vcc_lo, 3, v2
	s_cbranch_vccnz .LBB102_210
; %bb.205:
	v_cmp_lt_i16_e32 vcc_lo, 3, v2
	s_cbranch_vccz .LBB102_207
; %bb.206:
	v_cvt_f32_f16_e32 v4, s7
	s_mov_b32 s0, 0
	s_delay_alu instid0(VALU_DEP_1) | instskip(NEXT) | instid1(VALU_DEP_1)
	v_cvt_i32_f32_e32 v4, v4
	v_ashrrev_i32_e32 v5, 31, v4
	global_store_b64 v[0:1], v[4:5], off
.LBB102_207:
	s_and_not1_b32 vcc_lo, exec_lo, s0
	s_cbranch_vccnz .LBB102_209
; %bb.208:
	v_cvt_f32_f16_e32 v4, s7
	s_delay_alu instid0(VALU_DEP_1)
	v_cvt_i32_f32_e32 v4, v4
	global_store_b32 v[0:1], v4, off
.LBB102_209:
	s_mov_b32 s0, 0
.LBB102_210:
	s_delay_alu instid0(SALU_CYCLE_1)
	s_and_not1_b32 vcc_lo, exec_lo, s0
	s_cbranch_vccnz .LBB102_212
; %bb.211:
	v_cvt_i16_f16_e32 v4, s7
	global_store_b16 v[0:1], v4, off
.LBB102_212:
	s_mov_b32 s0, 0
.LBB102_213:
	s_delay_alu instid0(SALU_CYCLE_1)
	s_and_not1_b32 vcc_lo, exec_lo, s0
	s_cbranch_vccnz .LBB102_218
; %bb.214:
	v_cmp_lt_i16_e32 vcc_lo, 0, v2
	s_mov_b32 s0, -1
	s_cbranch_vccz .LBB102_216
; %bb.215:
	v_cvt_i16_f16_e32 v4, s7
	s_mov_b32 s0, 0
	global_store_b8 v[0:1], v4, off
.LBB102_216:
	s_and_not1_b32 vcc_lo, exec_lo, s0
	s_cbranch_vccnz .LBB102_218
; %bb.217:
	v_cvt_f32_f16_e32 v4, s7
	s_delay_alu instid0(VALU_DEP_1)
	v_cvt_i32_f32_e32 v4, v4
	global_store_b8 v[0:1], v4, off
.LBB102_218:
	s_branch .LBB102_383
.LBB102_219:
	s_mov_b32 s31, 0
	s_mov_b32 s1, s29
	s_cbranch_execnz .LBB102_286
.LBB102_220:
	s_and_not1_b32 vcc_lo, exec_lo, s31
	s_cbranch_vccnz .LBB102_324
.LBB102_221:
	v_add_nc_u32_e32 v19, 0x80, v19
	s_mov_b32 s34, -1
	s_branch .LBB102_325
.LBB102_222:
	s_mov_b32 s34, -1
	s_mov_b32 s31, 0
	s_mov_b32 s1, s29
	s_branch .LBB102_263
.LBB102_223:
	s_mov_b32 s34, -1
	s_mov_b32 s31, 0
	s_mov_b32 s1, s29
	s_branch .LBB102_249
.LBB102_224:
	s_mov_b32 s34, -1
	s_mov_b32 s31, 0
	s_mov_b32 s1, s29
	s_branch .LBB102_245
.LBB102_225:
	s_mov_b32 s10, -1
	s_mov_b32 s9, 0
                                        ; implicit-def: $sgpr11
.LBB102_226:
	v_mov_b32_e32 v4, s11
	s_and_not1_b32 vcc_lo, exec_lo, s10
                                        ; implicit-def: $sgpr10
	s_cbranch_vccnz .LBB102_228
; %bb.227:
	v_add_f32_e64 v4, 0x46000000, |s3|
	s_mov_b32 s10, 0
	s_delay_alu instid0(VALU_DEP_1) | instskip(NEXT) | instid1(VALU_DEP_1)
	v_and_b32_e32 v4, 0xff, v4
	v_cmp_ne_u32_e64 s9, 0, v4
.LBB102_228:
	v_mov_b32_e32 v5, s10
	s_delay_alu instid0(VALU_DEP_2)
	s_and_not1_b32 vcc_lo, exec_lo, s9
	s_cbranch_vccnz .LBB102_230
; %bb.229:
	s_lshr_b32 s3, s3, 24
	s_delay_alu instid0(SALU_CYCLE_1) | instskip(NEXT) | instid1(SALU_CYCLE_1)
	s_and_b32 s3, s3, 0x80
	v_or_b32_e32 v5, s3, v4
.LBB102_230:
	global_store_b8 v[0:1], v5, off
.LBB102_231:
	s_mov_b32 s9, -1
.LBB102_232:
	s_mov_b32 s3, 0
.LBB102_233:
	s_delay_alu instid0(SALU_CYCLE_1)
	s_and_b32 vcc_lo, exec_lo, s3
	s_cbranch_vccz .LBB102_378
; %bb.234:
	v_cmp_lt_i16_e32 vcc_lo, 22, v2
	s_mov_b32 s3, -1
	s_cbranch_vccz .LBB102_371
; %bb.235:
	v_cmp_gt_i16_e32 vcc_lo, 24, v2
	s_cbranch_vccnz .LBB102_358
; %bb.236:
	v_cmp_lt_i16_e32 vcc_lo, 24, v2
	s_cbranch_vccz .LBB102_345
; %bb.237:
	v_cvt_f32_f16_e32 v4, s7
	v_mov_b32_e32 v5, 0x80
	s_delay_alu instid0(VALU_DEP_2) | instskip(NEXT) | instid1(VALU_DEP_1)
	v_readfirstlane_b32 s3, v4
	s_and_b32 s8, s3, 0x7fffffff
	s_delay_alu instid0(SALU_CYCLE_1)
	s_cmp_gt_u32 s8, 0x477fffff
	s_cbranch_scc1 .LBB102_344
; %bb.238:
	s_cmp_gt_u32 s8, 0x37ffffff
	s_cbranch_scc0 .LBB102_339
; %bb.239:
	s_bfe_u32 s8, s3, 0x10015
	s_mov_b32 s9, 0
	s_add_i32 s8, s3, s8
	s_delay_alu instid0(SALU_CYCLE_1) | instskip(NEXT) | instid1(SALU_CYCLE_1)
	s_add_i32 s8, s8, 0x88fffff
	s_lshr_b32 s10, s8, 21
	s_mov_b32 s8, -1
	s_branch .LBB102_340
.LBB102_240:
	s_mov_b32 s34, -1
	s_mov_b32 s31, 0
	s_mov_b32 s1, s29
.LBB102_241:
	s_and_b32 vcc_lo, exec_lo, s34
	s_cbranch_vccz .LBB102_244
; %bb.242:
	v_cmp_eq_u16_e32 vcc_lo, 44, v21
	s_mov_b32 s1, -1
	s_cbranch_vccz .LBB102_244
; %bb.243:
	v_cndmask_b32_e64 v2, v20, 0xff, s0
	s_mov_b32 s31, -1
	s_mov_b32 s1, 0
	global_store_b8 v[10:11], v2, off
.LBB102_244:
	s_mov_b32 s34, 0
.LBB102_245:
	s_delay_alu instid0(SALU_CYCLE_1)
	s_and_b32 vcc_lo, exec_lo, s34
	s_cbranch_vccz .LBB102_248
; %bb.246:
	v_cmp_eq_u16_e32 vcc_lo, 29, v21
	s_mov_b32 s1, -1
	s_cbranch_vccz .LBB102_248
; %bb.247:
	s_mov_b32 s31, -1
	s_mov_b32 s1, 0
	global_store_b64 v[10:11], v[8:9], off
.LBB102_248:
	s_mov_b32 s34, 0
.LBB102_249:
	s_delay_alu instid0(SALU_CYCLE_1)
	s_and_b32 vcc_lo, exec_lo, s34
	s_cbranch_vccz .LBB102_262
; %bb.250:
	v_cmp_gt_i16_e32 vcc_lo, 27, v21
	s_mov_b32 s31, -1
	s_cbranch_vccnz .LBB102_256
; %bb.251:
	v_cmp_lt_i16_e32 vcc_lo, 27, v21
	s_cbranch_vccz .LBB102_253
; %bb.252:
	s_mov_b32 s31, 0
	global_store_b32 v[10:11], v8, off
.LBB102_253:
	s_and_not1_b32 vcc_lo, exec_lo, s31
	s_cbranch_vccnz .LBB102_255
; %bb.254:
	global_store_b16 v[10:11], v18, off
.LBB102_255:
	s_mov_b32 s31, 0
.LBB102_256:
	s_delay_alu instid0(SALU_CYCLE_1)
	s_and_not1_b32 vcc_lo, exec_lo, s31
	s_cbranch_vccnz .LBB102_261
; %bb.257:
	v_mov_b32_e32 v2, 0x80
	s_and_not1_b32 vcc_lo, exec_lo, s26
	s_cbranch_vccnz .LBB102_260
; %bb.258:
	v_mov_b32_e32 v2, 0
	s_or_b32 s31, s21, s27
	s_delay_alu instid0(SALU_CYCLE_1)
	s_and_not1_b32 vcc_lo, exec_lo, s31
	s_cbranch_vccnz .LBB102_260
; %bb.259:
	v_cndmask_b32_e64 v2, v17, s25, s21
	s_delay_alu instid0(VALU_DEP_1)
	v_or_b32_e32 v2, v2, v16
.LBB102_260:
	global_store_b8 v[10:11], v2, off
.LBB102_261:
	s_mov_b32 s31, -1
.LBB102_262:
	s_mov_b32 s34, 0
.LBB102_263:
	s_delay_alu instid0(SALU_CYCLE_1)
	s_and_b32 vcc_lo, exec_lo, s34
	s_cbranch_vccz .LBB102_285
; %bb.264:
	v_cmp_lt_i16_e32 vcc_lo, 22, v21
	s_mov_b32 s34, -1
	s_cbranch_vccz .LBB102_277
; %bb.265:
	v_cmp_gt_i16_e32 vcc_lo, 24, v21
	s_mov_b32 s31, -1
	s_cbranch_vccnz .LBB102_274
; %bb.266:
	v_cmp_lt_i16_e32 vcc_lo, 24, v21
	s_cbranch_vccz .LBB102_271
; %bb.267:
	v_mov_b32_e32 v2, 0x80
	s_and_not1_b32 vcc_lo, exec_lo, s13
	s_cbranch_vccnz .LBB102_270
; %bb.268:
	v_mov_b32_e32 v2, 0
	s_or_b32 s31, s11, s23
	s_delay_alu instid0(SALU_CYCLE_1)
	s_and_not1_b32 vcc_lo, exec_lo, s31
	s_cbranch_vccnz .LBB102_270
; %bb.269:
	v_cndmask_b32_e64 v2, v14, s12, s11
	s_delay_alu instid0(VALU_DEP_1)
	v_or_b32_e32 v2, v2, v16
.LBB102_270:
	s_mov_b32 s31, 0
	global_store_b8 v[10:11], v2, off
.LBB102_271:
	s_and_b32 vcc_lo, exec_lo, s31
	s_cbranch_vccz .LBB102_273
; %bb.272:
	s_and_b32 s31, s17, exec_lo
	s_cselect_b32 s31, s24, s19
	s_and_b32 s34, s16, exec_lo
	s_cselect_b32 s31, s22, s31
	s_delay_alu instid0(SALU_CYCLE_1)
	v_or_b32_e32 v2, s31, v16
	global_store_b8 v[10:11], v2, off
.LBB102_273:
	s_mov_b32 s31, 0
.LBB102_274:
	s_delay_alu instid0(SALU_CYCLE_1)
	s_and_not1_b32 vcc_lo, exec_lo, s31
	s_cbranch_vccnz .LBB102_276
; %bb.275:
	s_and_b32 s31, s14, exec_lo
	s_cselect_b32 s31, s18, s15
	s_and_b32 s34, s10, exec_lo
	s_cselect_b32 s31, s20, s31
	s_delay_alu instid0(SALU_CYCLE_1)
	v_or_b32_e32 v2, s31, v16
	global_store_b8 v[10:11], v2, off
.LBB102_276:
	s_mov_b32 s34, 0
	s_mov_b32 s31, -1
.LBB102_277:
	s_and_not1_b32 vcc_lo, exec_lo, s34
	s_cbranch_vccnz .LBB102_285
; %bb.278:
	v_cmp_lt_i16_e32 vcc_lo, 14, v21
	s_mov_b32 s34, -1
	s_cbranch_vccz .LBB102_282
; %bb.279:
	v_cmp_eq_u16_e32 vcc_lo, 15, v21
	s_mov_b32 s1, -1
	s_cbranch_vccz .LBB102_281
; %bb.280:
	s_mov_b32 s31, -1
	s_mov_b32 s1, 0
	global_store_b16 v[10:11], v15, off
.LBB102_281:
	s_mov_b32 s34, 0
.LBB102_282:
	s_delay_alu instid0(SALU_CYCLE_1)
	s_and_b32 vcc_lo, exec_lo, s34
	s_cbranch_vccz .LBB102_285
; %bb.283:
	v_cmp_eq_u16_e32 vcc_lo, 11, v21
	s_mov_b32 s1, -1
	s_cbranch_vccz .LBB102_285
; %bb.284:
	s_mov_b32 s31, -1
	s_mov_b32 s1, 0
	global_store_b8 v[10:11], v13, off
.LBB102_285:
	s_branch .LBB102_220
.LBB102_286:
	v_cmp_gt_i16_e32 vcc_lo, 5, v21
	s_mov_b32 s31, -1
	s_cbranch_vccnz .LBB102_307
; %bb.287:
	v_cmp_gt_i16_e32 vcc_lo, 8, v21
	s_cbranch_vccnz .LBB102_297
; %bb.288:
	v_cmp_gt_i16_e32 vcc_lo, 9, v21
	s_cbranch_vccnz .LBB102_294
; %bb.289:
	v_cmp_lt_i16_e32 vcc_lo, 9, v21
	s_cbranch_vccz .LBB102_291
; %bb.290:
	v_mov_b32_e32 v2, 0
	s_mov_b32 s31, 0
	s_delay_alu instid0(VALU_DEP_1)
	v_mov_b32_e32 v3, v2
	global_store_b128 v[10:11], v[0:3], off
.LBB102_291:
	s_and_not1_b32 vcc_lo, exec_lo, s31
	s_cbranch_vccnz .LBB102_293
; %bb.292:
	v_mov_b32_e32 v7, 0
	global_store_b64 v[10:11], v[6:7], off
.LBB102_293:
	s_mov_b32 s31, 0
.LBB102_294:
	s_delay_alu instid0(SALU_CYCLE_1)
	s_and_not1_b32 vcc_lo, exec_lo, s31
	s_cbranch_vccnz .LBB102_296
; %bb.295:
	v_mov_b32_e32 v2, s9
	global_store_b32 v[10:11], v2, off
.LBB102_296:
	s_mov_b32 s31, 0
.LBB102_297:
	s_delay_alu instid0(SALU_CYCLE_1)
	s_and_not1_b32 vcc_lo, exec_lo, s31
	s_cbranch_vccnz .LBB102_306
; %bb.298:
	v_cmp_gt_i16_e32 vcc_lo, 6, v21
	s_mov_b32 s31, -1
	s_cbranch_vccnz .LBB102_304
; %bb.299:
	v_cmp_lt_i16_e32 vcc_lo, 6, v21
	s_cbranch_vccz .LBB102_301
; %bb.300:
	s_mov_b32 s31, 0
	global_store_b64 v[10:11], v[0:1], off
.LBB102_301:
	s_and_not1_b32 vcc_lo, exec_lo, s31
	s_cbranch_vccnz .LBB102_303
; %bb.302:
	global_store_b32 v[10:11], v6, off
.LBB102_303:
	s_mov_b32 s31, 0
.LBB102_304:
	s_delay_alu instid0(SALU_CYCLE_1)
	s_and_not1_b32 vcc_lo, exec_lo, s31
	s_cbranch_vccnz .LBB102_306
; %bb.305:
	v_mov_b32_e32 v2, s7
	global_store_b16 v[10:11], v2, off
.LBB102_306:
	s_mov_b32 s31, 0
.LBB102_307:
	s_delay_alu instid0(SALU_CYCLE_1)
	s_and_not1_b32 vcc_lo, exec_lo, s31
	s_cbranch_vccnz .LBB102_323
; %bb.308:
	v_cmp_gt_i16_e32 vcc_lo, 2, v21
	s_mov_b32 s31, -1
	s_cbranch_vccnz .LBB102_318
; %bb.309:
	v_cmp_gt_i16_e32 vcc_lo, 3, v21
	s_cbranch_vccnz .LBB102_315
; %bb.310:
	v_cmp_lt_i16_e32 vcc_lo, 3, v21
	s_cbranch_vccz .LBB102_312
; %bb.311:
	s_mov_b32 s31, 0
	global_store_b64 v[10:11], v[4:5], off
.LBB102_312:
	s_and_not1_b32 vcc_lo, exec_lo, s31
	s_cbranch_vccnz .LBB102_314
; %bb.313:
	global_store_b32 v[10:11], v4, off
.LBB102_314:
	s_mov_b32 s31, 0
.LBB102_315:
	s_delay_alu instid0(SALU_CYCLE_1)
	s_and_not1_b32 vcc_lo, exec_lo, s31
	s_cbranch_vccnz .LBB102_317
; %bb.316:
	global_store_b16 v[10:11], v12, off
.LBB102_317:
	s_mov_b32 s31, 0
.LBB102_318:
	s_delay_alu instid0(SALU_CYCLE_1)
	s_and_not1_b32 vcc_lo, exec_lo, s31
	s_cbranch_vccnz .LBB102_323
; %bb.319:
	v_cmp_lt_i16_e32 vcc_lo, 0, v21
	s_mov_b32 s31, -1
	s_cbranch_vccz .LBB102_321
; %bb.320:
	s_mov_b32 s31, 0
	global_store_b8 v[10:11], v12, off
.LBB102_321:
	s_and_not1_b32 vcc_lo, exec_lo, s31
	s_cbranch_vccnz .LBB102_323
; %bb.322:
	global_store_b8 v[10:11], v4, off
.LBB102_323:
	s_branch .LBB102_221
.LBB102_324:
	s_mov_b32 s34, 0
                                        ; implicit-def: $vgpr19
.LBB102_325:
	s_and_not1_b32 s31, s29, exec_lo
	s_and_b32 s1, s1, exec_lo
	s_delay_alu instid0(SALU_CYCLE_1)
	s_or_b32 s31, s31, s1
	s_or_not1_b32 s1, s34, exec_lo
.LBB102_326:
	s_or_b32 exec_lo, exec_lo, s33
	s_mov_b32 s34, 0
	s_mov_b32 s36, 0
                                        ; implicit-def: $vgpr21
                                        ; implicit-def: $vgpr10_vgpr11
	s_and_saveexec_b32 s33, s1
	s_cbranch_execz .LBB102_790
; %bb.327:
	s_mov_b32 s37, -1
	s_mov_b32 s35, s31
	s_mov_b32 s34, exec_lo
	v_cmpx_gt_i32_e64 s28, v19
	s_cbranch_execz .LBB102_558
; %bb.328:
	v_mul_lo_u32 v2, v19, s6
	v_and_b32_e64 v21, 0xff, s8
	s_delay_alu instid0(VALU_DEP_1) | instskip(NEXT) | instid1(VALU_DEP_3)
	v_cmp_gt_i16_e32 vcc_lo, 11, v21
	v_ashrrev_i32_e32 v3, 31, v2
	v_add_co_u32 v10, s1, s4, v2
	s_delay_alu instid0(VALU_DEP_1)
	v_add_co_ci_u32_e64 v11, s1, s5, v3, s1
	s_cbranch_vccnz .LBB102_335
; %bb.329:
	v_cmp_lt_i16_e32 vcc_lo, 25, v21
	s_cbranch_vccz .LBB102_336
; %bb.330:
	v_cmp_lt_i16_e32 vcc_lo, 28, v21
	s_cbranch_vccz .LBB102_337
	;; [unrolled: 3-line block ×4, first 2 shown]
; %bb.333:
	v_cmp_eq_u16_e32 vcc_lo, 46, v21
	s_mov_b32 s1, -1
	s_mov_b32 s35, 0
	s_cbranch_vccz .LBB102_470
; %bb.334:
	s_mov_b32 s35, -1
	s_mov_b32 s1, 0
	global_store_b32 v[10:11], v15, off
	s_branch .LBB102_470
.LBB102_335:
	s_mov_b32 s36, -1
	s_mov_b32 s35, 0
	s_mov_b32 s1, s31
	s_branch .LBB102_515
.LBB102_336:
	s_mov_b32 s36, -1
	s_mov_b32 s35, 0
	s_mov_b32 s1, s31
	s_branch .LBB102_492
.LBB102_337:
	s_mov_b32 s36, -1
	s_mov_b32 s35, 0
	s_mov_b32 s1, s31
	s_branch .LBB102_478
.LBB102_338:
	s_mov_b32 s36, -1
	s_mov_b32 s35, 0
	s_mov_b32 s1, s31
	s_branch .LBB102_474
.LBB102_339:
	s_mov_b32 s9, -1
	s_mov_b32 s8, 0
                                        ; implicit-def: $sgpr10
.LBB102_340:
	v_mov_b32_e32 v4, s10
	s_and_not1_b32 vcc_lo, exec_lo, s9
                                        ; implicit-def: $sgpr9
	s_cbranch_vccnz .LBB102_342
; %bb.341:
	v_add_f32_e64 v4, 0x42800000, |s3|
	s_mov_b32 s9, 0
	s_delay_alu instid0(VALU_DEP_1) | instskip(NEXT) | instid1(VALU_DEP_1)
	v_and_b32_e32 v4, 0xff, v4
	v_cmp_ne_u32_e64 s8, 0, v4
.LBB102_342:
	v_mov_b32_e32 v5, s9
	s_delay_alu instid0(VALU_DEP_2)
	s_and_not1_b32 vcc_lo, exec_lo, s8
	s_cbranch_vccnz .LBB102_344
; %bb.343:
	s_lshr_b32 s3, s3, 24
	s_delay_alu instid0(SALU_CYCLE_1) | instskip(NEXT) | instid1(SALU_CYCLE_1)
	s_and_b32 s3, s3, 0x80
	v_or_b32_e32 v5, s3, v4
.LBB102_344:
	s_mov_b32 s3, 0
	global_store_b8 v[0:1], v5, off
.LBB102_345:
	s_and_b32 vcc_lo, exec_lo, s3
	s_cbranch_vccz .LBB102_357
; %bb.346:
	v_cvt_f32_f16_e32 v4, s7
	s_delay_alu instid0(VALU_DEP_1) | instskip(NEXT) | instid1(VALU_DEP_1)
	v_readfirstlane_b32 s3, v4
	s_and_b32 s8, s3, 0x7fffffff
	s_delay_alu instid0(SALU_CYCLE_1)
	s_cmp_lt_u32 s8, 0x43f00000
	s_cbranch_scc0 .LBB102_349
; %bb.347:
	s_cmp_gt_u32 s8, 0x3c7fffff
	s_cbranch_scc0 .LBB102_350
; %bb.348:
	s_bfe_u32 s9, s3, 0x10014
	s_delay_alu instid0(SALU_CYCLE_1) | instskip(NEXT) | instid1(SALU_CYCLE_1)
	s_add_i32 s9, s3, s9
	s_add_i32 s9, s9, 0x407ffff
	s_delay_alu instid0(SALU_CYCLE_1)
	s_and_b32 s10, s9, 0xff00000
	s_lshr_b32 s9, s9, 20
	s_cmp_lg_u32 s10, 0x7f00000
	s_cselect_b32 s10, s9, 0x7e
	s_mov_b32 s9, 0
	s_branch .LBB102_351
.LBB102_349:
	s_mov_b32 s9, -1
                                        ; implicit-def: $vgpr5
	s_branch .LBB102_354
.LBB102_350:
	s_mov_b32 s9, -1
                                        ; implicit-def: $sgpr10
.LBB102_351:
	v_mov_b32_e32 v5, s10
	s_and_not1_b32 vcc_lo, exec_lo, s9
	s_cbranch_vccnz .LBB102_353
; %bb.352:
	v_add_f32_e64 v5, 0x46800000, |v4|
.LBB102_353:
	s_mov_b32 s9, 0
.LBB102_354:
	s_delay_alu instid0(SALU_CYCLE_1)
	s_and_not1_b32 vcc_lo, exec_lo, s9
	s_cbranch_vccnz .LBB102_356
; %bb.355:
	s_cmp_gt_u32 s8, 0x7f800000
	s_movk_i32 s8, 0x7f
	s_delay_alu instid0(SALU_CYCLE_1) | instskip(NEXT) | instid1(SALU_CYCLE_1)
	s_cselect_b32 s8, s8, 0x7e
	v_mov_b32_e32 v5, s8
.LBB102_356:
	s_lshr_b32 s3, s3, 24
	s_delay_alu instid0(SALU_CYCLE_1)
	s_and_b32 s3, s3, 0x80
	s_delay_alu instid0(VALU_DEP_1) | instid1(SALU_CYCLE_1)
	v_or_b32_e32 v4, s3, v5
	global_store_b8 v[0:1], v4, off
.LBB102_357:
	s_mov_b32 s3, 0
.LBB102_358:
	s_delay_alu instid0(SALU_CYCLE_1)
	s_and_not1_b32 vcc_lo, exec_lo, s3
	s_cbranch_vccnz .LBB102_370
; %bb.359:
	v_cvt_f32_f16_e32 v4, s7
	s_delay_alu instid0(VALU_DEP_1) | instskip(NEXT) | instid1(VALU_DEP_1)
	v_readfirstlane_b32 s3, v4
	s_and_b32 s8, s3, 0x7fffffff
	s_delay_alu instid0(SALU_CYCLE_1)
	s_cmp_lt_u32 s8, 0x47800000
	s_cbranch_scc0 .LBB102_362
; %bb.360:
	s_cmp_gt_u32 s8, 0x387fffff
	s_cbranch_scc0 .LBB102_363
; %bb.361:
	s_bfe_u32 s9, s3, 0x10015
	s_delay_alu instid0(SALU_CYCLE_1) | instskip(NEXT) | instid1(SALU_CYCLE_1)
	s_add_i32 s9, s3, s9
	s_add_i32 s9, s9, 0x80fffff
	s_delay_alu instid0(SALU_CYCLE_1)
	s_lshr_b32 s10, s9, 21
	s_mov_b32 s9, 0
	s_branch .LBB102_364
.LBB102_362:
	s_mov_b32 s9, -1
                                        ; implicit-def: $vgpr5
	s_branch .LBB102_367
.LBB102_363:
	s_mov_b32 s9, -1
                                        ; implicit-def: $sgpr10
.LBB102_364:
	v_mov_b32_e32 v5, s10
	s_and_not1_b32 vcc_lo, exec_lo, s9
	s_cbranch_vccnz .LBB102_366
; %bb.365:
	v_add_f32_e64 v5, 0x43000000, |v4|
.LBB102_366:
	s_mov_b32 s9, 0
.LBB102_367:
	s_delay_alu instid0(SALU_CYCLE_1)
	s_and_not1_b32 vcc_lo, exec_lo, s9
	s_cbranch_vccnz .LBB102_369
; %bb.368:
	s_cmp_gt_u32 s8, 0x7f800000
	s_movk_i32 s8, 0x7f
	s_delay_alu instid0(SALU_CYCLE_1) | instskip(NEXT) | instid1(SALU_CYCLE_1)
	s_cselect_b32 s8, s8, 0x7c
	v_mov_b32_e32 v5, s8
.LBB102_369:
	s_lshr_b32 s3, s3, 24
	s_delay_alu instid0(SALU_CYCLE_1)
	s_and_b32 s3, s3, 0x80
	s_delay_alu instid0(VALU_DEP_1) | instid1(SALU_CYCLE_1)
	v_or_b32_e32 v4, s3, v5
	global_store_b8 v[0:1], v4, off
.LBB102_370:
	s_mov_b32 s3, 0
	s_mov_b32 s9, -1
.LBB102_371:
	s_and_not1_b32 vcc_lo, exec_lo, s3
	s_mov_b32 s8, 0
	s_cbranch_vccnz .LBB102_378
; %bb.372:
	v_cmp_lt_i16_e32 vcc_lo, 14, v2
	s_mov_b32 s3, -1
	s_cbranch_vccz .LBB102_376
; %bb.373:
	v_cmp_eq_u16_e32 vcc_lo, 15, v2
	s_mov_b32 s0, -1
	s_cbranch_vccz .LBB102_375
; %bb.374:
	v_cvt_f32_f16_e32 v4, s7
	v_cmp_o_f16_e64 vcc_lo, s7, s7
	s_mov_b32 s0, 0
	s_mov_b32 s9, -1
	s_delay_alu instid0(VALU_DEP_2) | instskip(NEXT) | instid1(VALU_DEP_1)
	v_bfe_u32 v5, v4, 16, 1
	v_add_nc_u32_e32 v4, v4, v5
	s_delay_alu instid0(VALU_DEP_1) | instskip(NEXT) | instid1(VALU_DEP_1)
	v_add_nc_u32_e32 v4, 0x7fff, v4
	v_lshrrev_b32_e32 v4, 16, v4
	s_delay_alu instid0(VALU_DEP_1)
	v_cndmask_b32_e32 v4, 0x7fc0, v4, vcc_lo
	global_store_b16 v[0:1], v4, off
.LBB102_375:
	s_mov_b32 s3, 0
.LBB102_376:
	s_delay_alu instid0(SALU_CYCLE_1)
	s_and_b32 vcc_lo, exec_lo, s3
	s_cbranch_vccz .LBB102_378
; %bb.377:
	v_cmp_ne_u16_e64 s0, 11, v2
	s_mov_b32 s8, -1
.LBB102_378:
	s_delay_alu instid0(VALU_DEP_1)
	s_and_b32 vcc_lo, exec_lo, s0
	s_mov_b32 s3, s1
	s_cbranch_vccnz .LBB102_450
; %bb.379:
	s_and_not1_b32 vcc_lo, exec_lo, s8
	s_cbranch_vccnz .LBB102_381
.LBB102_380:
	v_and_b32_e64 v4, 0x7fff, s7
	s_mov_b32 s9, -1
	s_delay_alu instid0(VALU_DEP_1)
	v_cmp_ne_u16_e32 vcc_lo, 0, v4
	v_cndmask_b32_e64 v4, 0, 1, vcc_lo
	global_store_b8 v[0:1], v4, off
.LBB102_381:
.LBB102_382:
	s_and_not1_b32 vcc_lo, exec_lo, s9
	s_cbranch_vccnz .LBB102_683
.LBB102_383:
	s_lshl_b32 s6, s6, 7
	v_cmp_gt_i16_e32 vcc_lo, 11, v2
	v_add_nc_u32_e32 v3, s6, v3
	s_delay_alu instid0(VALU_DEP_1) | instskip(SKIP_1) | instid1(VALU_DEP_1)
	v_ashrrev_i32_e32 v1, 31, v3
	v_add_co_u32 v0, s0, s4, v3
	v_add_co_ci_u32_e64 v1, s0, s5, v1, s0
	s_cbranch_vccnz .LBB102_411
; %bb.384:
	v_cmp_lt_i16_e32 vcc_lo, 25, v2
	s_mov_b32 s10, -1
	s_mov_b32 s8, 0
	s_mov_b32 s9, 0
	;; [unrolled: 1-line block ×3, first 2 shown]
	s_cbranch_vccz .LBB102_462
; %bb.385:
	v_cmp_lt_i16_e32 vcc_lo, 28, v2
	s_cbranch_vccz .LBB102_400
; %bb.386:
	v_cmp_lt_i16_e32 vcc_lo, 43, v2
	;; [unrolled: 3-line block ×3, first 2 shown]
	s_cbranch_vccz .LBB102_390
; %bb.388:
	v_cmp_eq_u16_e32 vcc_lo, 46, v2
	s_mov_b32 s0, -1
	s_mov_b32 s10, 0
	s_cbranch_vccz .LBB102_390
; %bb.389:
	v_cvt_f32_f16_e32 v4, s7
	v_cmp_o_f16_e64 vcc_lo, s7, s7
	s_mov_b32 s0, 0
	s_mov_b32 s9, -1
	s_delay_alu instid0(VALU_DEP_2) | instskip(NEXT) | instid1(VALU_DEP_1)
	v_bfe_u32 v5, v4, 16, 1
	v_add_nc_u32_e32 v4, v4, v5
	s_delay_alu instid0(VALU_DEP_1) | instskip(NEXT) | instid1(VALU_DEP_1)
	v_add_nc_u32_e32 v4, 0x7fff, v4
	v_lshrrev_b32_e32 v4, 16, v4
	s_delay_alu instid0(VALU_DEP_1)
	v_cndmask_b32_e32 v4, 0x7fc0, v4, vcc_lo
	global_store_b32 v[0:1], v4, off
.LBB102_390:
	s_and_b32 vcc_lo, exec_lo, s10
	s_cbranch_vccz .LBB102_395
; %bb.391:
	v_cmp_eq_u16_e32 vcc_lo, 44, v2
	s_mov_b32 s0, -1
	s_cbranch_vccz .LBB102_395
; %bb.392:
	v_cvt_f32_f16_e32 v4, s7
	v_mov_b32_e32 v5, 0xff
	s_delay_alu instid0(VALU_DEP_2) | instskip(NEXT) | instid1(VALU_DEP_1)
	v_readfirstlane_b32 s0, v4
	s_bfe_u32 s9, s0, 0x80017
	s_delay_alu instid0(SALU_CYCLE_1)
	s_cmpk_eq_i32 s9, 0xff
	s_cbranch_scc1 .LBB102_394
; %bb.393:
	s_bitcmp1_b32 s0, 22
	v_lshrrev_b32_e32 v4, 23, v4
	s_cselect_b32 s10, -1, 0
	s_and_b32 s0, s0, 0x3fffff
	s_delay_alu instid0(SALU_CYCLE_1) | instskip(NEXT) | instid1(SALU_CYCLE_1)
	s_or_b32 s0, s9, s0
	s_cmp_lg_u32 s0, 0
	s_cselect_b32 s0, -1, 0
	s_delay_alu instid0(SALU_CYCLE_1) | instskip(NEXT) | instid1(SALU_CYCLE_1)
	s_and_b32 s0, s10, s0
	v_cndmask_b32_e64 v5, 0, 1, s0
	s_delay_alu instid0(VALU_DEP_1)
	v_add_nc_u32_e32 v5, v4, v5
.LBB102_394:
	s_mov_b32 s0, 0
	s_mov_b32 s9, -1
	global_store_b8 v[0:1], v5, off
.LBB102_395:
	s_mov_b32 s10, 0
.LBB102_396:
	s_delay_alu instid0(SALU_CYCLE_1)
	s_and_b32 vcc_lo, exec_lo, s10
	s_cbranch_vccz .LBB102_399
; %bb.397:
	v_cmp_eq_u16_e32 vcc_lo, 29, v2
	s_mov_b32 s0, -1
	s_cbranch_vccz .LBB102_399
; %bb.398:
	v_cvt_f32_f16_e32 v4, s7
	v_mov_b32_e32 v5, 0
	s_mov_b32 s0, 0
	s_mov_b32 s9, -1
	s_delay_alu instid0(VALU_DEP_2)
	v_cvt_u32_f32_e32 v4, v4
	global_store_b64 v[0:1], v[4:5], off
.LBB102_399:
	s_mov_b32 s10, 0
.LBB102_400:
	s_delay_alu instid0(SALU_CYCLE_1)
	s_and_b32 vcc_lo, exec_lo, s10
	s_cbranch_vccz .LBB102_461
; %bb.401:
	v_cmp_gt_i16_e32 vcc_lo, 27, v2
	s_mov_b32 s9, -1
	s_cbranch_vccnz .LBB102_407
; %bb.402:
	v_cmp_lt_i16_e32 vcc_lo, 27, v2
	s_cbranch_vccz .LBB102_404
; %bb.403:
	v_cvt_f32_f16_e32 v4, s7
	s_mov_b32 s9, 0
	s_delay_alu instid0(VALU_DEP_1)
	v_cvt_u32_f32_e32 v4, v4
	global_store_b32 v[0:1], v4, off
.LBB102_404:
	s_and_not1_b32 vcc_lo, exec_lo, s9
	s_cbranch_vccnz .LBB102_406
; %bb.405:
	v_cvt_u16_f16_e32 v4, s7
	global_store_b16 v[0:1], v4, off
.LBB102_406:
	s_mov_b32 s9, 0
.LBB102_407:
	s_delay_alu instid0(SALU_CYCLE_1)
	s_and_not1_b32 vcc_lo, exec_lo, s9
	s_cbranch_vccnz .LBB102_460
; %bb.408:
	v_cvt_f32_f16_e32 v4, s7
	v_mov_b32_e32 v5, 0x80
	s_delay_alu instid0(VALU_DEP_2) | instskip(NEXT) | instid1(VALU_DEP_1)
	v_readfirstlane_b32 s9, v4
	s_and_b32 s10, s9, 0x7fffffff
	s_delay_alu instid0(SALU_CYCLE_1)
	s_cmp_gt_u32 s10, 0x437fffff
	s_cbranch_scc1 .LBB102_459
; %bb.409:
	s_cmp_gt_u32 s10, 0x3bffffff
	s_cbranch_scc0 .LBB102_454
; %bb.410:
	s_bfe_u32 s10, s9, 0x10014
	s_mov_b32 s11, 0
	s_add_i32 s10, s9, s10
	s_delay_alu instid0(SALU_CYCLE_1) | instskip(NEXT) | instid1(SALU_CYCLE_1)
	s_add_i32 s10, s10, 0x487ffff
	s_lshr_b32 s12, s10, 20
	s_mov_b32 s10, -1
	s_branch .LBB102_455
.LBB102_411:
	s_mov_b32 s9, 0
	s_cbranch_execz .LBB102_615
; %bb.412:
	v_cmp_gt_i16_e32 vcc_lo, 5, v2
	s_mov_b32 s0, -1
	s_cbranch_vccnz .LBB102_433
; %bb.413:
	v_cmp_gt_i16_e32 vcc_lo, 8, v2
	s_cbranch_vccnz .LBB102_423
; %bb.414:
	v_cmp_gt_i16_e32 vcc_lo, 9, v2
	s_cbranch_vccnz .LBB102_420
; %bb.415:
	v_cmp_lt_i16_e32 vcc_lo, 9, v2
	s_cbranch_vccz .LBB102_417
; %bb.416:
	v_cvt_f32_f16_e32 v4, s7
	v_mov_b32_e32 v6, 0
	s_mov_b32 s0, 0
	s_delay_alu instid0(VALU_DEP_2) | instskip(NEXT) | instid1(VALU_DEP_2)
	v_cvt_f64_f32_e32 v[4:5], v4
	v_mov_b32_e32 v7, v6
	global_store_b128 v[0:1], v[4:7], off
.LBB102_417:
	s_and_not1_b32 vcc_lo, exec_lo, s0
	s_cbranch_vccnz .LBB102_419
; %bb.418:
	v_cvt_f32_f16_e32 v4, s7
	v_mov_b32_e32 v5, 0
	global_store_b64 v[0:1], v[4:5], off
.LBB102_419:
	s_mov_b32 s0, 0
.LBB102_420:
	s_delay_alu instid0(SALU_CYCLE_1)
	s_and_not1_b32 vcc_lo, exec_lo, s0
	s_cbranch_vccnz .LBB102_422
; %bb.421:
	s_and_b32 s0, 0xffff, s7
	s_delay_alu instid0(SALU_CYCLE_1)
	v_mov_b32_e32 v4, s0
	global_store_b32 v[0:1], v4, off
.LBB102_422:
	s_mov_b32 s0, 0
.LBB102_423:
	s_delay_alu instid0(SALU_CYCLE_1)
	s_and_not1_b32 vcc_lo, exec_lo, s0
	s_cbranch_vccnz .LBB102_432
; %bb.424:
	v_cmp_gt_i16_e32 vcc_lo, 6, v2
	s_mov_b32 s0, -1
	s_cbranch_vccnz .LBB102_430
; %bb.425:
	v_cmp_lt_i16_e32 vcc_lo, 6, v2
	s_cbranch_vccz .LBB102_427
; %bb.426:
	v_cvt_f32_f16_e32 v4, s7
	s_mov_b32 s0, 0
	s_delay_alu instid0(VALU_DEP_1)
	v_cvt_f64_f32_e32 v[4:5], v4
	global_store_b64 v[0:1], v[4:5], off
.LBB102_427:
	s_and_not1_b32 vcc_lo, exec_lo, s0
	s_cbranch_vccnz .LBB102_429
; %bb.428:
	v_cvt_f32_f16_e32 v4, s7
	global_store_b32 v[0:1], v4, off
.LBB102_429:
	s_mov_b32 s0, 0
.LBB102_430:
	s_delay_alu instid0(SALU_CYCLE_1)
	s_and_not1_b32 vcc_lo, exec_lo, s0
	s_cbranch_vccnz .LBB102_432
; %bb.431:
	v_mov_b32_e32 v4, s7
	global_store_b16 v[0:1], v4, off
.LBB102_432:
	s_mov_b32 s0, 0
.LBB102_433:
	s_delay_alu instid0(SALU_CYCLE_1)
	s_and_not1_b32 vcc_lo, exec_lo, s0
	s_cbranch_vccnz .LBB102_449
; %bb.434:
	v_cmp_gt_i16_e32 vcc_lo, 2, v2
	s_mov_b32 s0, -1
	s_cbranch_vccnz .LBB102_444
; %bb.435:
	v_cmp_gt_i16_e32 vcc_lo, 3, v2
	s_cbranch_vccnz .LBB102_441
; %bb.436:
	v_cmp_lt_i16_e32 vcc_lo, 3, v2
	s_cbranch_vccz .LBB102_438
; %bb.437:
	v_cvt_f32_f16_e32 v4, s7
	s_mov_b32 s0, 0
	s_delay_alu instid0(VALU_DEP_1) | instskip(NEXT) | instid1(VALU_DEP_1)
	v_cvt_i32_f32_e32 v4, v4
	v_ashrrev_i32_e32 v5, 31, v4
	global_store_b64 v[0:1], v[4:5], off
.LBB102_438:
	s_and_not1_b32 vcc_lo, exec_lo, s0
	s_cbranch_vccnz .LBB102_440
; %bb.439:
	v_cvt_f32_f16_e32 v4, s7
	s_delay_alu instid0(VALU_DEP_1)
	v_cvt_i32_f32_e32 v4, v4
	global_store_b32 v[0:1], v4, off
.LBB102_440:
	s_mov_b32 s0, 0
.LBB102_441:
	s_delay_alu instid0(SALU_CYCLE_1)
	s_and_not1_b32 vcc_lo, exec_lo, s0
	s_cbranch_vccnz .LBB102_443
; %bb.442:
	v_cvt_i16_f16_e32 v4, s7
	global_store_b16 v[0:1], v4, off
.LBB102_443:
	s_mov_b32 s0, 0
.LBB102_444:
	s_delay_alu instid0(SALU_CYCLE_1)
	s_and_not1_b32 vcc_lo, exec_lo, s0
	s_cbranch_vccnz .LBB102_449
; %bb.445:
	v_cmp_lt_i16_e32 vcc_lo, 0, v2
	s_mov_b32 s0, -1
	s_cbranch_vccz .LBB102_447
; %bb.446:
	v_cvt_i16_f16_e32 v4, s7
	s_mov_b32 s0, 0
	global_store_b8 v[0:1], v4, off
.LBB102_447:
	s_and_not1_b32 vcc_lo, exec_lo, s0
	s_cbranch_vccnz .LBB102_449
; %bb.448:
	v_cvt_f32_f16_e32 v4, s7
	s_delay_alu instid0(VALU_DEP_1)
	v_cvt_i32_f32_e32 v4, v4
	global_store_b8 v[0:1], v4, off
.LBB102_449:
	s_branch .LBB102_616
.LBB102_450:
	s_cbranch_execnz .LBB102_452
; %bb.451:
	s_or_b32 s3, s1, exec_lo
	s_cbranch_execz .LBB102_380
	s_branch .LBB102_381
.LBB102_452:
	s_trap 2
	s_sendmsg_rtn_b32 s0, sendmsg(MSG_RTN_GET_DOORBELL)
	s_mov_b32 ttmp2, m0
	s_waitcnt lgkmcnt(0)
	s_and_b32 s0, s0, 0x3ff
	s_delay_alu instid0(SALU_CYCLE_1) | instskip(NEXT) | instid1(SALU_CYCLE_1)
	s_bitset1_b32 s0, 10
	s_mov_b32 m0, s0
	s_sendmsg sendmsg(MSG_INTERRUPT)
	s_mov_b32 m0, ttmp2
.LBB102_453:                            ; =>This Inner Loop Header: Depth=1
	s_sethalt 5
	s_branch .LBB102_453
.LBB102_454:
	s_mov_b32 s11, -1
	s_mov_b32 s10, 0
                                        ; implicit-def: $sgpr12
.LBB102_455:
	v_mov_b32_e32 v4, s12
	s_and_not1_b32 vcc_lo, exec_lo, s11
                                        ; implicit-def: $sgpr11
	s_cbranch_vccnz .LBB102_457
; %bb.456:
	v_add_f32_e64 v4, 0x46000000, |s9|
	s_mov_b32 s11, 0
	s_delay_alu instid0(VALU_DEP_1) | instskip(NEXT) | instid1(VALU_DEP_1)
	v_and_b32_e32 v4, 0xff, v4
	v_cmp_ne_u32_e64 s10, 0, v4
.LBB102_457:
	v_mov_b32_e32 v5, s11
	s_delay_alu instid0(VALU_DEP_2)
	s_and_not1_b32 vcc_lo, exec_lo, s10
	s_cbranch_vccnz .LBB102_459
; %bb.458:
	s_lshr_b32 s9, s9, 24
	s_delay_alu instid0(SALU_CYCLE_1) | instskip(NEXT) | instid1(SALU_CYCLE_1)
	s_and_b32 s9, s9, 0x80
	v_or_b32_e32 v5, s9, v4
.LBB102_459:
	global_store_b8 v[0:1], v5, off
.LBB102_460:
	s_mov_b32 s9, -1
.LBB102_461:
	s_mov_b32 s10, 0
.LBB102_462:
	s_delay_alu instid0(SALU_CYCLE_1)
	s_and_b32 vcc_lo, exec_lo, s10
	s_cbranch_vccz .LBB102_611
; %bb.463:
	v_cmp_lt_i16_e32 vcc_lo, 22, v2
	s_mov_b32 s8, -1
	s_cbranch_vccz .LBB102_604
; %bb.464:
	v_cmp_gt_i16_e32 vcc_lo, 24, v2
	s_cbranch_vccnz .LBB102_591
; %bb.465:
	v_cmp_lt_i16_e32 vcc_lo, 24, v2
	s_cbranch_vccz .LBB102_578
; %bb.466:
	v_cvt_f32_f16_e32 v4, s7
	v_mov_b32_e32 v5, 0x80
	s_delay_alu instid0(VALU_DEP_2) | instskip(NEXT) | instid1(VALU_DEP_1)
	v_readfirstlane_b32 s8, v4
	s_and_b32 s9, s8, 0x7fffffff
	s_delay_alu instid0(SALU_CYCLE_1)
	s_cmp_gt_u32 s9, 0x477fffff
	s_cbranch_scc1 .LBB102_577
; %bb.467:
	s_cmp_gt_u32 s9, 0x37ffffff
	s_cbranch_scc0 .LBB102_572
; %bb.468:
	s_bfe_u32 s9, s8, 0x10015
	s_mov_b32 s10, 0
	s_add_i32 s9, s8, s9
	s_delay_alu instid0(SALU_CYCLE_1) | instskip(NEXT) | instid1(SALU_CYCLE_1)
	s_add_i32 s9, s9, 0x88fffff
	s_lshr_b32 s11, s9, 21
	s_mov_b32 s9, -1
	s_branch .LBB102_573
.LBB102_469:
	s_mov_b32 s36, -1
	s_mov_b32 s35, 0
	s_mov_b32 s1, s31
.LBB102_470:
	s_and_b32 vcc_lo, exec_lo, s36
	s_cbranch_vccz .LBB102_473
; %bb.471:
	v_cmp_eq_u16_e32 vcc_lo, 44, v21
	s_mov_b32 s1, -1
	s_cbranch_vccz .LBB102_473
; %bb.472:
	v_cndmask_b32_e64 v2, v20, 0xff, s0
	s_mov_b32 s35, -1
	s_mov_b32 s1, 0
	global_store_b8 v[10:11], v2, off
.LBB102_473:
	s_mov_b32 s36, 0
.LBB102_474:
	s_delay_alu instid0(SALU_CYCLE_1)
	s_and_b32 vcc_lo, exec_lo, s36
	s_cbranch_vccz .LBB102_477
; %bb.475:
	v_cmp_eq_u16_e32 vcc_lo, 29, v21
	s_mov_b32 s1, -1
	s_cbranch_vccz .LBB102_477
; %bb.476:
	s_mov_b32 s35, -1
	s_mov_b32 s1, 0
	global_store_b64 v[10:11], v[8:9], off
.LBB102_477:
	s_mov_b32 s36, 0
.LBB102_478:
	s_delay_alu instid0(SALU_CYCLE_1)
	s_and_b32 vcc_lo, exec_lo, s36
	s_cbranch_vccz .LBB102_491
; %bb.479:
	v_cmp_gt_i16_e32 vcc_lo, 27, v21
	s_mov_b32 s35, -1
	s_cbranch_vccnz .LBB102_485
; %bb.480:
	v_cmp_lt_i16_e32 vcc_lo, 27, v21
	s_cbranch_vccz .LBB102_482
; %bb.481:
	s_mov_b32 s35, 0
	global_store_b32 v[10:11], v8, off
.LBB102_482:
	s_and_not1_b32 vcc_lo, exec_lo, s35
	s_cbranch_vccnz .LBB102_484
; %bb.483:
	global_store_b16 v[10:11], v18, off
.LBB102_484:
	s_mov_b32 s35, 0
.LBB102_485:
	s_delay_alu instid0(SALU_CYCLE_1)
	s_and_not1_b32 vcc_lo, exec_lo, s35
	s_cbranch_vccnz .LBB102_490
; %bb.486:
	v_mov_b32_e32 v2, 0x80
	s_and_not1_b32 vcc_lo, exec_lo, s26
	s_cbranch_vccnz .LBB102_489
; %bb.487:
	v_mov_b32_e32 v2, 0
	s_or_b32 s35, s21, s27
	s_delay_alu instid0(SALU_CYCLE_1)
	s_and_not1_b32 vcc_lo, exec_lo, s35
	s_cbranch_vccnz .LBB102_489
; %bb.488:
	v_cndmask_b32_e64 v2, v17, s25, s21
	s_delay_alu instid0(VALU_DEP_1)
	v_or_b32_e32 v2, v2, v16
.LBB102_489:
	global_store_b8 v[10:11], v2, off
.LBB102_490:
	s_mov_b32 s35, -1
.LBB102_491:
	s_mov_b32 s36, 0
.LBB102_492:
	s_delay_alu instid0(SALU_CYCLE_1)
	s_and_b32 vcc_lo, exec_lo, s36
	s_cbranch_vccz .LBB102_514
; %bb.493:
	v_cmp_lt_i16_e32 vcc_lo, 22, v21
	s_mov_b32 s36, -1
	s_cbranch_vccz .LBB102_506
; %bb.494:
	v_cmp_gt_i16_e32 vcc_lo, 24, v21
	s_mov_b32 s35, -1
	s_cbranch_vccnz .LBB102_503
; %bb.495:
	v_cmp_lt_i16_e32 vcc_lo, 24, v21
	s_cbranch_vccz .LBB102_500
; %bb.496:
	v_mov_b32_e32 v2, 0x80
	s_and_not1_b32 vcc_lo, exec_lo, s13
	s_cbranch_vccnz .LBB102_499
; %bb.497:
	v_mov_b32_e32 v2, 0
	s_or_b32 s35, s11, s23
	s_delay_alu instid0(SALU_CYCLE_1)
	s_and_not1_b32 vcc_lo, exec_lo, s35
	s_cbranch_vccnz .LBB102_499
; %bb.498:
	v_cndmask_b32_e64 v2, v14, s12, s11
	s_delay_alu instid0(VALU_DEP_1)
	v_or_b32_e32 v2, v2, v16
.LBB102_499:
	s_mov_b32 s35, 0
	global_store_b8 v[10:11], v2, off
.LBB102_500:
	s_and_b32 vcc_lo, exec_lo, s35
	s_cbranch_vccz .LBB102_502
; %bb.501:
	s_and_b32 s35, s17, exec_lo
	s_cselect_b32 s35, s24, s19
	s_and_b32 s36, s16, exec_lo
	s_cselect_b32 s35, s22, s35
	s_delay_alu instid0(SALU_CYCLE_1)
	v_or_b32_e32 v2, s35, v16
	global_store_b8 v[10:11], v2, off
.LBB102_502:
	s_mov_b32 s35, 0
.LBB102_503:
	s_delay_alu instid0(SALU_CYCLE_1)
	s_and_not1_b32 vcc_lo, exec_lo, s35
	s_cbranch_vccnz .LBB102_505
; %bb.504:
	s_and_b32 s35, s14, exec_lo
	s_cselect_b32 s35, s18, s15
	s_and_b32 s36, s10, exec_lo
	s_cselect_b32 s35, s20, s35
	s_delay_alu instid0(SALU_CYCLE_1)
	v_or_b32_e32 v2, s35, v16
	global_store_b8 v[10:11], v2, off
.LBB102_505:
	s_mov_b32 s36, 0
	s_mov_b32 s35, -1
.LBB102_506:
	s_and_not1_b32 vcc_lo, exec_lo, s36
	s_cbranch_vccnz .LBB102_514
; %bb.507:
	v_cmp_lt_i16_e32 vcc_lo, 14, v21
	s_mov_b32 s36, -1
	s_cbranch_vccz .LBB102_511
; %bb.508:
	v_cmp_eq_u16_e32 vcc_lo, 15, v21
	s_mov_b32 s1, -1
	s_cbranch_vccz .LBB102_510
; %bb.509:
	s_mov_b32 s35, -1
	s_mov_b32 s1, 0
	global_store_b16 v[10:11], v15, off
.LBB102_510:
	s_mov_b32 s36, 0
.LBB102_511:
	s_delay_alu instid0(SALU_CYCLE_1)
	s_and_b32 vcc_lo, exec_lo, s36
	s_cbranch_vccz .LBB102_514
; %bb.512:
	v_cmp_eq_u16_e32 vcc_lo, 11, v21
	s_mov_b32 s1, -1
	s_cbranch_vccz .LBB102_514
; %bb.513:
	s_mov_b32 s35, -1
	s_mov_b32 s1, 0
	global_store_b8 v[10:11], v13, off
.LBB102_514:
	s_mov_b32 s36, 0
.LBB102_515:
	s_delay_alu instid0(SALU_CYCLE_1)
	s_and_b32 vcc_lo, exec_lo, s36
	s_cbranch_vccz .LBB102_554
; %bb.516:
	v_cmp_gt_i16_e32 vcc_lo, 5, v21
	s_mov_b32 s35, -1
	s_cbranch_vccnz .LBB102_537
; %bb.517:
	v_cmp_gt_i16_e32 vcc_lo, 8, v21
	s_cbranch_vccnz .LBB102_527
; %bb.518:
	v_cmp_gt_i16_e32 vcc_lo, 9, v21
	s_cbranch_vccnz .LBB102_524
; %bb.519:
	v_cmp_lt_i16_e32 vcc_lo, 9, v21
	s_cbranch_vccz .LBB102_521
; %bb.520:
	v_mov_b32_e32 v2, 0
	s_mov_b32 s35, 0
	s_delay_alu instid0(VALU_DEP_1)
	v_mov_b32_e32 v3, v2
	global_store_b128 v[10:11], v[0:3], off
.LBB102_521:
	s_and_not1_b32 vcc_lo, exec_lo, s35
	s_cbranch_vccnz .LBB102_523
; %bb.522:
	v_mov_b32_e32 v7, 0
	global_store_b64 v[10:11], v[6:7], off
.LBB102_523:
	s_mov_b32 s35, 0
.LBB102_524:
	s_delay_alu instid0(SALU_CYCLE_1)
	s_and_not1_b32 vcc_lo, exec_lo, s35
	s_cbranch_vccnz .LBB102_526
; %bb.525:
	v_mov_b32_e32 v2, s9
	global_store_b32 v[10:11], v2, off
.LBB102_526:
	s_mov_b32 s35, 0
.LBB102_527:
	s_delay_alu instid0(SALU_CYCLE_1)
	s_and_not1_b32 vcc_lo, exec_lo, s35
	s_cbranch_vccnz .LBB102_536
; %bb.528:
	v_cmp_gt_i16_e32 vcc_lo, 6, v21
	s_mov_b32 s35, -1
	s_cbranch_vccnz .LBB102_534
; %bb.529:
	v_cmp_lt_i16_e32 vcc_lo, 6, v21
	s_cbranch_vccz .LBB102_531
; %bb.530:
	s_mov_b32 s35, 0
	global_store_b64 v[10:11], v[0:1], off
.LBB102_531:
	s_and_not1_b32 vcc_lo, exec_lo, s35
	s_cbranch_vccnz .LBB102_533
; %bb.532:
	global_store_b32 v[10:11], v6, off
.LBB102_533:
	s_mov_b32 s35, 0
.LBB102_534:
	s_delay_alu instid0(SALU_CYCLE_1)
	s_and_not1_b32 vcc_lo, exec_lo, s35
	s_cbranch_vccnz .LBB102_536
; %bb.535:
	v_mov_b32_e32 v2, s7
	global_store_b16 v[10:11], v2, off
.LBB102_536:
	s_mov_b32 s35, 0
.LBB102_537:
	s_delay_alu instid0(SALU_CYCLE_1)
	s_and_not1_b32 vcc_lo, exec_lo, s35
	s_cbranch_vccnz .LBB102_553
; %bb.538:
	v_cmp_gt_i16_e32 vcc_lo, 2, v21
	s_mov_b32 s35, -1
	s_cbranch_vccnz .LBB102_548
; %bb.539:
	v_cmp_gt_i16_e32 vcc_lo, 3, v21
	s_cbranch_vccnz .LBB102_545
; %bb.540:
	v_cmp_lt_i16_e32 vcc_lo, 3, v21
	s_cbranch_vccz .LBB102_542
; %bb.541:
	s_mov_b32 s35, 0
	global_store_b64 v[10:11], v[4:5], off
.LBB102_542:
	s_and_not1_b32 vcc_lo, exec_lo, s35
	s_cbranch_vccnz .LBB102_544
; %bb.543:
	global_store_b32 v[10:11], v4, off
.LBB102_544:
	s_mov_b32 s35, 0
.LBB102_545:
	s_delay_alu instid0(SALU_CYCLE_1)
	s_and_not1_b32 vcc_lo, exec_lo, s35
	s_cbranch_vccnz .LBB102_547
; %bb.546:
	global_store_b16 v[10:11], v12, off
.LBB102_547:
	s_mov_b32 s35, 0
.LBB102_548:
	s_delay_alu instid0(SALU_CYCLE_1)
	s_and_not1_b32 vcc_lo, exec_lo, s35
	s_cbranch_vccnz .LBB102_553
; %bb.549:
	v_cmp_lt_i16_e32 vcc_lo, 0, v21
	s_mov_b32 s35, -1
	s_cbranch_vccz .LBB102_551
; %bb.550:
	s_mov_b32 s35, 0
	global_store_b8 v[10:11], v12, off
.LBB102_551:
	s_and_not1_b32 vcc_lo, exec_lo, s35
	s_cbranch_vccnz .LBB102_553
; %bb.552:
	global_store_b8 v[10:11], v4, off
.LBB102_553:
	s_mov_b32 s35, -1
.LBB102_554:
	s_delay_alu instid0(SALU_CYCLE_1)
	s_and_not1_b32 vcc_lo, exec_lo, s35
	s_cbranch_vccnz .LBB102_556
; %bb.555:
	v_add_nc_u32_e32 v19, 0x80, v19
	s_mov_b32 s36, -1
	s_branch .LBB102_557
.LBB102_556:
	s_mov_b32 s36, 0
                                        ; implicit-def: $vgpr19
.LBB102_557:
	s_and_not1_b32 s35, s31, exec_lo
	s_and_b32 s1, s1, exec_lo
	s_or_not1_b32 s37, s36, exec_lo
	s_or_b32 s35, s35, s1
.LBB102_558:
	s_or_b32 exec_lo, exec_lo, s34
	s_mov_b32 s1, 0
	s_mov_b32 s36, 0
                                        ; implicit-def: $vgpr21
                                        ; implicit-def: $vgpr10_vgpr11
	s_and_saveexec_b32 s34, s37
	s_cbranch_execz .LBB102_789
; %bb.559:
	v_cmp_gt_i32_e32 vcc_lo, s28, v19
	s_mov_b32 s37, s35
                                        ; implicit-def: $vgpr21
                                        ; implicit-def: $vgpr10_vgpr11
	s_and_saveexec_b32 s28, vcc_lo
	s_cbranch_execz .LBB102_788
; %bb.560:
	v_mul_lo_u32 v2, v19, s6
	v_and_b32_e64 v21, 0xff, s8
	s_delay_alu instid0(VALU_DEP_1) | instskip(NEXT) | instid1(VALU_DEP_3)
	v_cmp_gt_i16_e32 vcc_lo, 11, v21
	v_ashrrev_i32_e32 v3, 31, v2
	v_add_co_u32 v10, s1, s4, v2
	s_delay_alu instid0(VALU_DEP_1)
	v_add_co_ci_u32_e64 v11, s1, s5, v3, s1
	s_cbranch_vccnz .LBB102_571
; %bb.561:
	v_cmp_lt_i16_e32 vcc_lo, 25, v21
	s_mov_b32 s36, -1
	s_mov_b32 s1, s35
	s_cbranch_vccz .LBB102_765
; %bb.562:
	v_cmp_lt_i16_e32 vcc_lo, 28, v21
	s_mov_b32 s1, s35
	s_cbranch_vccz .LBB102_752
; %bb.563:
	v_cmp_lt_i16_e32 vcc_lo, 43, v21
	;; [unrolled: 4-line block ×3, first 2 shown]
	s_mov_b32 s1, s35
	s_cbranch_vccz .LBB102_568
; %bb.565:
	v_cmp_eq_u16_e32 vcc_lo, 46, v21
	s_mov_b32 s1, -1
	s_cbranch_vccz .LBB102_567
; %bb.566:
	s_mov_b32 s1, 0
	global_store_b32 v[10:11], v15, off
.LBB102_567:
	s_mov_b32 s36, 0
.LBB102_568:
	s_delay_alu instid0(SALU_CYCLE_1)
	s_and_b32 vcc_lo, exec_lo, s36
	s_cbranch_vccz .LBB102_747
; %bb.569:
	v_cmp_eq_u16_e32 vcc_lo, 44, v21
	s_mov_b32 s1, -1
	s_cbranch_vccz .LBB102_747
; %bb.570:
	v_cndmask_b32_e64 v2, v20, 0xff, s0
	s_mov_b32 s1, 0
	s_mov_b32 s36, 0
	global_store_b8 v[10:11], v2, off
	s_branch .LBB102_748
.LBB102_571:
	s_mov_b32 s10, 0
	s_mov_b32 s0, -1
	s_mov_b32 s1, s35
	s_branch .LBB102_787
.LBB102_572:
	s_mov_b32 s10, -1
	s_mov_b32 s9, 0
                                        ; implicit-def: $sgpr11
.LBB102_573:
	v_mov_b32_e32 v4, s11
	s_and_not1_b32 vcc_lo, exec_lo, s10
                                        ; implicit-def: $sgpr10
	s_cbranch_vccnz .LBB102_575
; %bb.574:
	v_add_f32_e64 v4, 0x42800000, |s8|
	s_mov_b32 s10, 0
	s_delay_alu instid0(VALU_DEP_1) | instskip(NEXT) | instid1(VALU_DEP_1)
	v_and_b32_e32 v4, 0xff, v4
	v_cmp_ne_u32_e64 s9, 0, v4
.LBB102_575:
	v_mov_b32_e32 v5, s10
	s_delay_alu instid0(VALU_DEP_2)
	s_and_not1_b32 vcc_lo, exec_lo, s9
	s_cbranch_vccnz .LBB102_577
; %bb.576:
	s_lshr_b32 s8, s8, 24
	s_delay_alu instid0(SALU_CYCLE_1) | instskip(NEXT) | instid1(SALU_CYCLE_1)
	s_and_b32 s8, s8, 0x80
	v_or_b32_e32 v5, s8, v4
.LBB102_577:
	s_mov_b32 s8, 0
	global_store_b8 v[0:1], v5, off
.LBB102_578:
	s_and_b32 vcc_lo, exec_lo, s8
	s_cbranch_vccz .LBB102_590
; %bb.579:
	v_cvt_f32_f16_e32 v4, s7
	s_delay_alu instid0(VALU_DEP_1) | instskip(NEXT) | instid1(VALU_DEP_1)
	v_readfirstlane_b32 s8, v4
	s_and_b32 s9, s8, 0x7fffffff
	s_delay_alu instid0(SALU_CYCLE_1)
	s_cmp_lt_u32 s9, 0x43f00000
	s_cbranch_scc0 .LBB102_582
; %bb.580:
	s_cmp_gt_u32 s9, 0x3c7fffff
	s_cbranch_scc0 .LBB102_583
; %bb.581:
	s_bfe_u32 s10, s8, 0x10014
	s_delay_alu instid0(SALU_CYCLE_1) | instskip(NEXT) | instid1(SALU_CYCLE_1)
	s_add_i32 s10, s8, s10
	s_add_i32 s10, s10, 0x407ffff
	s_delay_alu instid0(SALU_CYCLE_1)
	s_and_b32 s11, s10, 0xff00000
	s_lshr_b32 s10, s10, 20
	s_cmp_lg_u32 s11, 0x7f00000
	s_cselect_b32 s11, s10, 0x7e
	s_mov_b32 s10, 0
	s_branch .LBB102_584
.LBB102_582:
	s_mov_b32 s10, -1
                                        ; implicit-def: $vgpr5
	s_branch .LBB102_587
.LBB102_583:
	s_mov_b32 s10, -1
                                        ; implicit-def: $sgpr11
.LBB102_584:
	v_mov_b32_e32 v5, s11
	s_and_not1_b32 vcc_lo, exec_lo, s10
	s_cbranch_vccnz .LBB102_586
; %bb.585:
	v_add_f32_e64 v5, 0x46800000, |v4|
.LBB102_586:
	s_mov_b32 s10, 0
.LBB102_587:
	s_delay_alu instid0(SALU_CYCLE_1)
	s_and_not1_b32 vcc_lo, exec_lo, s10
	s_cbranch_vccnz .LBB102_589
; %bb.588:
	s_cmp_gt_u32 s9, 0x7f800000
	s_movk_i32 s9, 0x7f
	s_delay_alu instid0(SALU_CYCLE_1) | instskip(NEXT) | instid1(SALU_CYCLE_1)
	s_cselect_b32 s9, s9, 0x7e
	v_mov_b32_e32 v5, s9
.LBB102_589:
	s_lshr_b32 s8, s8, 24
	s_delay_alu instid0(SALU_CYCLE_1)
	s_and_b32 s8, s8, 0x80
	s_delay_alu instid0(VALU_DEP_1) | instid1(SALU_CYCLE_1)
	v_or_b32_e32 v4, s8, v5
	global_store_b8 v[0:1], v4, off
.LBB102_590:
	s_mov_b32 s8, 0
.LBB102_591:
	s_delay_alu instid0(SALU_CYCLE_1)
	s_and_not1_b32 vcc_lo, exec_lo, s8
	s_cbranch_vccnz .LBB102_603
; %bb.592:
	v_cvt_f32_f16_e32 v4, s7
	s_delay_alu instid0(VALU_DEP_1) | instskip(NEXT) | instid1(VALU_DEP_1)
	v_readfirstlane_b32 s8, v4
	s_and_b32 s9, s8, 0x7fffffff
	s_delay_alu instid0(SALU_CYCLE_1)
	s_cmp_lt_u32 s9, 0x47800000
	s_cbranch_scc0 .LBB102_595
; %bb.593:
	s_cmp_gt_u32 s9, 0x387fffff
	s_cbranch_scc0 .LBB102_596
; %bb.594:
	s_bfe_u32 s10, s8, 0x10015
	s_delay_alu instid0(SALU_CYCLE_1) | instskip(NEXT) | instid1(SALU_CYCLE_1)
	s_add_i32 s10, s8, s10
	s_add_i32 s10, s10, 0x80fffff
	s_delay_alu instid0(SALU_CYCLE_1)
	s_lshr_b32 s11, s10, 21
	s_mov_b32 s10, 0
	s_branch .LBB102_597
.LBB102_595:
	s_mov_b32 s10, -1
                                        ; implicit-def: $vgpr5
	s_branch .LBB102_600
.LBB102_596:
	s_mov_b32 s10, -1
                                        ; implicit-def: $sgpr11
.LBB102_597:
	v_mov_b32_e32 v5, s11
	s_and_not1_b32 vcc_lo, exec_lo, s10
	s_cbranch_vccnz .LBB102_599
; %bb.598:
	v_add_f32_e64 v5, 0x43000000, |v4|
.LBB102_599:
	s_mov_b32 s10, 0
.LBB102_600:
	s_delay_alu instid0(SALU_CYCLE_1)
	s_and_not1_b32 vcc_lo, exec_lo, s10
	s_cbranch_vccnz .LBB102_602
; %bb.601:
	s_cmp_gt_u32 s9, 0x7f800000
	s_movk_i32 s9, 0x7f
	s_delay_alu instid0(SALU_CYCLE_1) | instskip(NEXT) | instid1(SALU_CYCLE_1)
	s_cselect_b32 s9, s9, 0x7c
	v_mov_b32_e32 v5, s9
.LBB102_602:
	s_lshr_b32 s8, s8, 24
	s_delay_alu instid0(SALU_CYCLE_1)
	s_and_b32 s8, s8, 0x80
	s_delay_alu instid0(VALU_DEP_1) | instid1(SALU_CYCLE_1)
	v_or_b32_e32 v4, s8, v5
	global_store_b8 v[0:1], v4, off
.LBB102_603:
	s_mov_b32 s8, 0
	s_mov_b32 s9, -1
.LBB102_604:
	s_and_not1_b32 vcc_lo, exec_lo, s8
	s_mov_b32 s8, 0
	s_cbranch_vccnz .LBB102_611
; %bb.605:
	v_cmp_lt_i16_e32 vcc_lo, 14, v2
	s_mov_b32 s8, -1
	s_cbranch_vccz .LBB102_609
; %bb.606:
	v_cmp_eq_u16_e32 vcc_lo, 15, v2
	s_mov_b32 s0, -1
	s_cbranch_vccz .LBB102_608
; %bb.607:
	v_cvt_f32_f16_e32 v4, s7
	v_cmp_o_f16_e64 vcc_lo, s7, s7
	s_mov_b32 s0, 0
	s_mov_b32 s9, -1
	s_delay_alu instid0(VALU_DEP_2) | instskip(NEXT) | instid1(VALU_DEP_1)
	v_bfe_u32 v5, v4, 16, 1
	v_add_nc_u32_e32 v4, v4, v5
	s_delay_alu instid0(VALU_DEP_1) | instskip(NEXT) | instid1(VALU_DEP_1)
	v_add_nc_u32_e32 v4, 0x7fff, v4
	v_lshrrev_b32_e32 v4, 16, v4
	s_delay_alu instid0(VALU_DEP_1)
	v_cndmask_b32_e32 v4, 0x7fc0, v4, vcc_lo
	global_store_b16 v[0:1], v4, off
.LBB102_608:
	s_mov_b32 s8, 0
.LBB102_609:
	s_delay_alu instid0(SALU_CYCLE_1)
	s_and_b32 vcc_lo, exec_lo, s8
	s_mov_b32 s8, 0
	s_cbranch_vccz .LBB102_611
; %bb.610:
	v_cmp_ne_u16_e64 s0, 11, v2
	s_mov_b32 s8, -1
.LBB102_611:
	s_delay_alu instid0(VALU_DEP_1)
	s_and_b32 vcc_lo, exec_lo, s0
	s_cbranch_vccnz .LBB102_728
; %bb.612:
	s_and_not1_b32 vcc_lo, exec_lo, s8
	s_cbranch_vccnz .LBB102_614
.LBB102_613:
	v_and_b32_e64 v4, 0x7fff, s7
	s_mov_b32 s9, -1
	s_delay_alu instid0(VALU_DEP_1)
	v_cmp_ne_u16_e32 vcc_lo, 0, v4
	v_cndmask_b32_e64 v4, 0, 1, vcc_lo
	global_store_b8 v[0:1], v4, off
.LBB102_614:
.LBB102_615:
	s_and_not1_b32 vcc_lo, exec_lo, s9
	s_cbranch_vccnz .LBB102_683
.LBB102_616:
	v_add_nc_u32_e32 v3, s6, v3
	v_cmp_gt_i16_e32 vcc_lo, 11, v2
	s_delay_alu instid0(VALU_DEP_2) | instskip(SKIP_1) | instid1(VALU_DEP_1)
	v_ashrrev_i32_e32 v1, 31, v3
	v_add_co_u32 v0, s0, s4, v3
	v_add_co_ci_u32_e64 v1, s0, s5, v1, s0
	s_cbranch_vccnz .LBB102_644
; %bb.617:
	v_cmp_lt_i16_e32 vcc_lo, 25, v2
	s_mov_b32 s10, -1
	s_mov_b32 s8, 0
	s_mov_b32 s9, 0
	;; [unrolled: 1-line block ×3, first 2 shown]
	s_cbranch_vccz .LBB102_740
; %bb.618:
	v_cmp_lt_i16_e32 vcc_lo, 28, v2
	s_cbranch_vccz .LBB102_633
; %bb.619:
	v_cmp_lt_i16_e32 vcc_lo, 43, v2
	;; [unrolled: 3-line block ×3, first 2 shown]
	s_cbranch_vccz .LBB102_623
; %bb.621:
	v_cmp_eq_u16_e32 vcc_lo, 46, v2
	s_mov_b32 s0, -1
	s_mov_b32 s10, 0
	s_cbranch_vccz .LBB102_623
; %bb.622:
	v_cvt_f32_f16_e32 v4, s7
	v_cmp_o_f16_e64 vcc_lo, s7, s7
	s_mov_b32 s0, 0
	s_mov_b32 s9, -1
	s_delay_alu instid0(VALU_DEP_2) | instskip(NEXT) | instid1(VALU_DEP_1)
	v_bfe_u32 v5, v4, 16, 1
	v_add_nc_u32_e32 v4, v4, v5
	s_delay_alu instid0(VALU_DEP_1) | instskip(NEXT) | instid1(VALU_DEP_1)
	v_add_nc_u32_e32 v4, 0x7fff, v4
	v_lshrrev_b32_e32 v4, 16, v4
	s_delay_alu instid0(VALU_DEP_1)
	v_cndmask_b32_e32 v4, 0x7fc0, v4, vcc_lo
	global_store_b32 v[0:1], v4, off
.LBB102_623:
	s_and_b32 vcc_lo, exec_lo, s10
	s_cbranch_vccz .LBB102_628
; %bb.624:
	v_cmp_eq_u16_e32 vcc_lo, 44, v2
	s_mov_b32 s0, -1
	s_cbranch_vccz .LBB102_628
; %bb.625:
	v_cvt_f32_f16_e32 v4, s7
	v_mov_b32_e32 v5, 0xff
	s_delay_alu instid0(VALU_DEP_2) | instskip(NEXT) | instid1(VALU_DEP_1)
	v_readfirstlane_b32 s0, v4
	s_bfe_u32 s9, s0, 0x80017
	s_delay_alu instid0(SALU_CYCLE_1)
	s_cmpk_eq_i32 s9, 0xff
	s_cbranch_scc1 .LBB102_627
; %bb.626:
	s_bitcmp1_b32 s0, 22
	v_lshrrev_b32_e32 v4, 23, v4
	s_cselect_b32 s10, -1, 0
	s_and_b32 s0, s0, 0x3fffff
	s_delay_alu instid0(SALU_CYCLE_1) | instskip(NEXT) | instid1(SALU_CYCLE_1)
	s_or_b32 s0, s9, s0
	s_cmp_lg_u32 s0, 0
	s_cselect_b32 s0, -1, 0
	s_delay_alu instid0(SALU_CYCLE_1) | instskip(NEXT) | instid1(SALU_CYCLE_1)
	s_and_b32 s0, s10, s0
	v_cndmask_b32_e64 v5, 0, 1, s0
	s_delay_alu instid0(VALU_DEP_1)
	v_add_nc_u32_e32 v5, v4, v5
.LBB102_627:
	s_mov_b32 s0, 0
	s_mov_b32 s9, -1
	global_store_b8 v[0:1], v5, off
.LBB102_628:
	s_mov_b32 s10, 0
.LBB102_629:
	s_delay_alu instid0(SALU_CYCLE_1)
	s_and_b32 vcc_lo, exec_lo, s10
	s_cbranch_vccz .LBB102_632
; %bb.630:
	v_cmp_eq_u16_e32 vcc_lo, 29, v2
	s_mov_b32 s0, -1
	s_cbranch_vccz .LBB102_632
; %bb.631:
	v_cvt_f32_f16_e32 v4, s7
	v_mov_b32_e32 v5, 0
	s_mov_b32 s0, 0
	s_mov_b32 s9, -1
	s_delay_alu instid0(VALU_DEP_2)
	v_cvt_u32_f32_e32 v4, v4
	global_store_b64 v[0:1], v[4:5], off
.LBB102_632:
	s_mov_b32 s10, 0
.LBB102_633:
	s_delay_alu instid0(SALU_CYCLE_1)
	s_and_b32 vcc_lo, exec_lo, s10
	s_cbranch_vccz .LBB102_739
; %bb.634:
	v_cmp_gt_i16_e32 vcc_lo, 27, v2
	s_mov_b32 s9, -1
	s_cbranch_vccnz .LBB102_640
; %bb.635:
	v_cmp_lt_i16_e32 vcc_lo, 27, v2
	s_cbranch_vccz .LBB102_637
; %bb.636:
	v_cvt_f32_f16_e32 v4, s7
	s_mov_b32 s9, 0
	s_delay_alu instid0(VALU_DEP_1)
	v_cvt_u32_f32_e32 v4, v4
	global_store_b32 v[0:1], v4, off
.LBB102_637:
	s_and_not1_b32 vcc_lo, exec_lo, s9
	s_cbranch_vccnz .LBB102_639
; %bb.638:
	v_cvt_u16_f16_e32 v4, s7
	global_store_b16 v[0:1], v4, off
.LBB102_639:
	s_mov_b32 s9, 0
.LBB102_640:
	s_delay_alu instid0(SALU_CYCLE_1)
	s_and_not1_b32 vcc_lo, exec_lo, s9
	s_cbranch_vccnz .LBB102_738
; %bb.641:
	v_cvt_f32_f16_e32 v4, s7
	v_mov_b32_e32 v5, 0x80
	s_delay_alu instid0(VALU_DEP_2) | instskip(NEXT) | instid1(VALU_DEP_1)
	v_readfirstlane_b32 s9, v4
	s_and_b32 s10, s9, 0x7fffffff
	s_delay_alu instid0(SALU_CYCLE_1)
	s_cmp_gt_u32 s10, 0x437fffff
	s_cbranch_scc1 .LBB102_737
; %bb.642:
	s_cmp_gt_u32 s10, 0x3bffffff
	s_cbranch_scc0 .LBB102_732
; %bb.643:
	s_bfe_u32 s10, s9, 0x10014
	s_mov_b32 s11, 0
	s_add_i32 s10, s9, s10
	s_delay_alu instid0(SALU_CYCLE_1) | instskip(NEXT) | instid1(SALU_CYCLE_1)
	s_add_i32 s10, s10, 0x487ffff
	s_lshr_b32 s12, s10, 20
	s_mov_b32 s10, -1
	s_branch .LBB102_733
.LBB102_644:
	s_mov_b32 s9, 0
	s_cbranch_execz .LBB102_838
; %bb.645:
	v_cmp_gt_i16_e32 vcc_lo, 5, v2
	s_mov_b32 s0, -1
	s_cbranch_vccnz .LBB102_666
; %bb.646:
	v_cmp_gt_i16_e32 vcc_lo, 8, v2
	s_cbranch_vccnz .LBB102_656
; %bb.647:
	v_cmp_gt_i16_e32 vcc_lo, 9, v2
	s_cbranch_vccnz .LBB102_653
; %bb.648:
	v_cmp_lt_i16_e32 vcc_lo, 9, v2
	s_cbranch_vccz .LBB102_650
; %bb.649:
	v_cvt_f32_f16_e32 v4, s7
	v_mov_b32_e32 v6, 0
	s_mov_b32 s0, 0
	s_delay_alu instid0(VALU_DEP_2) | instskip(NEXT) | instid1(VALU_DEP_2)
	v_cvt_f64_f32_e32 v[4:5], v4
	v_mov_b32_e32 v7, v6
	global_store_b128 v[0:1], v[4:7], off
.LBB102_650:
	s_and_not1_b32 vcc_lo, exec_lo, s0
	s_cbranch_vccnz .LBB102_652
; %bb.651:
	v_cvt_f32_f16_e32 v4, s7
	v_mov_b32_e32 v5, 0
	global_store_b64 v[0:1], v[4:5], off
.LBB102_652:
	s_mov_b32 s0, 0
.LBB102_653:
	s_delay_alu instid0(SALU_CYCLE_1)
	s_and_not1_b32 vcc_lo, exec_lo, s0
	s_cbranch_vccnz .LBB102_655
; %bb.654:
	s_and_b32 s0, 0xffff, s7
	s_delay_alu instid0(SALU_CYCLE_1)
	v_mov_b32_e32 v4, s0
	global_store_b32 v[0:1], v4, off
.LBB102_655:
	s_mov_b32 s0, 0
.LBB102_656:
	s_delay_alu instid0(SALU_CYCLE_1)
	s_and_not1_b32 vcc_lo, exec_lo, s0
	s_cbranch_vccnz .LBB102_665
; %bb.657:
	v_cmp_gt_i16_e32 vcc_lo, 6, v2
	s_mov_b32 s0, -1
	s_cbranch_vccnz .LBB102_663
; %bb.658:
	v_cmp_lt_i16_e32 vcc_lo, 6, v2
	s_cbranch_vccz .LBB102_660
; %bb.659:
	v_cvt_f32_f16_e32 v4, s7
	s_mov_b32 s0, 0
	s_delay_alu instid0(VALU_DEP_1)
	v_cvt_f64_f32_e32 v[4:5], v4
	global_store_b64 v[0:1], v[4:5], off
.LBB102_660:
	s_and_not1_b32 vcc_lo, exec_lo, s0
	s_cbranch_vccnz .LBB102_662
; %bb.661:
	v_cvt_f32_f16_e32 v4, s7
	global_store_b32 v[0:1], v4, off
.LBB102_662:
	s_mov_b32 s0, 0
.LBB102_663:
	s_delay_alu instid0(SALU_CYCLE_1)
	s_and_not1_b32 vcc_lo, exec_lo, s0
	s_cbranch_vccnz .LBB102_665
; %bb.664:
	v_mov_b32_e32 v4, s7
	global_store_b16 v[0:1], v4, off
.LBB102_665:
	s_mov_b32 s0, 0
.LBB102_666:
	s_delay_alu instid0(SALU_CYCLE_1)
	s_and_not1_b32 vcc_lo, exec_lo, s0
	s_cbranch_vccnz .LBB102_682
; %bb.667:
	v_cmp_gt_i16_e32 vcc_lo, 2, v2
	s_mov_b32 s0, -1
	s_cbranch_vccnz .LBB102_677
; %bb.668:
	v_cmp_gt_i16_e32 vcc_lo, 3, v2
	s_cbranch_vccnz .LBB102_674
; %bb.669:
	v_cmp_lt_i16_e32 vcc_lo, 3, v2
	s_cbranch_vccz .LBB102_671
; %bb.670:
	v_cvt_f32_f16_e32 v4, s7
	s_mov_b32 s0, 0
	s_delay_alu instid0(VALU_DEP_1) | instskip(NEXT) | instid1(VALU_DEP_1)
	v_cvt_i32_f32_e32 v4, v4
	v_ashrrev_i32_e32 v5, 31, v4
	global_store_b64 v[0:1], v[4:5], off
.LBB102_671:
	s_and_not1_b32 vcc_lo, exec_lo, s0
	s_cbranch_vccnz .LBB102_673
; %bb.672:
	v_cvt_f32_f16_e32 v4, s7
	s_delay_alu instid0(VALU_DEP_1)
	v_cvt_i32_f32_e32 v4, v4
	global_store_b32 v[0:1], v4, off
.LBB102_673:
	s_mov_b32 s0, 0
.LBB102_674:
	s_delay_alu instid0(SALU_CYCLE_1)
	s_and_not1_b32 vcc_lo, exec_lo, s0
	s_cbranch_vccnz .LBB102_676
; %bb.675:
	v_cvt_i16_f16_e32 v4, s7
	global_store_b16 v[0:1], v4, off
.LBB102_676:
	s_mov_b32 s0, 0
.LBB102_677:
	s_delay_alu instid0(SALU_CYCLE_1)
	s_and_not1_b32 vcc_lo, exec_lo, s0
	s_cbranch_vccnz .LBB102_682
; %bb.678:
	v_cmp_lt_i16_e32 vcc_lo, 0, v2
	s_mov_b32 s0, -1
	s_cbranch_vccz .LBB102_680
; %bb.679:
	v_cvt_i16_f16_e32 v4, s7
	s_mov_b32 s0, 0
	global_store_b8 v[0:1], v4, off
.LBB102_680:
	s_and_not1_b32 vcc_lo, exec_lo, s0
	s_cbranch_vccnz .LBB102_682
; %bb.681:
	v_cvt_f32_f16_e32 v4, s7
	s_delay_alu instid0(VALU_DEP_1)
	v_cvt_i32_f32_e32 v4, v4
	global_store_b8 v[0:1], v4, off
.LBB102_682:
	s_branch .LBB102_839
.LBB102_683:
	s_mov_b32 s0, 0
	s_mov_b32 s4, 0
                                        ; implicit-def: $vgpr2
                                        ; implicit-def: $vgpr0_vgpr1
.LBB102_684:
	s_and_not1_b32 s1, s1, exec_lo
	s_and_b32 s5, s3, exec_lo
	s_and_b32 s0, s0, exec_lo
	;; [unrolled: 1-line block ×3, first 2 shown]
	s_or_b32 s1, s1, s5
.LBB102_685:
	s_or_b32 exec_lo, exec_lo, s2
	s_and_saveexec_b32 s2, s1
	s_cbranch_execz .LBB102_688
; %bb.686:
	; divergent unreachable
	s_or_b32 exec_lo, exec_lo, s2
	s_and_saveexec_b32 s1, s3
	s_delay_alu instid0(SALU_CYCLE_1)
	s_xor_b32 s1, exec_lo, s1
	s_cbranch_execnz .LBB102_689
.LBB102_687:
	s_or_b32 exec_lo, exec_lo, s1
	s_and_saveexec_b32 s1, s0
	s_cbranch_execnz .LBB102_690
	s_branch .LBB102_727
.LBB102_688:
	s_or_b32 exec_lo, exec_lo, s2
	s_and_saveexec_b32 s1, s3
	s_delay_alu instid0(SALU_CYCLE_1)
	s_xor_b32 s1, exec_lo, s1
	s_cbranch_execz .LBB102_687
.LBB102_689:
	v_and_b32_e64 v3, 0x7fff, s7
	s_delay_alu instid0(VALU_DEP_1)
	v_cmp_ne_u16_e32 vcc_lo, 0, v3
	v_cndmask_b32_e64 v3, 0, 1, vcc_lo
	global_store_b8 v[0:1], v3, off
	s_or_b32 exec_lo, exec_lo, s1
	s_and_saveexec_b32 s1, s0
	s_cbranch_execz .LBB102_727
.LBB102_690:
	v_cmp_gt_i16_e32 vcc_lo, 5, v2
	s_mov_b32 s0, -1
	s_cbranch_vccnz .LBB102_711
; %bb.691:
	v_cmp_gt_i16_e32 vcc_lo, 8, v2
	s_cbranch_vccnz .LBB102_701
; %bb.692:
	v_cmp_gt_i16_e32 vcc_lo, 9, v2
	s_cbranch_vccnz .LBB102_698
; %bb.693:
	v_cmp_lt_i16_e32 vcc_lo, 9, v2
	s_cbranch_vccz .LBB102_695
; %bb.694:
	v_cvt_f32_f16_e32 v3, s7
	v_mov_b32_e32 v5, 0
	s_mov_b32 s0, 0
	s_delay_alu instid0(VALU_DEP_2) | instskip(NEXT) | instid1(VALU_DEP_2)
	v_cvt_f64_f32_e32 v[3:4], v3
	v_mov_b32_e32 v6, v5
	global_store_b128 v[0:1], v[3:6], off
.LBB102_695:
	s_and_not1_b32 vcc_lo, exec_lo, s0
	s_cbranch_vccnz .LBB102_697
; %bb.696:
	v_cvt_f32_f16_e32 v3, s7
	v_mov_b32_e32 v4, 0
	global_store_b64 v[0:1], v[3:4], off
.LBB102_697:
	s_mov_b32 s0, 0
.LBB102_698:
	s_delay_alu instid0(SALU_CYCLE_1)
	s_and_not1_b32 vcc_lo, exec_lo, s0
	s_cbranch_vccnz .LBB102_700
; %bb.699:
	s_and_b32 s0, 0xffff, s7
	s_delay_alu instid0(SALU_CYCLE_1)
	v_mov_b32_e32 v3, s0
	global_store_b32 v[0:1], v3, off
.LBB102_700:
	s_mov_b32 s0, 0
.LBB102_701:
	s_delay_alu instid0(SALU_CYCLE_1)
	s_and_not1_b32 vcc_lo, exec_lo, s0
	s_cbranch_vccnz .LBB102_710
; %bb.702:
	v_cmp_gt_i16_e32 vcc_lo, 6, v2
	s_mov_b32 s0, -1
	s_cbranch_vccnz .LBB102_708
; %bb.703:
	v_cmp_lt_i16_e32 vcc_lo, 6, v2
	s_cbranch_vccz .LBB102_705
; %bb.704:
	v_cvt_f32_f16_e32 v3, s7
	s_mov_b32 s0, 0
	s_delay_alu instid0(VALU_DEP_1)
	v_cvt_f64_f32_e32 v[3:4], v3
	global_store_b64 v[0:1], v[3:4], off
.LBB102_705:
	s_and_not1_b32 vcc_lo, exec_lo, s0
	s_cbranch_vccnz .LBB102_707
; %bb.706:
	v_cvt_f32_f16_e32 v3, s7
	global_store_b32 v[0:1], v3, off
.LBB102_707:
	s_mov_b32 s0, 0
.LBB102_708:
	s_delay_alu instid0(SALU_CYCLE_1)
	s_and_not1_b32 vcc_lo, exec_lo, s0
	s_cbranch_vccnz .LBB102_710
; %bb.709:
	v_mov_b32_e32 v3, s7
	global_store_b16 v[0:1], v3, off
.LBB102_710:
	s_mov_b32 s0, 0
.LBB102_711:
	s_delay_alu instid0(SALU_CYCLE_1)
	s_and_not1_b32 vcc_lo, exec_lo, s0
	s_cbranch_vccnz .LBB102_727
; %bb.712:
	v_cmp_gt_i16_e32 vcc_lo, 2, v2
	s_mov_b32 s0, -1
	s_cbranch_vccnz .LBB102_722
; %bb.713:
	v_cmp_gt_i16_e32 vcc_lo, 3, v2
	s_cbranch_vccnz .LBB102_719
; %bb.714:
	v_cmp_lt_i16_e32 vcc_lo, 3, v2
	s_cbranch_vccz .LBB102_716
; %bb.715:
	v_cvt_f32_f16_e32 v3, s7
	s_mov_b32 s0, 0
	s_delay_alu instid0(VALU_DEP_1) | instskip(NEXT) | instid1(VALU_DEP_1)
	v_cvt_i32_f32_e32 v3, v3
	v_ashrrev_i32_e32 v4, 31, v3
	global_store_b64 v[0:1], v[3:4], off
.LBB102_716:
	s_and_not1_b32 vcc_lo, exec_lo, s0
	s_cbranch_vccnz .LBB102_718
; %bb.717:
	v_cvt_f32_f16_e32 v3, s7
	s_delay_alu instid0(VALU_DEP_1)
	v_cvt_i32_f32_e32 v3, v3
	global_store_b32 v[0:1], v3, off
.LBB102_718:
	s_mov_b32 s0, 0
.LBB102_719:
	s_delay_alu instid0(SALU_CYCLE_1)
	s_and_not1_b32 vcc_lo, exec_lo, s0
	s_cbranch_vccnz .LBB102_721
; %bb.720:
	v_cvt_i16_f16_e32 v3, s7
	global_store_b16 v[0:1], v3, off
.LBB102_721:
	s_mov_b32 s0, 0
.LBB102_722:
	s_delay_alu instid0(SALU_CYCLE_1)
	s_and_not1_b32 vcc_lo, exec_lo, s0
	s_cbranch_vccnz .LBB102_727
; %bb.723:
	v_cmp_lt_i16_e32 vcc_lo, 0, v2
	s_mov_b32 s0, -1
	s_cbranch_vccz .LBB102_725
; %bb.724:
	v_cvt_i16_f16_e32 v2, s7
	s_mov_b32 s0, 0
	global_store_b8 v[0:1], v2, off
.LBB102_725:
	s_and_not1_b32 vcc_lo, exec_lo, s0
	s_cbranch_vccnz .LBB102_727
; %bb.726:
	v_cvt_f32_f16_e32 v2, s7
	s_delay_alu instid0(VALU_DEP_1)
	v_cvt_i32_f32_e32 v2, v2
	global_store_b8 v[0:1], v2, off
	s_nop 0
	s_sendmsg sendmsg(MSG_DEALLOC_VGPRS)
	s_endpgm
.LBB102_727:
	s_nop 0
	s_sendmsg sendmsg(MSG_DEALLOC_VGPRS)
	s_endpgm
.LBB102_728:
	s_cbranch_execnz .LBB102_730
; %bb.729:
	s_or_b32 s3, s3, exec_lo
	s_cbranch_execz .LBB102_613
	s_branch .LBB102_614
.LBB102_730:
	s_trap 2
	s_sendmsg_rtn_b32 s0, sendmsg(MSG_RTN_GET_DOORBELL)
	s_mov_b32 ttmp2, m0
	s_waitcnt lgkmcnt(0)
	s_and_b32 s0, s0, 0x3ff
	s_delay_alu instid0(SALU_CYCLE_1) | instskip(NEXT) | instid1(SALU_CYCLE_1)
	s_bitset1_b32 s0, 10
	s_mov_b32 m0, s0
	s_sendmsg sendmsg(MSG_INTERRUPT)
	s_mov_b32 m0, ttmp2
.LBB102_731:                            ; =>This Inner Loop Header: Depth=1
	s_sethalt 5
	s_branch .LBB102_731
.LBB102_732:
	s_mov_b32 s11, -1
	s_mov_b32 s10, 0
                                        ; implicit-def: $sgpr12
.LBB102_733:
	v_mov_b32_e32 v4, s12
	s_and_not1_b32 vcc_lo, exec_lo, s11
                                        ; implicit-def: $sgpr11
	s_cbranch_vccnz .LBB102_735
; %bb.734:
	v_add_f32_e64 v4, 0x46000000, |s9|
	s_mov_b32 s11, 0
	s_delay_alu instid0(VALU_DEP_1) | instskip(NEXT) | instid1(VALU_DEP_1)
	v_and_b32_e32 v4, 0xff, v4
	v_cmp_ne_u32_e64 s10, 0, v4
.LBB102_735:
	v_mov_b32_e32 v5, s11
	s_delay_alu instid0(VALU_DEP_2)
	s_and_not1_b32 vcc_lo, exec_lo, s10
	s_cbranch_vccnz .LBB102_737
; %bb.736:
	s_lshr_b32 s9, s9, 24
	s_delay_alu instid0(SALU_CYCLE_1) | instskip(NEXT) | instid1(SALU_CYCLE_1)
	s_and_b32 s9, s9, 0x80
	v_or_b32_e32 v5, s9, v4
.LBB102_737:
	global_store_b8 v[0:1], v5, off
.LBB102_738:
	s_mov_b32 s9, -1
.LBB102_739:
	s_mov_b32 s10, 0
.LBB102_740:
	s_delay_alu instid0(SALU_CYCLE_1)
	s_and_b32 vcc_lo, exec_lo, s10
	s_cbranch_vccz .LBB102_834
; %bb.741:
	v_cmp_lt_i16_e32 vcc_lo, 22, v2
	s_mov_b32 s8, -1
	s_cbranch_vccz .LBB102_827
; %bb.742:
	v_cmp_gt_i16_e32 vcc_lo, 24, v2
	s_cbranch_vccnz .LBB102_814
; %bb.743:
	v_cmp_lt_i16_e32 vcc_lo, 24, v2
	s_cbranch_vccz .LBB102_801
; %bb.744:
	v_cvt_f32_f16_e32 v4, s7
	v_mov_b32_e32 v5, 0x80
	s_delay_alu instid0(VALU_DEP_2) | instskip(NEXT) | instid1(VALU_DEP_1)
	v_readfirstlane_b32 s8, v4
	s_and_b32 s9, s8, 0x7fffffff
	s_delay_alu instid0(SALU_CYCLE_1)
	s_cmp_gt_u32 s9, 0x477fffff
	s_cbranch_scc1 .LBB102_800
; %bb.745:
	s_cmp_gt_u32 s9, 0x37ffffff
	s_cbranch_scc0 .LBB102_795
; %bb.746:
	s_bfe_u32 s9, s8, 0x10015
	s_mov_b32 s10, 0
	s_add_i32 s9, s8, s9
	s_delay_alu instid0(SALU_CYCLE_1) | instskip(NEXT) | instid1(SALU_CYCLE_1)
	s_add_i32 s9, s9, 0x88fffff
	s_lshr_b32 s11, s9, 21
	s_mov_b32 s9, -1
	s_branch .LBB102_796
.LBB102_747:
	s_mov_b32 s36, 0
.LBB102_748:
	s_delay_alu instid0(SALU_CYCLE_1)
	s_and_b32 vcc_lo, exec_lo, s36
	s_cbranch_vccz .LBB102_751
; %bb.749:
	v_cmp_eq_u16_e32 vcc_lo, 29, v21
	s_mov_b32 s1, -1
	s_cbranch_vccz .LBB102_751
; %bb.750:
	s_mov_b32 s1, 0
	global_store_b64 v[10:11], v[8:9], off
.LBB102_751:
	s_mov_b32 s36, 0
.LBB102_752:
	s_delay_alu instid0(SALU_CYCLE_1)
	s_and_b32 vcc_lo, exec_lo, s36
	s_cbranch_vccz .LBB102_764
; %bb.753:
	v_cmp_gt_i16_e32 vcc_lo, 27, v21
	s_mov_b32 s0, -1
	s_cbranch_vccnz .LBB102_759
; %bb.754:
	v_cmp_lt_i16_e32 vcc_lo, 27, v21
	s_cbranch_vccz .LBB102_756
; %bb.755:
	s_mov_b32 s0, 0
	global_store_b32 v[10:11], v8, off
.LBB102_756:
	s_and_not1_b32 vcc_lo, exec_lo, s0
	s_cbranch_vccnz .LBB102_758
; %bb.757:
	global_store_b16 v[10:11], v18, off
.LBB102_758:
	s_mov_b32 s0, 0
.LBB102_759:
	s_delay_alu instid0(SALU_CYCLE_1)
	s_and_not1_b32 vcc_lo, exec_lo, s0
	s_cbranch_vccnz .LBB102_764
; %bb.760:
	v_mov_b32_e32 v2, 0x80
	s_and_not1_b32 vcc_lo, exec_lo, s26
	s_cbranch_vccnz .LBB102_763
; %bb.761:
	v_mov_b32_e32 v2, 0
	s_or_b32 s0, s21, s27
	s_delay_alu instid0(SALU_CYCLE_1)
	s_and_not1_b32 vcc_lo, exec_lo, s0
	s_cbranch_vccnz .LBB102_763
; %bb.762:
	v_cndmask_b32_e64 v2, v17, s25, s21
	s_delay_alu instid0(VALU_DEP_1)
	v_or_b32_e32 v2, v2, v16
.LBB102_763:
	global_store_b8 v[10:11], v2, off
.LBB102_764:
	s_mov_b32 s36, 0
.LBB102_765:
	s_delay_alu instid0(SALU_CYCLE_1)
	s_and_b32 vcc_lo, exec_lo, s36
	s_mov_b32 s0, 0
	s_cbranch_vccz .LBB102_786
; %bb.766:
	v_cmp_lt_i16_e32 vcc_lo, 22, v21
	s_mov_b32 s21, -1
	s_cbranch_vccz .LBB102_779
; %bb.767:
	v_cmp_gt_i16_e32 vcc_lo, 24, v21
	s_cbranch_vccnz .LBB102_776
; %bb.768:
	v_cmp_lt_i16_e32 vcc_lo, 24, v21
	s_cbranch_vccz .LBB102_773
; %bb.769:
	v_mov_b32_e32 v2, 0x80
	s_and_not1_b32 vcc_lo, exec_lo, s13
	s_cbranch_vccnz .LBB102_772
; %bb.770:
	v_mov_b32_e32 v2, 0
	s_or_b32 s13, s11, s23
	s_delay_alu instid0(SALU_CYCLE_1)
	s_and_not1_b32 vcc_lo, exec_lo, s13
	s_cbranch_vccnz .LBB102_772
; %bb.771:
	v_cndmask_b32_e64 v2, v14, s12, s11
	s_delay_alu instid0(VALU_DEP_1)
	v_or_b32_e32 v2, v2, v16
.LBB102_772:
	s_mov_b32 s21, 0
	global_store_b8 v[10:11], v2, off
.LBB102_773:
	s_and_b32 vcc_lo, exec_lo, s21
	s_cbranch_vccz .LBB102_775
; %bb.774:
	s_and_b32 s11, s17, exec_lo
	s_cselect_b32 s11, s24, s19
	s_and_b32 s12, s16, exec_lo
	s_cselect_b32 s11, s22, s11
	s_delay_alu instid0(SALU_CYCLE_1)
	v_or_b32_e32 v2, s11, v16
	global_store_b8 v[10:11], v2, off
.LBB102_775:
	s_mov_b32 s21, 0
.LBB102_776:
	s_delay_alu instid0(SALU_CYCLE_1)
	s_and_not1_b32 vcc_lo, exec_lo, s21
	s_cbranch_vccnz .LBB102_778
; %bb.777:
	s_and_b32 s11, s14, exec_lo
	s_cselect_b32 s11, s18, s15
	s_and_b32 s10, s10, exec_lo
	s_cselect_b32 s10, s20, s11
	s_delay_alu instid0(SALU_CYCLE_1)
	v_or_b32_e32 v2, s10, v16
	global_store_b8 v[10:11], v2, off
.LBB102_778:
	s_mov_b32 s21, 0
.LBB102_779:
	s_delay_alu instid0(SALU_CYCLE_1)
	s_and_not1_b32 vcc_lo, exec_lo, s21
	s_mov_b32 s10, 0
	s_cbranch_vccnz .LBB102_787
; %bb.780:
	v_cmp_lt_i16_e32 vcc_lo, 14, v21
	s_mov_b32 s10, -1
	s_cbranch_vccz .LBB102_784
; %bb.781:
	v_cmp_eq_u16_e32 vcc_lo, 15, v21
	s_mov_b32 s1, -1
	s_cbranch_vccz .LBB102_783
; %bb.782:
	s_mov_b32 s1, 0
	global_store_b16 v[10:11], v15, off
.LBB102_783:
	s_mov_b32 s10, 0
.LBB102_784:
	s_delay_alu instid0(SALU_CYCLE_1)
	s_and_b32 vcc_lo, exec_lo, s10
	s_mov_b32 s10, 0
	s_cbranch_vccz .LBB102_787
; %bb.785:
	v_cmp_ne_u16_e32 vcc_lo, 11, v21
	s_and_not1_b32 s1, s1, exec_lo
	s_mov_b32 s10, -1
	s_and_b32 s11, vcc_lo, exec_lo
	s_delay_alu instid0(SALU_CYCLE_1)
	s_or_b32 s1, s1, s11
	s_branch .LBB102_787
.LBB102_786:
	s_mov_b32 s10, 0
.LBB102_787:
	s_and_b32 s36, s0, exec_lo
	s_and_not1_b32 s0, s35, exec_lo
	s_and_b32 s11, s1, exec_lo
	s_and_b32 s1, s10, exec_lo
	s_or_b32 s37, s0, s11
.LBB102_788:
	s_or_b32 exec_lo, exec_lo, s28
	s_delay_alu instid0(SALU_CYCLE_1)
	s_and_not1_b32 s0, s35, exec_lo
	s_and_b32 s10, s37, exec_lo
	s_and_b32 s36, s36, exec_lo
	;; [unrolled: 1-line block ×3, first 2 shown]
	s_or_b32 s35, s0, s10
.LBB102_789:
	s_or_b32 exec_lo, exec_lo, s34
	s_delay_alu instid0(SALU_CYCLE_1)
	s_and_not1_b32 s0, s31, exec_lo
	s_and_b32 s10, s35, exec_lo
	s_and_b32 s36, s36, exec_lo
	s_and_b32 s34, s1, exec_lo
	s_or_b32 s31, s0, s10
.LBB102_790:
	s_or_b32 exec_lo, exec_lo, s33
	s_delay_alu instid0(SALU_CYCLE_1)
	s_and_not1_b32 s0, s29, exec_lo
	s_and_b32 s10, s31, exec_lo
	s_and_b32 s1, s36, exec_lo
	;; [unrolled: 1-line block ×3, first 2 shown]
	s_or_b32 s29, s0, s10
	s_or_b32 exec_lo, exec_lo, s30
	s_mov_b32 s0, 0
	s_and_saveexec_b32 s10, s29
	s_cbranch_execz .LBB102_110
.LBB102_791:
	s_cbranch_execnz .LBB102_793
; %bb.792:
	s_mov_b32 s0, exec_lo
	s_and_not1_b32 s31, s31, exec_lo
	s_or_b32 exec_lo, exec_lo, s10
	s_and_saveexec_b32 s10, s31
	s_delay_alu instid0(SALU_CYCLE_1)
	s_xor_b32 s10, exec_lo, s10
	s_cbranch_execnz .LBB102_111
	s_branch .LBB102_112
.LBB102_793:
	s_trap 2
	s_sendmsg_rtn_b32 s0, sendmsg(MSG_RTN_GET_DOORBELL)
	s_mov_b32 ttmp2, m0
	s_waitcnt lgkmcnt(0)
	s_and_b32 s0, s0, 0x3ff
	s_delay_alu instid0(SALU_CYCLE_1) | instskip(NEXT) | instid1(SALU_CYCLE_1)
	s_bitset1_b32 s0, 10
	s_mov_b32 m0, s0
	s_sendmsg sendmsg(MSG_INTERRUPT)
	s_mov_b32 m0, ttmp2
.LBB102_794:                            ; =>This Inner Loop Header: Depth=1
	s_sethalt 5
	s_branch .LBB102_794
.LBB102_795:
	s_mov_b32 s10, -1
	s_mov_b32 s9, 0
                                        ; implicit-def: $sgpr11
.LBB102_796:
	v_mov_b32_e32 v4, s11
	s_and_not1_b32 vcc_lo, exec_lo, s10
                                        ; implicit-def: $sgpr10
	s_cbranch_vccnz .LBB102_798
; %bb.797:
	v_add_f32_e64 v4, 0x42800000, |s8|
	s_mov_b32 s10, 0
	s_delay_alu instid0(VALU_DEP_1) | instskip(NEXT) | instid1(VALU_DEP_1)
	v_and_b32_e32 v4, 0xff, v4
	v_cmp_ne_u32_e64 s9, 0, v4
.LBB102_798:
	v_mov_b32_e32 v5, s10
	s_delay_alu instid0(VALU_DEP_2)
	s_and_not1_b32 vcc_lo, exec_lo, s9
	s_cbranch_vccnz .LBB102_800
; %bb.799:
	s_lshr_b32 s8, s8, 24
	s_delay_alu instid0(SALU_CYCLE_1) | instskip(NEXT) | instid1(SALU_CYCLE_1)
	s_and_b32 s8, s8, 0x80
	v_or_b32_e32 v5, s8, v4
.LBB102_800:
	s_mov_b32 s8, 0
	global_store_b8 v[0:1], v5, off
.LBB102_801:
	s_and_b32 vcc_lo, exec_lo, s8
	s_cbranch_vccz .LBB102_813
; %bb.802:
	v_cvt_f32_f16_e32 v4, s7
	s_delay_alu instid0(VALU_DEP_1) | instskip(NEXT) | instid1(VALU_DEP_1)
	v_readfirstlane_b32 s8, v4
	s_and_b32 s9, s8, 0x7fffffff
	s_delay_alu instid0(SALU_CYCLE_1)
	s_cmp_lt_u32 s9, 0x43f00000
	s_cbranch_scc0 .LBB102_805
; %bb.803:
	s_cmp_gt_u32 s9, 0x3c7fffff
	s_cbranch_scc0 .LBB102_806
; %bb.804:
	s_bfe_u32 s10, s8, 0x10014
	s_delay_alu instid0(SALU_CYCLE_1) | instskip(NEXT) | instid1(SALU_CYCLE_1)
	s_add_i32 s10, s8, s10
	s_add_i32 s10, s10, 0x407ffff
	s_delay_alu instid0(SALU_CYCLE_1)
	s_and_b32 s11, s10, 0xff00000
	s_lshr_b32 s10, s10, 20
	s_cmp_lg_u32 s11, 0x7f00000
	s_cselect_b32 s11, s10, 0x7e
	s_mov_b32 s10, 0
	s_branch .LBB102_807
.LBB102_805:
	s_mov_b32 s10, -1
                                        ; implicit-def: $vgpr5
	s_branch .LBB102_810
.LBB102_806:
	s_mov_b32 s10, -1
                                        ; implicit-def: $sgpr11
.LBB102_807:
	v_mov_b32_e32 v5, s11
	s_and_not1_b32 vcc_lo, exec_lo, s10
	s_cbranch_vccnz .LBB102_809
; %bb.808:
	v_add_f32_e64 v5, 0x46800000, |v4|
.LBB102_809:
	s_mov_b32 s10, 0
.LBB102_810:
	s_delay_alu instid0(SALU_CYCLE_1)
	s_and_not1_b32 vcc_lo, exec_lo, s10
	s_cbranch_vccnz .LBB102_812
; %bb.811:
	s_cmp_gt_u32 s9, 0x7f800000
	s_movk_i32 s9, 0x7f
	s_delay_alu instid0(SALU_CYCLE_1) | instskip(NEXT) | instid1(SALU_CYCLE_1)
	s_cselect_b32 s9, s9, 0x7e
	v_mov_b32_e32 v5, s9
.LBB102_812:
	s_lshr_b32 s8, s8, 24
	s_delay_alu instid0(SALU_CYCLE_1)
	s_and_b32 s8, s8, 0x80
	s_delay_alu instid0(VALU_DEP_1) | instid1(SALU_CYCLE_1)
	v_or_b32_e32 v4, s8, v5
	global_store_b8 v[0:1], v4, off
.LBB102_813:
	s_mov_b32 s8, 0
.LBB102_814:
	s_delay_alu instid0(SALU_CYCLE_1)
	s_and_not1_b32 vcc_lo, exec_lo, s8
	s_cbranch_vccnz .LBB102_826
; %bb.815:
	v_cvt_f32_f16_e32 v4, s7
	s_delay_alu instid0(VALU_DEP_1) | instskip(NEXT) | instid1(VALU_DEP_1)
	v_readfirstlane_b32 s8, v4
	s_and_b32 s9, s8, 0x7fffffff
	s_delay_alu instid0(SALU_CYCLE_1)
	s_cmp_lt_u32 s9, 0x47800000
	s_cbranch_scc0 .LBB102_818
; %bb.816:
	s_cmp_gt_u32 s9, 0x387fffff
	s_cbranch_scc0 .LBB102_819
; %bb.817:
	s_bfe_u32 s10, s8, 0x10015
	s_delay_alu instid0(SALU_CYCLE_1) | instskip(NEXT) | instid1(SALU_CYCLE_1)
	s_add_i32 s10, s8, s10
	s_add_i32 s10, s10, 0x80fffff
	s_delay_alu instid0(SALU_CYCLE_1)
	s_lshr_b32 s11, s10, 21
	s_mov_b32 s10, 0
	s_branch .LBB102_820
.LBB102_818:
	s_mov_b32 s10, -1
                                        ; implicit-def: $vgpr5
	s_branch .LBB102_823
.LBB102_819:
	s_mov_b32 s10, -1
                                        ; implicit-def: $sgpr11
.LBB102_820:
	v_mov_b32_e32 v5, s11
	s_and_not1_b32 vcc_lo, exec_lo, s10
	s_cbranch_vccnz .LBB102_822
; %bb.821:
	v_add_f32_e64 v5, 0x43000000, |v4|
.LBB102_822:
	s_mov_b32 s10, 0
.LBB102_823:
	s_delay_alu instid0(SALU_CYCLE_1)
	s_and_not1_b32 vcc_lo, exec_lo, s10
	s_cbranch_vccnz .LBB102_825
; %bb.824:
	s_cmp_gt_u32 s9, 0x7f800000
	s_movk_i32 s9, 0x7f
	s_delay_alu instid0(SALU_CYCLE_1) | instskip(NEXT) | instid1(SALU_CYCLE_1)
	s_cselect_b32 s9, s9, 0x7c
	v_mov_b32_e32 v5, s9
.LBB102_825:
	s_lshr_b32 s8, s8, 24
	s_delay_alu instid0(SALU_CYCLE_1)
	s_and_b32 s8, s8, 0x80
	s_delay_alu instid0(VALU_DEP_1) | instid1(SALU_CYCLE_1)
	v_or_b32_e32 v4, s8, v5
	global_store_b8 v[0:1], v4, off
.LBB102_826:
	s_mov_b32 s8, 0
	s_mov_b32 s9, -1
.LBB102_827:
	s_and_not1_b32 vcc_lo, exec_lo, s8
	s_mov_b32 s8, 0
	s_cbranch_vccnz .LBB102_834
; %bb.828:
	v_cmp_lt_i16_e32 vcc_lo, 14, v2
	s_mov_b32 s8, -1
	s_cbranch_vccz .LBB102_832
; %bb.829:
	v_cmp_eq_u16_e32 vcc_lo, 15, v2
	s_mov_b32 s0, -1
	s_cbranch_vccz .LBB102_831
; %bb.830:
	v_cvt_f32_f16_e32 v4, s7
	v_cmp_o_f16_e64 vcc_lo, s7, s7
	s_mov_b32 s0, 0
	s_mov_b32 s9, -1
	s_delay_alu instid0(VALU_DEP_2) | instskip(NEXT) | instid1(VALU_DEP_1)
	v_bfe_u32 v5, v4, 16, 1
	v_add_nc_u32_e32 v4, v4, v5
	s_delay_alu instid0(VALU_DEP_1) | instskip(NEXT) | instid1(VALU_DEP_1)
	v_add_nc_u32_e32 v4, 0x7fff, v4
	v_lshrrev_b32_e32 v4, 16, v4
	s_delay_alu instid0(VALU_DEP_1)
	v_cndmask_b32_e32 v4, 0x7fc0, v4, vcc_lo
	global_store_b16 v[0:1], v4, off
.LBB102_831:
	s_mov_b32 s8, 0
.LBB102_832:
	s_delay_alu instid0(SALU_CYCLE_1)
	s_and_b32 vcc_lo, exec_lo, s8
	s_mov_b32 s8, 0
	s_cbranch_vccz .LBB102_834
; %bb.833:
	v_cmp_ne_u16_e64 s0, 11, v2
	s_mov_b32 s8, -1
.LBB102_834:
	s_delay_alu instid0(VALU_DEP_1)
	s_and_b32 vcc_lo, exec_lo, s0
	s_cbranch_vccnz .LBB102_869
; %bb.835:
	s_and_not1_b32 vcc_lo, exec_lo, s8
	s_cbranch_vccnz .LBB102_837
.LBB102_836:
	v_and_b32_e64 v4, 0x7fff, s7
	s_mov_b32 s9, -1
	s_delay_alu instid0(VALU_DEP_1)
	v_cmp_ne_u16_e32 vcc_lo, 0, v4
	v_cndmask_b32_e64 v4, 0, 1, vcc_lo
	global_store_b8 v[0:1], v4, off
.LBB102_837:
.LBB102_838:
	s_and_not1_b32 vcc_lo, exec_lo, s9
	s_cbranch_vccnz .LBB102_683
.LBB102_839:
	v_add_nc_u32_e32 v0, s6, v3
	v_cmp_gt_i16_e32 vcc_lo, 11, v2
	s_delay_alu instid0(VALU_DEP_2) | instskip(SKIP_1) | instid1(VALU_DEP_1)
	v_ashrrev_i32_e32 v1, 31, v0
	v_add_co_u32 v0, s0, s4, v0
	v_add_co_ci_u32_e64 v1, s0, s5, v1, s0
	s_cbranch_vccnz .LBB102_868
; %bb.840:
	v_cmp_lt_i16_e32 vcc_lo, 25, v2
	s_mov_b32 s5, -1
	s_mov_b32 s4, 0
	s_mov_b32 s0, 0
	s_cbranch_vccz .LBB102_880
; %bb.841:
	v_cmp_lt_i16_e32 vcc_lo, 28, v2
	s_cbranch_vccz .LBB102_857
; %bb.842:
	v_cmp_lt_i16_e32 vcc_lo, 43, v2
	;; [unrolled: 3-line block ×3, first 2 shown]
	s_cbranch_vccz .LBB102_847
; %bb.844:
	v_cmp_eq_u16_e32 vcc_lo, 46, v2
	s_mov_b32 s0, -1
	s_cbranch_vccz .LBB102_846
; %bb.845:
	v_cvt_f32_f16_e32 v3, s7
	v_cmp_o_f16_e64 vcc_lo, s7, s7
	s_mov_b32 s0, 0
	s_delay_alu instid0(VALU_DEP_2) | instskip(NEXT) | instid1(VALU_DEP_1)
	v_bfe_u32 v4, v3, 16, 1
	v_add_nc_u32_e32 v3, v3, v4
	s_delay_alu instid0(VALU_DEP_1) | instskip(NEXT) | instid1(VALU_DEP_1)
	v_add_nc_u32_e32 v3, 0x7fff, v3
	v_lshrrev_b32_e32 v3, 16, v3
	s_delay_alu instid0(VALU_DEP_1)
	v_cndmask_b32_e32 v3, 0x7fc0, v3, vcc_lo
	global_store_b32 v[0:1], v3, off
.LBB102_846:
	s_mov_b32 s5, 0
.LBB102_847:
	s_delay_alu instid0(SALU_CYCLE_1)
	s_and_b32 vcc_lo, exec_lo, s5
	s_cbranch_vccz .LBB102_852
; %bb.848:
	v_cmp_eq_u16_e32 vcc_lo, 44, v2
	s_mov_b32 s0, -1
	s_cbranch_vccz .LBB102_852
; %bb.849:
	v_cvt_f32_f16_e32 v3, s7
	v_mov_b32_e32 v4, 0xff
	s_delay_alu instid0(VALU_DEP_2) | instskip(NEXT) | instid1(VALU_DEP_1)
	v_readfirstlane_b32 s0, v3
	s_bfe_u32 s5, s0, 0x80017
	s_delay_alu instid0(SALU_CYCLE_1)
	s_cmpk_eq_i32 s5, 0xff
	s_cbranch_scc1 .LBB102_851
; %bb.850:
	s_bitcmp1_b32 s0, 22
	v_lshrrev_b32_e32 v3, 23, v3
	s_cselect_b32 s6, -1, 0
	s_and_b32 s0, s0, 0x3fffff
	s_delay_alu instid0(SALU_CYCLE_1) | instskip(NEXT) | instid1(SALU_CYCLE_1)
	s_or_b32 s0, s5, s0
	s_cmp_lg_u32 s0, 0
	s_cselect_b32 s0, -1, 0
	s_delay_alu instid0(SALU_CYCLE_1) | instskip(NEXT) | instid1(SALU_CYCLE_1)
	s_and_b32 s0, s6, s0
	v_cndmask_b32_e64 v4, 0, 1, s0
	s_delay_alu instid0(VALU_DEP_1)
	v_add_nc_u32_e32 v4, v3, v4
.LBB102_851:
	s_mov_b32 s0, 0
	global_store_b8 v[0:1], v4, off
.LBB102_852:
	s_mov_b32 s5, 0
.LBB102_853:
	s_delay_alu instid0(SALU_CYCLE_1)
	s_and_b32 vcc_lo, exec_lo, s5
	s_cbranch_vccz .LBB102_856
; %bb.854:
	v_cmp_eq_u16_e32 vcc_lo, 29, v2
	s_mov_b32 s0, -1
	s_cbranch_vccz .LBB102_856
; %bb.855:
	v_cvt_f32_f16_e32 v3, s7
	v_mov_b32_e32 v4, 0
	s_mov_b32 s0, 0
	s_delay_alu instid0(VALU_DEP_2)
	v_cvt_u32_f32_e32 v3, v3
	global_store_b64 v[0:1], v[3:4], off
.LBB102_856:
	s_mov_b32 s5, 0
.LBB102_857:
	s_delay_alu instid0(SALU_CYCLE_1)
	s_and_b32 vcc_lo, exec_lo, s5
	s_cbranch_vccz .LBB102_879
; %bb.858:
	v_cmp_gt_i16_e32 vcc_lo, 27, v2
	s_mov_b32 s5, -1
	s_cbranch_vccnz .LBB102_864
; %bb.859:
	v_cmp_lt_i16_e32 vcc_lo, 27, v2
	s_cbranch_vccz .LBB102_861
; %bb.860:
	v_cvt_f32_f16_e32 v3, s7
	s_mov_b32 s5, 0
	s_delay_alu instid0(VALU_DEP_1)
	v_cvt_u32_f32_e32 v3, v3
	global_store_b32 v[0:1], v3, off
.LBB102_861:
	s_and_not1_b32 vcc_lo, exec_lo, s5
	s_cbranch_vccnz .LBB102_863
; %bb.862:
	v_cvt_u16_f16_e32 v3, s7
	global_store_b16 v[0:1], v3, off
.LBB102_863:
	s_mov_b32 s5, 0
.LBB102_864:
	s_delay_alu instid0(SALU_CYCLE_1)
	s_and_not1_b32 vcc_lo, exec_lo, s5
	s_cbranch_vccnz .LBB102_879
; %bb.865:
	v_cvt_f32_f16_e32 v3, s7
	v_mov_b32_e32 v4, 0x80
	s_delay_alu instid0(VALU_DEP_2) | instskip(NEXT) | instid1(VALU_DEP_1)
	v_readfirstlane_b32 s5, v3
	s_and_b32 s6, s5, 0x7fffffff
	s_delay_alu instid0(SALU_CYCLE_1)
	s_cmp_gt_u32 s6, 0x437fffff
	s_cbranch_scc1 .LBB102_878
; %bb.866:
	s_cmp_gt_u32 s6, 0x3bffffff
	s_cbranch_scc0 .LBB102_873
; %bb.867:
	s_bfe_u32 s6, s5, 0x10014
	s_mov_b32 s8, 0
	s_add_i32 s6, s5, s6
	s_delay_alu instid0(SALU_CYCLE_1) | instskip(NEXT) | instid1(SALU_CYCLE_1)
	s_add_i32 s6, s6, 0x487ffff
	s_lshr_b32 s9, s6, 20
	s_mov_b32 s6, -1
	s_branch .LBB102_874
.LBB102_868:
	s_mov_b32 s4, 0
	s_mov_b32 s0, -1
	s_branch .LBB102_684
.LBB102_869:
	s_cbranch_execnz .LBB102_871
; %bb.870:
	s_or_b32 s3, s3, exec_lo
	s_cbranch_execz .LBB102_836
	s_branch .LBB102_837
.LBB102_871:
	s_trap 2
	s_sendmsg_rtn_b32 s0, sendmsg(MSG_RTN_GET_DOORBELL)
	s_mov_b32 ttmp2, m0
	s_waitcnt lgkmcnt(0)
	s_and_b32 s0, s0, 0x3ff
	s_delay_alu instid0(SALU_CYCLE_1) | instskip(NEXT) | instid1(SALU_CYCLE_1)
	s_bitset1_b32 s0, 10
	s_mov_b32 m0, s0
	s_sendmsg sendmsg(MSG_INTERRUPT)
	s_mov_b32 m0, ttmp2
.LBB102_872:                            ; =>This Inner Loop Header: Depth=1
	s_sethalt 5
	s_branch .LBB102_872
.LBB102_873:
	s_mov_b32 s8, -1
	s_mov_b32 s6, 0
                                        ; implicit-def: $sgpr9
.LBB102_874:
	v_mov_b32_e32 v3, s9
	s_and_not1_b32 vcc_lo, exec_lo, s8
                                        ; implicit-def: $sgpr8
	s_cbranch_vccnz .LBB102_876
; %bb.875:
	v_add_f32_e64 v3, 0x46000000, |s5|
	s_mov_b32 s8, 0
	s_delay_alu instid0(VALU_DEP_1) | instskip(NEXT) | instid1(VALU_DEP_1)
	v_and_b32_e32 v3, 0xff, v3
	v_cmp_ne_u32_e64 s6, 0, v3
.LBB102_876:
	v_mov_b32_e32 v4, s8
	s_delay_alu instid0(VALU_DEP_2)
	s_and_not1_b32 vcc_lo, exec_lo, s6
	s_cbranch_vccnz .LBB102_878
; %bb.877:
	s_lshr_b32 s5, s5, 24
	s_delay_alu instid0(SALU_CYCLE_1) | instskip(NEXT) | instid1(SALU_CYCLE_1)
	s_and_b32 s5, s5, 0x80
	v_or_b32_e32 v4, s5, v3
.LBB102_878:
	global_store_b8 v[0:1], v4, off
.LBB102_879:
	s_mov_b32 s5, 0
.LBB102_880:
	s_delay_alu instid0(SALU_CYCLE_1)
	s_and_b32 vcc_lo, exec_lo, s5
	s_cbranch_vccz .LBB102_926
; %bb.881:
	v_cmp_lt_i16_e32 vcc_lo, 22, v2
	s_mov_b32 s4, -1
	s_cbranch_vccz .LBB102_919
; %bb.882:
	v_cmp_gt_i16_e32 vcc_lo, 24, v2
	s_cbranch_vccnz .LBB102_906
; %bb.883:
	v_cmp_lt_i16_e32 vcc_lo, 24, v2
	s_cbranch_vccz .LBB102_893
; %bb.884:
	v_cvt_f32_f16_e32 v3, s7
	v_mov_b32_e32 v4, 0x80
	s_delay_alu instid0(VALU_DEP_2) | instskip(NEXT) | instid1(VALU_DEP_1)
	v_readfirstlane_b32 s4, v3
	s_and_b32 s5, s4, 0x7fffffff
	s_delay_alu instid0(SALU_CYCLE_1)
	s_cmp_gt_u32 s5, 0x477fffff
	s_cbranch_scc1 .LBB102_892
; %bb.885:
	s_cmp_gt_u32 s5, 0x37ffffff
	s_cbranch_scc0 .LBB102_887
; %bb.886:
	s_bfe_u32 s5, s4, 0x10015
	s_mov_b32 s6, 0
	s_add_i32 s5, s4, s5
	s_delay_alu instid0(SALU_CYCLE_1) | instskip(NEXT) | instid1(SALU_CYCLE_1)
	s_add_i32 s5, s5, 0x88fffff
	s_lshr_b32 s8, s5, 21
	s_mov_b32 s5, -1
	s_branch .LBB102_888
.LBB102_887:
	s_mov_b32 s6, -1
	s_mov_b32 s5, 0
                                        ; implicit-def: $sgpr8
.LBB102_888:
	v_mov_b32_e32 v3, s8
	s_and_not1_b32 vcc_lo, exec_lo, s6
                                        ; implicit-def: $sgpr6
	s_cbranch_vccnz .LBB102_890
; %bb.889:
	v_add_f32_e64 v3, 0x42800000, |s4|
	s_mov_b32 s6, 0
	s_delay_alu instid0(VALU_DEP_1) | instskip(NEXT) | instid1(VALU_DEP_1)
	v_and_b32_e32 v3, 0xff, v3
	v_cmp_ne_u32_e64 s5, 0, v3
.LBB102_890:
	v_mov_b32_e32 v4, s6
	s_delay_alu instid0(VALU_DEP_2)
	s_and_not1_b32 vcc_lo, exec_lo, s5
	s_cbranch_vccnz .LBB102_892
; %bb.891:
	s_lshr_b32 s4, s4, 24
	s_delay_alu instid0(SALU_CYCLE_1) | instskip(NEXT) | instid1(SALU_CYCLE_1)
	s_and_b32 s4, s4, 0x80
	v_or_b32_e32 v4, s4, v3
.LBB102_892:
	s_mov_b32 s4, 0
	global_store_b8 v[0:1], v4, off
.LBB102_893:
	s_and_b32 vcc_lo, exec_lo, s4
	s_cbranch_vccz .LBB102_905
; %bb.894:
	v_cvt_f32_f16_e32 v3, s7
	s_delay_alu instid0(VALU_DEP_1) | instskip(NEXT) | instid1(VALU_DEP_1)
	v_readfirstlane_b32 s4, v3
	s_and_b32 s5, s4, 0x7fffffff
	s_delay_alu instid0(SALU_CYCLE_1)
	s_cmp_lt_u32 s5, 0x43f00000
	s_cbranch_scc0 .LBB102_897
; %bb.895:
	s_cmp_gt_u32 s5, 0x3c7fffff
	s_cbranch_scc0 .LBB102_898
; %bb.896:
	s_bfe_u32 s6, s4, 0x10014
	s_delay_alu instid0(SALU_CYCLE_1) | instskip(NEXT) | instid1(SALU_CYCLE_1)
	s_add_i32 s6, s4, s6
	s_add_i32 s6, s6, 0x407ffff
	s_delay_alu instid0(SALU_CYCLE_1)
	s_and_b32 s8, s6, 0xff00000
	s_lshr_b32 s6, s6, 20
	s_cmp_lg_u32 s8, 0x7f00000
	s_cselect_b32 s8, s6, 0x7e
	s_mov_b32 s6, 0
	s_branch .LBB102_899
.LBB102_897:
	s_mov_b32 s6, -1
                                        ; implicit-def: $vgpr4
	s_branch .LBB102_902
.LBB102_898:
	s_mov_b32 s6, -1
                                        ; implicit-def: $sgpr8
.LBB102_899:
	v_mov_b32_e32 v4, s8
	s_and_not1_b32 vcc_lo, exec_lo, s6
	s_cbranch_vccnz .LBB102_901
; %bb.900:
	v_add_f32_e64 v4, 0x46800000, |v3|
.LBB102_901:
	s_mov_b32 s6, 0
.LBB102_902:
	s_delay_alu instid0(SALU_CYCLE_1)
	s_and_not1_b32 vcc_lo, exec_lo, s6
	s_cbranch_vccnz .LBB102_904
; %bb.903:
	s_cmp_gt_u32 s5, 0x7f800000
	s_movk_i32 s5, 0x7f
	s_delay_alu instid0(SALU_CYCLE_1) | instskip(NEXT) | instid1(SALU_CYCLE_1)
	s_cselect_b32 s5, s5, 0x7e
	v_mov_b32_e32 v4, s5
.LBB102_904:
	s_lshr_b32 s4, s4, 24
	s_delay_alu instid0(SALU_CYCLE_1)
	s_and_b32 s4, s4, 0x80
	s_delay_alu instid0(VALU_DEP_1) | instid1(SALU_CYCLE_1)
	v_or_b32_e32 v3, s4, v4
	global_store_b8 v[0:1], v3, off
.LBB102_905:
	s_mov_b32 s4, 0
.LBB102_906:
	s_delay_alu instid0(SALU_CYCLE_1)
	s_and_not1_b32 vcc_lo, exec_lo, s4
	s_cbranch_vccnz .LBB102_918
; %bb.907:
	v_cvt_f32_f16_e32 v3, s7
	s_delay_alu instid0(VALU_DEP_1) | instskip(NEXT) | instid1(VALU_DEP_1)
	v_readfirstlane_b32 s4, v3
	s_and_b32 s5, s4, 0x7fffffff
	s_delay_alu instid0(SALU_CYCLE_1)
	s_cmp_lt_u32 s5, 0x47800000
	s_cbranch_scc0 .LBB102_910
; %bb.908:
	s_cmp_gt_u32 s5, 0x387fffff
	s_cbranch_scc0 .LBB102_911
; %bb.909:
	s_bfe_u32 s6, s4, 0x10015
	s_delay_alu instid0(SALU_CYCLE_1) | instskip(NEXT) | instid1(SALU_CYCLE_1)
	s_add_i32 s6, s4, s6
	s_add_i32 s6, s6, 0x80fffff
	s_delay_alu instid0(SALU_CYCLE_1)
	s_lshr_b32 s8, s6, 21
	s_mov_b32 s6, 0
	s_branch .LBB102_912
.LBB102_910:
	s_mov_b32 s6, -1
                                        ; implicit-def: $vgpr4
	s_branch .LBB102_915
.LBB102_911:
	s_mov_b32 s6, -1
                                        ; implicit-def: $sgpr8
.LBB102_912:
	v_mov_b32_e32 v4, s8
	s_and_not1_b32 vcc_lo, exec_lo, s6
	s_cbranch_vccnz .LBB102_914
; %bb.913:
	v_add_f32_e64 v4, 0x43000000, |v3|
.LBB102_914:
	s_mov_b32 s6, 0
.LBB102_915:
	s_delay_alu instid0(SALU_CYCLE_1)
	s_and_not1_b32 vcc_lo, exec_lo, s6
	s_cbranch_vccnz .LBB102_917
; %bb.916:
	s_cmp_gt_u32 s5, 0x7f800000
	s_movk_i32 s5, 0x7f
	s_delay_alu instid0(SALU_CYCLE_1) | instskip(NEXT) | instid1(SALU_CYCLE_1)
	s_cselect_b32 s5, s5, 0x7c
	v_mov_b32_e32 v4, s5
.LBB102_917:
	s_lshr_b32 s4, s4, 24
	s_delay_alu instid0(SALU_CYCLE_1)
	s_and_b32 s4, s4, 0x80
	s_delay_alu instid0(VALU_DEP_1) | instid1(SALU_CYCLE_1)
	v_or_b32_e32 v3, s4, v4
	global_store_b8 v[0:1], v3, off
.LBB102_918:
	s_mov_b32 s4, 0
.LBB102_919:
	s_delay_alu instid0(SALU_CYCLE_1)
	s_and_not1_b32 vcc_lo, exec_lo, s4
	s_mov_b32 s4, 0
	s_cbranch_vccnz .LBB102_926
; %bb.920:
	v_cmp_lt_i16_e32 vcc_lo, 14, v2
	s_mov_b32 s4, -1
	s_cbranch_vccz .LBB102_924
; %bb.921:
	v_cmp_eq_u16_e32 vcc_lo, 15, v2
	s_mov_b32 s0, -1
	s_cbranch_vccz .LBB102_923
; %bb.922:
	v_cvt_f32_f16_e32 v3, s7
	v_cmp_o_f16_e64 vcc_lo, s7, s7
	s_mov_b32 s0, 0
	s_delay_alu instid0(VALU_DEP_2) | instskip(NEXT) | instid1(VALU_DEP_1)
	v_bfe_u32 v4, v3, 16, 1
	v_add_nc_u32_e32 v3, v3, v4
	s_delay_alu instid0(VALU_DEP_1) | instskip(NEXT) | instid1(VALU_DEP_1)
	v_add_nc_u32_e32 v3, 0x7fff, v3
	v_lshrrev_b32_e32 v3, 16, v3
	s_delay_alu instid0(VALU_DEP_1)
	v_cndmask_b32_e32 v3, 0x7fc0, v3, vcc_lo
	global_store_b16 v[0:1], v3, off
.LBB102_923:
	s_mov_b32 s4, 0
.LBB102_924:
	s_delay_alu instid0(SALU_CYCLE_1)
	s_and_b32 vcc_lo, exec_lo, s4
	s_mov_b32 s4, 0
	s_cbranch_vccz .LBB102_926
; %bb.925:
	v_cmp_ne_u16_e64 s0, 11, v2
	s_mov_b32 s4, -1
.LBB102_926:
	s_delay_alu instid0(VALU_DEP_1)
	s_and_b32 vcc_lo, exec_lo, s0
	s_cbranch_vccnz .LBB102_928
.LBB102_927:
	s_mov_b32 s0, 0
	s_branch .LBB102_684
.LBB102_928:
	s_cbranch_execnz .LBB102_930
; %bb.929:
	s_mov_b32 s4, 0
	s_or_b32 s3, s3, exec_lo
	s_branch .LBB102_927
.LBB102_930:
	s_trap 2
	s_sendmsg_rtn_b32 s0, sendmsg(MSG_RTN_GET_DOORBELL)
	s_mov_b32 ttmp2, m0
	s_waitcnt lgkmcnt(0)
	s_and_b32 s0, s0, 0x3ff
	s_delay_alu instid0(SALU_CYCLE_1) | instskip(NEXT) | instid1(SALU_CYCLE_1)
	s_bitset1_b32 s0, 10
	s_mov_b32 m0, s0
	s_sendmsg sendmsg(MSG_INTERRUPT)
	s_mov_b32 m0, ttmp2
.LBB102_931:                            ; =>This Inner Loop Header: Depth=1
	s_sethalt 5
	s_branch .LBB102_931
	.section	.rodata,"a",@progbits
	.p2align	6, 0x0
	.amdhsa_kernel _ZN2at6native32elementwise_kernel_manual_unrollILi128ELi4EZNS0_15gpu_kernel_implINS0_11FillFunctorIN3c104HalfEEEEEvRNS_18TensorIteratorBaseERKT_EUlibE_EEviT1_
		.amdhsa_group_segment_fixed_size 0
		.amdhsa_private_segment_fixed_size 0
		.amdhsa_kernarg_size 24
		.amdhsa_user_sgpr_count 15
		.amdhsa_user_sgpr_dispatch_ptr 0
		.amdhsa_user_sgpr_queue_ptr 0
		.amdhsa_user_sgpr_kernarg_segment_ptr 1
		.amdhsa_user_sgpr_dispatch_id 0
		.amdhsa_user_sgpr_private_segment_size 0
		.amdhsa_wavefront_size32 1
		.amdhsa_uses_dynamic_stack 0
		.amdhsa_enable_private_segment 0
		.amdhsa_system_sgpr_workgroup_id_x 1
		.amdhsa_system_sgpr_workgroup_id_y 0
		.amdhsa_system_sgpr_workgroup_id_z 0
		.amdhsa_system_sgpr_workgroup_info 0
		.amdhsa_system_vgpr_workitem_id 0
		.amdhsa_next_free_vgpr 22
		.amdhsa_next_free_sgpr 38
		.amdhsa_reserve_vcc 1
		.amdhsa_float_round_mode_32 0
		.amdhsa_float_round_mode_16_64 0
		.amdhsa_float_denorm_mode_32 3
		.amdhsa_float_denorm_mode_16_64 3
		.amdhsa_dx10_clamp 1
		.amdhsa_ieee_mode 1
		.amdhsa_fp16_overflow 0
		.amdhsa_workgroup_processor_mode 1
		.amdhsa_memory_ordered 1
		.amdhsa_forward_progress 0
		.amdhsa_shared_vgpr_count 0
		.amdhsa_exception_fp_ieee_invalid_op 0
		.amdhsa_exception_fp_denorm_src 0
		.amdhsa_exception_fp_ieee_div_zero 0
		.amdhsa_exception_fp_ieee_overflow 0
		.amdhsa_exception_fp_ieee_underflow 0
		.amdhsa_exception_fp_ieee_inexact 0
		.amdhsa_exception_int_div_zero 0
	.end_amdhsa_kernel
	.section	.text._ZN2at6native32elementwise_kernel_manual_unrollILi128ELi4EZNS0_15gpu_kernel_implINS0_11FillFunctorIN3c104HalfEEEEEvRNS_18TensorIteratorBaseERKT_EUlibE_EEviT1_,"axG",@progbits,_ZN2at6native32elementwise_kernel_manual_unrollILi128ELi4EZNS0_15gpu_kernel_implINS0_11FillFunctorIN3c104HalfEEEEEvRNS_18TensorIteratorBaseERKT_EUlibE_EEviT1_,comdat
.Lfunc_end102:
	.size	_ZN2at6native32elementwise_kernel_manual_unrollILi128ELi4EZNS0_15gpu_kernel_implINS0_11FillFunctorIN3c104HalfEEEEEvRNS_18TensorIteratorBaseERKT_EUlibE_EEviT1_, .Lfunc_end102-_ZN2at6native32elementwise_kernel_manual_unrollILi128ELi4EZNS0_15gpu_kernel_implINS0_11FillFunctorIN3c104HalfEEEEEvRNS_18TensorIteratorBaseERKT_EUlibE_EEviT1_
                                        ; -- End function
	.section	.AMDGPU.csdata,"",@progbits
; Kernel info:
; codeLenInByte = 14008
; NumSgprs: 40
; NumVgprs: 22
; ScratchSize: 0
; MemoryBound: 0
; FloatMode: 240
; IeeeMode: 1
; LDSByteSize: 0 bytes/workgroup (compile time only)
; SGPRBlocks: 4
; VGPRBlocks: 2
; NumSGPRsForWavesPerEU: 40
; NumVGPRsForWavesPerEU: 22
; Occupancy: 16
; WaveLimiterHint : 0
; COMPUTE_PGM_RSRC2:SCRATCH_EN: 0
; COMPUTE_PGM_RSRC2:USER_SGPR: 15
; COMPUTE_PGM_RSRC2:TRAP_HANDLER: 0
; COMPUTE_PGM_RSRC2:TGID_X_EN: 1
; COMPUTE_PGM_RSRC2:TGID_Y_EN: 0
; COMPUTE_PGM_RSRC2:TGID_Z_EN: 0
; COMPUTE_PGM_RSRC2:TIDIG_COMP_CNT: 0
	.section	.text._ZN2at6native32elementwise_kernel_manual_unrollILi128ELi4EZNS0_15gpu_kernel_implINS0_11FillFunctorIN3c104HalfEEEEEvRNS_18TensorIteratorBaseERKT_EUlibE0_EEviT1_,"axG",@progbits,_ZN2at6native32elementwise_kernel_manual_unrollILi128ELi4EZNS0_15gpu_kernel_implINS0_11FillFunctorIN3c104HalfEEEEEvRNS_18TensorIteratorBaseERKT_EUlibE0_EEviT1_,comdat
	.protected	_ZN2at6native32elementwise_kernel_manual_unrollILi128ELi4EZNS0_15gpu_kernel_implINS0_11FillFunctorIN3c104HalfEEEEEvRNS_18TensorIteratorBaseERKT_EUlibE0_EEviT1_ ; -- Begin function _ZN2at6native32elementwise_kernel_manual_unrollILi128ELi4EZNS0_15gpu_kernel_implINS0_11FillFunctorIN3c104HalfEEEEEvRNS_18TensorIteratorBaseERKT_EUlibE0_EEviT1_
	.globl	_ZN2at6native32elementwise_kernel_manual_unrollILi128ELi4EZNS0_15gpu_kernel_implINS0_11FillFunctorIN3c104HalfEEEEEvRNS_18TensorIteratorBaseERKT_EUlibE0_EEviT1_
	.p2align	8
	.type	_ZN2at6native32elementwise_kernel_manual_unrollILi128ELi4EZNS0_15gpu_kernel_implINS0_11FillFunctorIN3c104HalfEEEEEvRNS_18TensorIteratorBaseERKT_EUlibE0_EEviT1_,@function
_ZN2at6native32elementwise_kernel_manual_unrollILi128ELi4EZNS0_15gpu_kernel_implINS0_11FillFunctorIN3c104HalfEEEEEvRNS_18TensorIteratorBaseERKT_EUlibE0_EEviT1_: ; @_ZN2at6native32elementwise_kernel_manual_unrollILi128ELi4EZNS0_15gpu_kernel_implINS0_11FillFunctorIN3c104HalfEEEEEvRNS_18TensorIteratorBaseERKT_EUlibE0_EEviT1_
; %bb.0:
	s_clause 0x1
	s_load_b32 s22, s[0:1], 0x8
	s_load_b32 s49, s[0:1], 0x0
	v_lshl_or_b32 v13, s15, 9, v0
	s_or_b32 s8, s0, 8
	s_mov_b32 s18, -1
	s_mov_b32 s3, 0
	s_mov_b32 s9, s1
	v_or_b32_e32 v4, 0x180, v13
	s_mov_b32 s6, 0
	s_mov_b32 s2, exec_lo
	s_waitcnt lgkmcnt(0)
	s_add_i32 s23, s22, -1
	s_delay_alu instid0(SALU_CYCLE_1)
	s_cmp_gt_u32 s23, 1
	s_cselect_b32 s24, -1, 0
	v_cmpx_le_i32_e64 s49, v4
	s_xor_b32 s25, exec_lo, s2
	s_cbranch_execz .LBB103_159
; %bb.1:
	s_clause 0x3
	s_load_b32 s26, s[8:9], 0x110
	s_load_b32 s2, s[0:1], 0x118
	s_load_b64 s[12:13], s[8:9], 0xc4
	s_load_b64 s[10:11], s[8:9], 0x108
	s_cmp_lg_u32 s22, 0
	s_clause 0x1
	s_load_b128 s[4:7], s[8:9], 0x4
	s_load_b64 s[14:15], s[8:9], 0x14
	s_cselect_b32 s51, -1, 0
	s_add_u32 s16, s8, 0xc4
	s_addc_u32 s17, s9, 0
	s_min_u32 s50, s23, 15
	s_cmp_gt_u32 s22, 1
	s_movk_i32 s19, 0x7f
	s_cselect_b32 s48, -1, 0
	s_mov_b32 s54, 0
	s_mov_b32 s52, 0
	s_mov_b32 s53, exec_lo
	s_waitcnt lgkmcnt(0)
	v_cvt_f32_f16_e32 v4, s26
	v_mov_b32_e32 v9, 0
	s_lshr_b32 s47, s2, 16
	v_cvt_u16_f16_e32 v19, s26
	v_cvt_i16_f16_e32 v12, s26
	v_and_b32_e32 v0, 0x3fffff, v4
	v_bfe_u32 v2, v4, 23, 8
	v_and_b32_e32 v1, 0x400000, v4
	v_readfirstlane_b32 s20, v4
	v_add_f32_e64 v18, 0x46000000, |v4|
	v_add_f32_e64 v17, 0x42800000, |v4|
	v_or_b32_e32 v0, v2, v0
	v_cmp_ne_u32_e32 vcc_lo, 0, v1
	s_and_b32 s21, s20, 0x7fffffff
	v_bfe_u32 v10, v4, 16, 1
	v_readfirstlane_b32 s30, v17
	v_cmp_ne_u32_e64 s2, 0, v0
	v_cvt_f64_f32_e32 v[0:1], v4
	v_lshrrev_b32_e32 v5, 24, v4
	v_lshrrev_b32_e32 v3, 23, v4
	v_add_f32_e64 v6, 0x46800000, |v4|
	s_and_b32 s27, vcc_lo, s2
	s_cmp_lt_u32 s21, 0x43800000
	v_readfirstlane_b32 s2, v18
	s_cselect_b32 s45, -1, 0
	s_cmp_gt_u32 s21, 0x3bffffff
	v_and_b32_e32 v16, 0x80, v5
	s_cselect_b32 s43, -1, 0
	s_bfe_u32 s28, s20, 0x10014
	s_and_b32 s2, s2, 0xff
	s_add_i32 s29, s20, s28
	v_cndmask_b32_e64 v5, 0, 1, s27
	s_add_i32 s28, s29, 0x487ffff
	v_cmp_o_f16_e64 vcc_lo, s26, s26
	s_lshr_b32 s44, s28, 20
	s_cmp_lg_u32 s2, 0
	v_add_f32_e64 v7, 0x43000000, |v4|
	s_cselect_b32 s46, -1, 0
	s_cmp_gt_u32 s21, 0x477fffff
	v_readfirstlane_b32 s33, v6
	s_cselect_b32 s28, -1, 0
	s_cmp_lt_u32 s21, 0x47800000
	v_cvt_i32_f32_e32 v6, v4
	s_cselect_b32 s39, -1, 0
	s_cmp_gt_u32 s21, 0x37ffffff
	v_cvt_u32_f32_e32 v8, v4
	s_cselect_b32 s35, -1, 0
	s_bfe_u32 s2, s20, 0x10015
	s_and_b32 s30, s30, 0xff
	s_add_i32 s20, s20, s2
	v_cmp_eq_u32_e64 s2, 0xff, v2
	s_add_i32 s31, s20, 0x88fffff
	v_add_nc_u32_e32 v2, v4, v10
	s_lshr_b32 s40, s31, 21
	s_cmp_lg_u32 s30, 0
	s_cselect_b32 s42, -1, 0
	s_cmp_gt_u32 s21, 0x43efffff
	v_add_nc_u32_e32 v2, 0x7fff, v2
	s_cselect_b32 s34, -1, 0
	s_cmp_lt_u32 s21, 0x3c800000
	s_cselect_b32 s36, -1, 0
	s_add_i32 s30, s29, 0x407ffff
	v_lshrrev_b32_e32 v2, 16, v2
	s_and_b32 s31, s30, 0xff00000
	v_add_nc_u32_e32 v20, v3, v5
	v_and_b32_e64 v3, 0x7fff, s26
	s_lshr_b32 s30, s30, 20
	v_cndmask_b32_e32 v15, 0x7fc0, v2, vcc_lo
	s_cmp_lg_u32 s31, 0x7f00000
	v_readfirstlane_b32 s29, v7
	s_cselect_b32 s37, s30, 0x7e
	s_cmp_lt_u32 s21, 0x38800000
	v_cmp_ne_u16_e32 vcc_lo, 0, v3
	s_cselect_b32 s30, -1, 0
	s_add_i32 s20, s20, 0x80fffff
	v_ashrrev_i32_e32 v7, 31, v6
	s_lshr_b32 s31, s20, 21
	s_cmp_gt_u32 s21, 0x7f800000
	v_cndmask_b32_e64 v14, 0, 1, vcc_lo
	s_cselect_b32 s41, s19, 0x7e
	s_movk_i32 s19, 0x7c
	s_delay_alu instid0(SALU_CYCLE_1)
	s_cselect_b32 s38, 0x7f, s19
	s_and_b32 s27, s26, 0xffff
	v_cmpx_gt_i32_e64 s49, v13
	s_cbranch_execz .LBB103_110
; %bb.2:
	s_and_not1_b32 vcc_lo, exec_lo, s24
	s_cbranch_vccnz .LBB103_7
; %bb.3:
	v_mov_b32_e32 v2, 0
	s_and_not1_b32 vcc_lo, exec_lo, s51
	s_cbranch_vccnz .LBB103_12
; %bb.4:
	s_add_i32 s55, s50, 1
	s_cmp_eq_u32 s23, 2
	s_cbranch_scc1 .LBB103_8
; %bb.5:
	v_dual_mov_b32 v2, 0 :: v_dual_mov_b32 v3, v13
	s_and_b32 s52, s55, 28
	s_mov_b32 s56, 0
	s_mov_b64 s[18:19], s[8:9]
	s_mov_b64 s[20:21], s[16:17]
.LBB103_6:                              ; =>This Inner Loop Header: Depth=1
	s_clause 0x1
	s_load_b256 s[60:67], s[18:19], 0x4
	s_load_b128 s[68:71], s[18:19], 0x24
	s_load_b128 s[72:75], s[20:21], 0x0
	s_add_u32 s18, s18, 48
	s_addc_u32 s19, s19, 0
	s_add_i32 s56, s56, 4
	s_add_u32 s20, s20, 16
	s_addc_u32 s21, s21, 0
	s_cmp_lg_u32 s52, s56
	s_waitcnt lgkmcnt(0)
	v_mul_hi_u32 v5, s61, v3
	s_delay_alu instid0(VALU_DEP_1) | instskip(NEXT) | instid1(VALU_DEP_1)
	v_add_nc_u32_e32 v5, v3, v5
	v_lshrrev_b32_e32 v5, s62, v5
	s_delay_alu instid0(VALU_DEP_1) | instskip(SKIP_1) | instid1(VALU_DEP_2)
	v_mul_hi_u32 v10, s64, v5
	v_mul_lo_u32 v22, v5, s60
	v_add_nc_u32_e32 v10, v5, v10
	s_delay_alu instid0(VALU_DEP_2) | instskip(NEXT) | instid1(VALU_DEP_2)
	v_sub_nc_u32_e32 v22, v3, v22
	v_lshrrev_b32_e32 v10, s65, v10
	s_delay_alu instid0(VALU_DEP_2) | instskip(NEXT) | instid1(VALU_DEP_2)
	v_mul_lo_u32 v22, v22, s72
	v_mul_hi_u32 v11, s67, v10
	v_mul_lo_u32 v23, v10, s63
	s_delay_alu instid0(VALU_DEP_2) | instskip(NEXT) | instid1(VALU_DEP_2)
	v_add_nc_u32_e32 v11, v10, v11
	v_sub_nc_u32_e32 v5, v5, v23
	s_delay_alu instid0(VALU_DEP_2) | instskip(NEXT) | instid1(VALU_DEP_2)
	v_lshrrev_b32_e32 v11, s68, v11
	v_mul_lo_u32 v5, v5, s73
	s_delay_alu instid0(VALU_DEP_2) | instskip(NEXT) | instid1(VALU_DEP_2)
	v_mul_hi_u32 v21, s70, v11
	v_add3_u32 v2, v22, v2, v5
	s_delay_alu instid0(VALU_DEP_2) | instskip(NEXT) | instid1(VALU_DEP_1)
	v_add_nc_u32_e32 v21, v11, v21
	v_lshrrev_b32_e32 v3, s71, v21
	v_mul_lo_u32 v21, v11, s66
	s_delay_alu instid0(VALU_DEP_2) | instskip(NEXT) | instid1(VALU_DEP_2)
	v_mul_lo_u32 v24, v3, s69
	v_sub_nc_u32_e32 v10, v10, v21
	s_delay_alu instid0(VALU_DEP_2) | instskip(NEXT) | instid1(VALU_DEP_2)
	v_sub_nc_u32_e32 v11, v11, v24
	v_mul_lo_u32 v10, v10, s74
	s_delay_alu instid0(VALU_DEP_2) | instskip(NEXT) | instid1(VALU_DEP_1)
	v_mul_lo_u32 v11, v11, s75
	v_add3_u32 v2, v10, v2, v11
	s_cbranch_scc1 .LBB103_6
	s_branch .LBB103_9
.LBB103_7:
                                        ; implicit-def: $vgpr2
	s_and_not1_b32 vcc_lo, exec_lo, s18
	s_cbranch_vccz .LBB103_13
	s_branch .LBB103_15
.LBB103_8:
	v_mov_b32_e32 v3, v13
.LBB103_9:
	s_and_b32 s55, s55, 3
	s_delay_alu instid0(SALU_CYCLE_1)
	s_cmp_eq_u32 s55, 0
	s_cbranch_scc1 .LBB103_12
; %bb.10:
	s_lshl_b32 s18, s52, 2
	s_mul_i32 s20, s52, 12
	s_add_u32 s18, s18, s8
	s_addc_u32 s19, s9, 0
	s_add_u32 s18, s18, 0xc4
	s_addc_u32 s19, s19, 0
	;; [unrolled: 2-line block ×3, first 2 shown]
	.p2align	6
.LBB103_11:                             ; =>This Inner Loop Header: Depth=1
	s_clause 0x1
	s_load_b64 s[56:57], s[20:21], 0x4
	s_load_b32 s52, s[20:21], 0xc
	s_add_u32 s20, s20, 12
	s_addc_u32 s21, s21, 0
	s_waitcnt lgkmcnt(0)
	v_mul_hi_u32 v5, s57, v3
	s_load_b32 s57, s[18:19], 0x0
	s_add_u32 s18, s18, 4
	s_addc_u32 s19, s19, 0
	s_add_i32 s55, s55, -1
	s_delay_alu instid0(SALU_CYCLE_1) | instskip(NEXT) | instid1(VALU_DEP_1)
	s_cmp_lg_u32 s55, 0
	v_add_nc_u32_e32 v5, v3, v5
	s_delay_alu instid0(VALU_DEP_1) | instskip(NEXT) | instid1(VALU_DEP_1)
	v_lshrrev_b32_e32 v5, s52, v5
	v_mul_lo_u32 v10, v5, s56
	s_delay_alu instid0(VALU_DEP_1) | instskip(SKIP_1) | instid1(VALU_DEP_1)
	v_sub_nc_u32_e32 v3, v3, v10
	s_waitcnt lgkmcnt(0)
	v_mad_u64_u32 v[10:11], null, v3, s57, v[2:3]
	s_delay_alu instid0(VALU_DEP_1)
	v_dual_mov_b32 v3, v5 :: v_dual_mov_b32 v2, v10
	s_cbranch_scc1 .LBB103_11
.LBB103_12:
	s_cbranch_execnz .LBB103_15
.LBB103_13:
	v_mul_hi_u32 v2, s5, v13
	s_and_not1_b32 vcc_lo, exec_lo, s48
	s_delay_alu instid0(VALU_DEP_1) | instskip(NEXT) | instid1(VALU_DEP_1)
	v_add_nc_u32_e32 v2, v13, v2
	v_lshrrev_b32_e32 v3, s6, v2
	s_delay_alu instid0(VALU_DEP_1) | instskip(NEXT) | instid1(VALU_DEP_1)
	v_mul_lo_u32 v2, v3, s4
	v_sub_nc_u32_e32 v2, v13, v2
	s_delay_alu instid0(VALU_DEP_1)
	v_mul_lo_u32 v2, v2, s12
	s_cbranch_vccnz .LBB103_15
; %bb.14:
	v_mul_hi_u32 v5, s14, v3
	s_delay_alu instid0(VALU_DEP_1) | instskip(NEXT) | instid1(VALU_DEP_1)
	v_add_nc_u32_e32 v5, v3, v5
	v_lshrrev_b32_e32 v5, s15, v5
	s_delay_alu instid0(VALU_DEP_1) | instskip(NEXT) | instid1(VALU_DEP_1)
	v_mul_lo_u32 v5, v5, s7
	v_sub_nc_u32_e32 v3, v3, v5
	s_delay_alu instid0(VALU_DEP_1) | instskip(NEXT) | instid1(VALU_DEP_1)
	v_mad_u64_u32 v[10:11], null, v3, s13, v[2:3]
	v_mov_b32_e32 v2, v10
.LBB103_15:
	v_and_b32_e64 v21, 0xff, s47
	s_delay_alu instid0(VALU_DEP_2) | instskip(NEXT) | instid1(VALU_DEP_1)
	v_add_co_u32 v10, s19, s10, v2
	v_add_co_ci_u32_e64 v11, null, s11, 0, s19
	s_delay_alu instid0(VALU_DEP_3)
	v_cmp_gt_i16_e32 vcc_lo, 11, v21
	s_mov_b32 s18, 0
	s_mov_b32 s20, -1
	s_mov_b32 s19, 0
	s_cbranch_vccnz .LBB103_69
; %bb.16:
	v_cmp_lt_i16_e32 vcc_lo, 25, v21
	s_cbranch_vccz .LBB103_44
; %bb.17:
	v_cmp_lt_i16_e32 vcc_lo, 28, v21
	s_cbranch_vccz .LBB103_30
	;; [unrolled: 3-line block ×4, first 2 shown]
; %bb.20:
	v_cmp_eq_u16_e32 vcc_lo, 46, v21
	s_mov_b32 s20, 0
	s_mov_b32 s18, -1
	s_cbranch_vccz .LBB103_22
; %bb.21:
	s_mov_b32 s19, -1
	s_mov_b32 s18, 0
	global_store_b32 v[10:11], v15, off
.LBB103_22:
	s_and_b32 vcc_lo, exec_lo, s20
	s_cbranch_vccz .LBB103_25
; %bb.23:
	v_cmp_eq_u16_e32 vcc_lo, 44, v21
	s_mov_b32 s18, -1
	s_cbranch_vccz .LBB103_25
; %bb.24:
	v_cndmask_b32_e64 v2, v20, 0xff, s2
	s_mov_b32 s19, -1
	s_mov_b32 s18, 0
	global_store_b8 v[10:11], v2, off
.LBB103_25:
	s_mov_b32 s20, 0
.LBB103_26:
	s_delay_alu instid0(SALU_CYCLE_1)
	s_and_b32 vcc_lo, exec_lo, s20
	s_cbranch_vccz .LBB103_29
; %bb.27:
	v_cmp_eq_u16_e32 vcc_lo, 29, v21
	s_mov_b32 s18, -1
	s_cbranch_vccz .LBB103_29
; %bb.28:
	s_mov_b32 s19, -1
	s_mov_b32 s18, 0
	global_store_b64 v[10:11], v[8:9], off
.LBB103_29:
	s_mov_b32 s20, 0
.LBB103_30:
	s_delay_alu instid0(SALU_CYCLE_1)
	s_and_b32 vcc_lo, exec_lo, s20
	s_cbranch_vccz .LBB103_43
; %bb.31:
	v_cmp_gt_i16_e32 vcc_lo, 27, v21
	s_mov_b32 s19, -1
	s_cbranch_vccnz .LBB103_37
; %bb.32:
	v_cmp_lt_i16_e32 vcc_lo, 27, v21
	s_cbranch_vccz .LBB103_34
; %bb.33:
	s_mov_b32 s19, 0
	global_store_b32 v[10:11], v8, off
.LBB103_34:
	s_and_not1_b32 vcc_lo, exec_lo, s19
	s_cbranch_vccnz .LBB103_36
; %bb.35:
	global_store_b16 v[10:11], v19, off
.LBB103_36:
	s_mov_b32 s19, 0
.LBB103_37:
	s_delay_alu instid0(SALU_CYCLE_1)
	s_and_not1_b32 vcc_lo, exec_lo, s19
	s_cbranch_vccnz .LBB103_42
; %bb.38:
	v_mov_b32_e32 v2, 0x80
	s_and_not1_b32 vcc_lo, exec_lo, s45
	s_cbranch_vccnz .LBB103_41
; %bb.39:
	v_mov_b32_e32 v2, 0
	s_or_b32 s19, s43, s46
	s_delay_alu instid0(SALU_CYCLE_1)
	s_and_not1_b32 vcc_lo, exec_lo, s19
	s_cbranch_vccnz .LBB103_41
; %bb.40:
	v_cndmask_b32_e64 v2, v18, s44, s43
	s_delay_alu instid0(VALU_DEP_1)
	v_or_b32_e32 v2, v2, v16
.LBB103_41:
	global_store_b8 v[10:11], v2, off
.LBB103_42:
	s_mov_b32 s19, -1
.LBB103_43:
	s_mov_b32 s20, 0
.LBB103_44:
	s_delay_alu instid0(SALU_CYCLE_1)
	s_and_b32 vcc_lo, exec_lo, s20
	s_cbranch_vccz .LBB103_66
; %bb.45:
	v_cmp_lt_i16_e32 vcc_lo, 22, v21
	s_mov_b32 s20, -1
	s_cbranch_vccz .LBB103_58
; %bb.46:
	v_cmp_gt_i16_e32 vcc_lo, 24, v21
	s_mov_b32 s19, -1
	s_cbranch_vccnz .LBB103_55
; %bb.47:
	v_cmp_lt_i16_e32 vcc_lo, 24, v21
	s_cbranch_vccz .LBB103_52
; %bb.48:
	v_mov_b32_e32 v2, 0x80
	s_and_not1_b32 vcc_lo, exec_lo, s39
	s_cbranch_vccnz .LBB103_51
; %bb.49:
	v_mov_b32_e32 v2, 0
	s_or_b32 s19, s35, s42
	s_delay_alu instid0(SALU_CYCLE_1)
	s_and_not1_b32 vcc_lo, exec_lo, s19
	s_cbranch_vccnz .LBB103_51
; %bb.50:
	v_cndmask_b32_e64 v2, v17, s40, s35
	s_delay_alu instid0(VALU_DEP_1)
	v_or_b32_e32 v2, v2, v16
.LBB103_51:
	s_mov_b32 s19, 0
	global_store_b8 v[10:11], v2, off
.LBB103_52:
	s_and_b32 vcc_lo, exec_lo, s19
	s_cbranch_vccz .LBB103_54
; %bb.53:
	s_and_b32 s19, s36, exec_lo
	s_cselect_b32 s19, s33, s37
	s_and_b32 s20, s34, exec_lo
	s_cselect_b32 s19, s41, s19
	s_delay_alu instid0(SALU_CYCLE_1)
	v_or_b32_e32 v2, s19, v16
	global_store_b8 v[10:11], v2, off
.LBB103_54:
	s_mov_b32 s19, 0
.LBB103_55:
	s_delay_alu instid0(SALU_CYCLE_1)
	s_and_not1_b32 vcc_lo, exec_lo, s19
	s_cbranch_vccnz .LBB103_57
; %bb.56:
	s_and_b32 s19, s30, exec_lo
	s_cselect_b32 s19, s29, s31
	s_and_b32 s20, s28, exec_lo
	s_cselect_b32 s19, s38, s19
	s_delay_alu instid0(SALU_CYCLE_1)
	v_or_b32_e32 v2, s19, v16
	global_store_b8 v[10:11], v2, off
.LBB103_57:
	s_mov_b32 s20, 0
	s_mov_b32 s19, -1
.LBB103_58:
	s_and_not1_b32 vcc_lo, exec_lo, s20
	s_cbranch_vccnz .LBB103_66
; %bb.59:
	v_cmp_lt_i16_e32 vcc_lo, 14, v21
	s_mov_b32 s20, -1
	s_cbranch_vccz .LBB103_63
; %bb.60:
	v_cmp_eq_u16_e32 vcc_lo, 15, v21
	s_mov_b32 s18, -1
	s_cbranch_vccz .LBB103_62
; %bb.61:
	s_mov_b32 s19, -1
	s_mov_b32 s18, 0
	global_store_b16 v[10:11], v15, off
.LBB103_62:
	s_mov_b32 s20, 0
.LBB103_63:
	s_delay_alu instid0(SALU_CYCLE_1)
	s_and_b32 vcc_lo, exec_lo, s20
	s_cbranch_vccz .LBB103_66
; %bb.64:
	v_cmp_eq_u16_e32 vcc_lo, 11, v21
	s_mov_b32 s18, -1
	s_cbranch_vccz .LBB103_66
; %bb.65:
	s_mov_b32 s19, -1
	s_mov_b32 s18, 0
	global_store_b8 v[10:11], v14, off
.LBB103_66:
.LBB103_67:
	s_and_not1_b32 vcc_lo, exec_lo, s19
	s_cbranch_vccnz .LBB103_108
.LBB103_68:
	v_add_nc_u32_e32 v13, 0x80, v13
	s_mov_b32 s19, -1
	s_branch .LBB103_109
.LBB103_69:
	s_and_b32 vcc_lo, exec_lo, s20
	s_cbranch_vccz .LBB103_67
; %bb.70:
	v_cmp_gt_i16_e32 vcc_lo, 5, v21
	s_mov_b32 s19, -1
	s_cbranch_vccnz .LBB103_91
; %bb.71:
	v_cmp_gt_i16_e32 vcc_lo, 8, v21
	s_cbranch_vccnz .LBB103_81
; %bb.72:
	v_cmp_gt_i16_e32 vcc_lo, 9, v21
	s_cbranch_vccnz .LBB103_78
; %bb.73:
	v_cmp_lt_i16_e32 vcc_lo, 9, v21
	s_cbranch_vccz .LBB103_75
; %bb.74:
	v_mov_b32_e32 v2, 0
	s_mov_b32 s19, 0
	s_delay_alu instid0(VALU_DEP_1)
	v_mov_b32_e32 v3, v2
	global_store_b128 v[10:11], v[0:3], off
.LBB103_75:
	s_and_not1_b32 vcc_lo, exec_lo, s19
	s_cbranch_vccnz .LBB103_77
; %bb.76:
	v_mov_b32_e32 v5, 0
	global_store_b64 v[10:11], v[4:5], off
.LBB103_77:
	s_mov_b32 s19, 0
.LBB103_78:
	s_delay_alu instid0(SALU_CYCLE_1)
	s_and_not1_b32 vcc_lo, exec_lo, s19
	s_cbranch_vccnz .LBB103_80
; %bb.79:
	v_mov_b32_e32 v2, s27
	global_store_b32 v[10:11], v2, off
.LBB103_80:
	s_mov_b32 s19, 0
.LBB103_81:
	s_delay_alu instid0(SALU_CYCLE_1)
	s_and_not1_b32 vcc_lo, exec_lo, s19
	s_cbranch_vccnz .LBB103_90
; %bb.82:
	v_cmp_gt_i16_e32 vcc_lo, 6, v21
	s_mov_b32 s19, -1
	s_cbranch_vccnz .LBB103_88
; %bb.83:
	v_cmp_lt_i16_e32 vcc_lo, 6, v21
	s_cbranch_vccz .LBB103_85
; %bb.84:
	s_mov_b32 s19, 0
	global_store_b64 v[10:11], v[0:1], off
.LBB103_85:
	s_and_not1_b32 vcc_lo, exec_lo, s19
	s_cbranch_vccnz .LBB103_87
; %bb.86:
	global_store_b32 v[10:11], v4, off
.LBB103_87:
	s_mov_b32 s19, 0
.LBB103_88:
	s_delay_alu instid0(SALU_CYCLE_1)
	s_and_not1_b32 vcc_lo, exec_lo, s19
	s_cbranch_vccnz .LBB103_90
; %bb.89:
	v_mov_b32_e32 v2, s26
	global_store_b16 v[10:11], v2, off
.LBB103_90:
	s_mov_b32 s19, 0
.LBB103_91:
	s_delay_alu instid0(SALU_CYCLE_1)
	s_and_not1_b32 vcc_lo, exec_lo, s19
	s_cbranch_vccnz .LBB103_107
; %bb.92:
	v_cmp_gt_i16_e32 vcc_lo, 2, v21
	s_mov_b32 s19, -1
	s_cbranch_vccnz .LBB103_102
; %bb.93:
	v_cmp_gt_i16_e32 vcc_lo, 3, v21
	s_cbranch_vccnz .LBB103_99
; %bb.94:
	v_cmp_lt_i16_e32 vcc_lo, 3, v21
	s_cbranch_vccz .LBB103_96
; %bb.95:
	s_mov_b32 s19, 0
	global_store_b64 v[10:11], v[6:7], off
.LBB103_96:
	s_and_not1_b32 vcc_lo, exec_lo, s19
	s_cbranch_vccnz .LBB103_98
; %bb.97:
	global_store_b32 v[10:11], v6, off
.LBB103_98:
	s_mov_b32 s19, 0
.LBB103_99:
	s_delay_alu instid0(SALU_CYCLE_1)
	s_and_not1_b32 vcc_lo, exec_lo, s19
	s_cbranch_vccnz .LBB103_101
; %bb.100:
	global_store_b16 v[10:11], v12, off
.LBB103_101:
	s_mov_b32 s19, 0
.LBB103_102:
	s_delay_alu instid0(SALU_CYCLE_1)
	s_and_not1_b32 vcc_lo, exec_lo, s19
	s_cbranch_vccnz .LBB103_107
; %bb.103:
	v_cmp_lt_i16_e32 vcc_lo, 0, v21
	s_mov_b32 s19, -1
	s_cbranch_vccz .LBB103_105
; %bb.104:
	s_mov_b32 s19, 0
	global_store_b8 v[10:11], v12, off
.LBB103_105:
	s_and_not1_b32 vcc_lo, exec_lo, s19
	s_cbranch_vccnz .LBB103_107
; %bb.106:
	global_store_b8 v[10:11], v6, off
.LBB103_107:
	s_branch .LBB103_68
.LBB103_108:
	s_mov_b32 s19, 0
                                        ; implicit-def: $vgpr13
.LBB103_109:
	s_and_b32 s52, s18, exec_lo
	s_or_not1_b32 s18, s19, exec_lo
.LBB103_110:
	s_or_b32 exec_lo, exec_lo, s53
	s_mov_b32 s19, 0
                                        ; implicit-def: $vgpr21
                                        ; implicit-def: $vgpr10_vgpr11
	s_and_saveexec_b32 s53, s18
	s_cbranch_execz .LBB103_117
; %bb.111:
	s_mov_b32 s20, -1
	s_mov_b32 s54, s52
	s_mov_b32 s55, exec_lo
	v_cmpx_gt_i32_e64 s49, v13
	s_cbranch_execz .LBB103_362
; %bb.112:
	s_and_not1_b32 vcc_lo, exec_lo, s24
	s_cbranch_vccnz .LBB103_240
; %bb.113:
	v_mov_b32_e32 v2, 0
	s_and_not1_b32 vcc_lo, exec_lo, s51
	s_cbranch_vccnz .LBB103_245
; %bb.114:
	s_add_i32 s56, s50, 1
	s_cmp_eq_u32 s23, 2
	s_mov_b32 s54, 0
	s_cbranch_scc1 .LBB103_241
; %bb.115:
	v_dual_mov_b32 v2, 0 :: v_dual_mov_b32 v3, v13
	s_and_b32 s54, s56, 28
	s_mov_b32 s57, 0
	s_mov_b64 s[18:19], s[8:9]
	s_mov_b64 s[20:21], s[16:17]
.LBB103_116:                            ; =>This Inner Loop Header: Depth=1
	s_clause 0x1
	s_load_b256 s[60:67], s[18:19], 0x4
	s_load_b128 s[68:71], s[18:19], 0x24
	s_load_b128 s[72:75], s[20:21], 0x0
	s_add_u32 s18, s18, 48
	s_addc_u32 s19, s19, 0
	s_add_i32 s57, s57, 4
	s_add_u32 s20, s20, 16
	s_addc_u32 s21, s21, 0
	s_cmp_eq_u32 s54, s57
	s_waitcnt lgkmcnt(0)
	v_mul_hi_u32 v5, s61, v3
	s_delay_alu instid0(VALU_DEP_1) | instskip(NEXT) | instid1(VALU_DEP_1)
	v_add_nc_u32_e32 v5, v3, v5
	v_lshrrev_b32_e32 v5, s62, v5
	s_delay_alu instid0(VALU_DEP_1) | instskip(SKIP_1) | instid1(VALU_DEP_2)
	v_mul_hi_u32 v10, s64, v5
	v_mul_lo_u32 v22, v5, s60
	v_add_nc_u32_e32 v10, v5, v10
	s_delay_alu instid0(VALU_DEP_2) | instskip(NEXT) | instid1(VALU_DEP_2)
	v_sub_nc_u32_e32 v22, v3, v22
	v_lshrrev_b32_e32 v10, s65, v10
	s_delay_alu instid0(VALU_DEP_2) | instskip(NEXT) | instid1(VALU_DEP_2)
	v_mul_lo_u32 v22, v22, s72
	v_mul_hi_u32 v11, s67, v10
	v_mul_lo_u32 v23, v10, s63
	s_delay_alu instid0(VALU_DEP_2) | instskip(NEXT) | instid1(VALU_DEP_2)
	v_add_nc_u32_e32 v11, v10, v11
	v_sub_nc_u32_e32 v5, v5, v23
	s_delay_alu instid0(VALU_DEP_2) | instskip(NEXT) | instid1(VALU_DEP_2)
	v_lshrrev_b32_e32 v11, s68, v11
	v_mul_lo_u32 v5, v5, s73
	s_delay_alu instid0(VALU_DEP_2) | instskip(NEXT) | instid1(VALU_DEP_2)
	v_mul_hi_u32 v21, s70, v11
	v_add3_u32 v2, v22, v2, v5
	s_delay_alu instid0(VALU_DEP_2) | instskip(NEXT) | instid1(VALU_DEP_1)
	v_add_nc_u32_e32 v21, v11, v21
	v_lshrrev_b32_e32 v3, s71, v21
	v_mul_lo_u32 v21, v11, s66
	s_delay_alu instid0(VALU_DEP_2) | instskip(NEXT) | instid1(VALU_DEP_2)
	v_mul_lo_u32 v24, v3, s69
	v_sub_nc_u32_e32 v10, v10, v21
	s_delay_alu instid0(VALU_DEP_2) | instskip(NEXT) | instid1(VALU_DEP_2)
	v_sub_nc_u32_e32 v11, v11, v24
	v_mul_lo_u32 v10, v10, s74
	s_delay_alu instid0(VALU_DEP_2) | instskip(NEXT) | instid1(VALU_DEP_1)
	v_mul_lo_u32 v11, v11, s75
	v_add3_u32 v2, v10, v2, v11
	s_cbranch_scc0 .LBB103_116
	s_branch .LBB103_242
.LBB103_117:
	s_or_b32 exec_lo, exec_lo, s53
	s_mov_b32 s2, 0
	s_and_saveexec_b32 s4, s52
	s_cbranch_execnz .LBB103_677
.LBB103_118:
	s_or_b32 exec_lo, exec_lo, s4
	s_and_saveexec_b32 s4, s54
	s_delay_alu instid0(SALU_CYCLE_1)
	s_xor_b32 s4, exec_lo, s4
	s_cbranch_execz .LBB103_120
.LBB103_119:
	global_store_b8 v[10:11], v14, off
.LBB103_120:
	s_or_b32 exec_lo, exec_lo, s4
	s_and_saveexec_b32 s4, s19
	s_delay_alu instid0(SALU_CYCLE_1)
	s_xor_b32 s4, exec_lo, s4
	s_cbranch_execz .LBB103_158
; %bb.121:
	v_cmp_gt_i16_e32 vcc_lo, 5, v21
	s_mov_b32 s5, -1
	s_cbranch_vccnz .LBB103_142
; %bb.122:
	v_cmp_gt_i16_e32 vcc_lo, 8, v21
	s_cbranch_vccnz .LBB103_132
; %bb.123:
	v_cmp_gt_i16_e32 vcc_lo, 9, v21
	s_cbranch_vccnz .LBB103_129
; %bb.124:
	v_cmp_lt_i16_e32 vcc_lo, 9, v21
	s_cbranch_vccz .LBB103_126
; %bb.125:
	v_mov_b32_e32 v2, 0
	s_mov_b32 s5, 0
	s_delay_alu instid0(VALU_DEP_1)
	v_mov_b32_e32 v3, v2
	global_store_b128 v[10:11], v[0:3], off
.LBB103_126:
	s_and_not1_b32 vcc_lo, exec_lo, s5
	s_cbranch_vccnz .LBB103_128
; %bb.127:
	v_mov_b32_e32 v5, 0
	global_store_b64 v[10:11], v[4:5], off
.LBB103_128:
	s_mov_b32 s5, 0
.LBB103_129:
	s_delay_alu instid0(SALU_CYCLE_1)
	s_and_not1_b32 vcc_lo, exec_lo, s5
	s_cbranch_vccnz .LBB103_131
; %bb.130:
	v_mov_b32_e32 v2, s27
	global_store_b32 v[10:11], v2, off
.LBB103_131:
	s_mov_b32 s5, 0
.LBB103_132:
	s_delay_alu instid0(SALU_CYCLE_1)
	s_and_not1_b32 vcc_lo, exec_lo, s5
	s_cbranch_vccnz .LBB103_141
; %bb.133:
	v_cmp_gt_i16_e32 vcc_lo, 6, v21
	s_mov_b32 s5, -1
	s_cbranch_vccnz .LBB103_139
; %bb.134:
	v_cmp_lt_i16_e32 vcc_lo, 6, v21
	s_cbranch_vccz .LBB103_136
; %bb.135:
	s_mov_b32 s5, 0
	global_store_b64 v[10:11], v[0:1], off
.LBB103_136:
	s_and_not1_b32 vcc_lo, exec_lo, s5
	s_cbranch_vccnz .LBB103_138
; %bb.137:
	global_store_b32 v[10:11], v4, off
.LBB103_138:
	s_mov_b32 s5, 0
.LBB103_139:
	s_delay_alu instid0(SALU_CYCLE_1)
	s_and_not1_b32 vcc_lo, exec_lo, s5
	s_cbranch_vccnz .LBB103_141
; %bb.140:
	v_mov_b32_e32 v0, s26
	global_store_b16 v[10:11], v0, off
.LBB103_141:
	s_mov_b32 s5, 0
.LBB103_142:
	s_delay_alu instid0(SALU_CYCLE_1)
	s_and_not1_b32 vcc_lo, exec_lo, s5
	s_cbranch_vccnz .LBB103_158
; %bb.143:
	v_cmp_gt_i16_e32 vcc_lo, 2, v21
	s_mov_b32 s5, -1
	s_cbranch_vccnz .LBB103_153
; %bb.144:
	v_cmp_gt_i16_e32 vcc_lo, 3, v21
	s_cbranch_vccnz .LBB103_150
; %bb.145:
	v_cmp_lt_i16_e32 vcc_lo, 3, v21
	s_cbranch_vccz .LBB103_147
; %bb.146:
	s_mov_b32 s5, 0
	global_store_b64 v[10:11], v[6:7], off
.LBB103_147:
	s_and_not1_b32 vcc_lo, exec_lo, s5
	s_cbranch_vccnz .LBB103_149
; %bb.148:
	global_store_b32 v[10:11], v6, off
.LBB103_149:
	s_mov_b32 s5, 0
.LBB103_150:
	s_delay_alu instid0(SALU_CYCLE_1)
	s_and_not1_b32 vcc_lo, exec_lo, s5
	s_cbranch_vccnz .LBB103_152
; %bb.151:
	global_store_b16 v[10:11], v12, off
.LBB103_152:
	s_mov_b32 s5, 0
.LBB103_153:
	s_delay_alu instid0(SALU_CYCLE_1)
	s_and_not1_b32 vcc_lo, exec_lo, s5
	s_cbranch_vccnz .LBB103_158
; %bb.154:
	v_cmp_lt_i16_e32 vcc_lo, 0, v21
	s_mov_b32 s5, -1
	s_cbranch_vccz .LBB103_156
; %bb.155:
	s_mov_b32 s5, 0
	global_store_b8 v[10:11], v12, off
.LBB103_156:
	s_and_not1_b32 vcc_lo, exec_lo, s5
	s_cbranch_vccnz .LBB103_158
; %bb.157:
	global_store_b8 v[10:11], v6, off
.LBB103_158:
	s_or_b32 exec_lo, exec_lo, s4
	s_delay_alu instid0(SALU_CYCLE_1)
	s_and_b32 s6, s2, exec_lo
                                        ; implicit-def: $vgpr4
                                        ; implicit-def: $vgpr13
.LBB103_159:
	s_or_saveexec_b32 s7, s25
	s_mov_b32 s5, 0
                                        ; implicit-def: $vgpr5
                                        ; implicit-def: $vgpr0_vgpr1
                                        ; implicit-def: $sgpr2
	s_xor_b32 exec_lo, exec_lo, s7
	s_cbranch_execz .LBB103_925
; %bb.160:
	v_cndmask_b32_e64 v0, 0, 1, s24
	s_and_not1_b32 vcc_lo, exec_lo, s24
	s_cbranch_vccnz .LBB103_166
; %bb.161:
	v_mov_b32_e32 v3, 0
	s_cmp_eq_u32 s22, 0
	s_mov_b32 s10, 0
	s_cbranch_scc1 .LBB103_170
; %bb.162:
	s_min_u32 s11, s23, 15
	v_mov_b32_e32 v3, 0
	s_add_i32 s11, s11, 1
	s_cmp_eq_u32 s23, 2
	s_mov_b32 s12, 0
	s_cbranch_scc1 .LBB103_167
; %bb.163:
	v_mov_b32_e32 v3, 0
	v_mov_b32_e32 v1, v13
	s_add_u32 s2, s8, 0xc4
	s_addc_u32 s3, s9, 0
	s_and_b32 s12, s11, 28
	s_mov_b32 s13, 0
	s_mov_b64 s[4:5], s[8:9]
.LBB103_164:                            ; =>This Inner Loop Header: Depth=1
	s_clause 0x1
	s_load_b256 s[24:31], s[4:5], 0x4
	s_load_b128 s[16:19], s[4:5], 0x24
	s_load_b128 s[36:39], s[2:3], 0x0
	s_add_u32 s4, s4, 48
	s_addc_u32 s5, s5, 0
	s_add_i32 s13, s13, 4
	s_add_u32 s2, s2, 16
	s_addc_u32 s3, s3, 0
	s_cmp_lg_u32 s12, s13
	s_waitcnt lgkmcnt(0)
	v_mul_hi_u32 v2, s25, v1
	s_delay_alu instid0(VALU_DEP_1) | instskip(NEXT) | instid1(VALU_DEP_1)
	v_add_nc_u32_e32 v2, v1, v2
	v_lshrrev_b32_e32 v2, s26, v2
	s_delay_alu instid0(VALU_DEP_1) | instskip(SKIP_1) | instid1(VALU_DEP_2)
	v_mul_hi_u32 v5, s28, v2
	v_mul_lo_u32 v8, v2, s24
	v_add_nc_u32_e32 v5, v2, v5
	s_delay_alu instid0(VALU_DEP_2) | instskip(NEXT) | instid1(VALU_DEP_2)
	v_sub_nc_u32_e32 v8, v1, v8
	v_lshrrev_b32_e32 v5, s29, v5
	s_delay_alu instid0(VALU_DEP_2) | instskip(NEXT) | instid1(VALU_DEP_2)
	v_mul_lo_u32 v8, v8, s36
	v_mul_hi_u32 v6, s31, v5
	v_mul_lo_u32 v9, v5, s27
	s_delay_alu instid0(VALU_DEP_2) | instskip(NEXT) | instid1(VALU_DEP_2)
	v_add_nc_u32_e32 v6, v5, v6
	v_sub_nc_u32_e32 v2, v2, v9
	s_delay_alu instid0(VALU_DEP_2) | instskip(NEXT) | instid1(VALU_DEP_2)
	v_lshrrev_b32_e32 v6, s16, v6
	v_mul_lo_u32 v2, v2, s37
	s_delay_alu instid0(VALU_DEP_2) | instskip(NEXT) | instid1(VALU_DEP_2)
	v_mul_hi_u32 v7, s18, v6
	v_add3_u32 v2, v8, v3, v2
	s_delay_alu instid0(VALU_DEP_2) | instskip(NEXT) | instid1(VALU_DEP_1)
	v_add_nc_u32_e32 v7, v6, v7
	v_lshrrev_b32_e32 v1, s19, v7
	v_mul_lo_u32 v7, v6, s30
	s_delay_alu instid0(VALU_DEP_2) | instskip(NEXT) | instid1(VALU_DEP_2)
	v_mul_lo_u32 v10, v1, s17
	v_sub_nc_u32_e32 v5, v5, v7
	s_delay_alu instid0(VALU_DEP_2) | instskip(NEXT) | instid1(VALU_DEP_2)
	v_sub_nc_u32_e32 v6, v6, v10
	v_mul_lo_u32 v5, v5, s38
	s_delay_alu instid0(VALU_DEP_2) | instskip(NEXT) | instid1(VALU_DEP_1)
	v_mul_lo_u32 v6, v6, s39
	v_add3_u32 v3, v5, v2, v6
	s_cbranch_scc1 .LBB103_164
; %bb.165:
	s_and_b32 s11, s11, 3
	s_delay_alu instid0(SALU_CYCLE_1)
	s_cmp_eq_u32 s11, 0
	s_cbranch_scc0 .LBB103_168
	s_branch .LBB103_170
.LBB103_166:
	s_mov_b32 s10, -1
                                        ; implicit-def: $vgpr3
	s_branch .LBB103_170
.LBB103_167:
	v_mov_b32_e32 v1, v13
	s_and_b32 s11, s11, 3
	s_delay_alu instid0(SALU_CYCLE_1)
	s_cmp_eq_u32 s11, 0
	s_cbranch_scc1 .LBB103_170
.LBB103_168:
	s_lshl_b32 s2, s12, 2
	s_mul_i32 s4, s12, 12
	s_add_u32 s2, s2, s8
	s_addc_u32 s3, 0, s9
	s_add_u32 s2, s2, 0xc4
	s_addc_u32 s3, s3, 0
	;; [unrolled: 2-line block ×3, first 2 shown]
	.p2align	6
.LBB103_169:                            ; =>This Inner Loop Header: Depth=1
	s_clause 0x1
	s_load_b64 s[12:13], s[4:5], 0x4
	s_load_b32 s14, s[4:5], 0xc
	s_add_u32 s4, s4, 12
	s_addc_u32 s5, s5, 0
	s_waitcnt lgkmcnt(0)
	v_mul_hi_u32 v2, s13, v1
	s_load_b32 s13, s[2:3], 0x0
	s_add_u32 s2, s2, 4
	s_addc_u32 s3, s3, 0
	s_add_i32 s11, s11, -1
	s_delay_alu instid0(SALU_CYCLE_1) | instskip(NEXT) | instid1(VALU_DEP_1)
	s_cmp_lg_u32 s11, 0
	v_add_nc_u32_e32 v2, v1, v2
	s_delay_alu instid0(VALU_DEP_1) | instskip(NEXT) | instid1(VALU_DEP_1)
	v_lshrrev_b32_e32 v2, s14, v2
	v_mul_lo_u32 v5, v2, s12
	s_delay_alu instid0(VALU_DEP_1) | instskip(SKIP_1) | instid1(VALU_DEP_1)
	v_sub_nc_u32_e32 v1, v1, v5
	s_waitcnt lgkmcnt(0)
	v_mad_u64_u32 v[5:6], null, v1, s13, v[3:4]
	v_mov_b32_e32 v1, v2
	s_delay_alu instid0(VALU_DEP_2)
	v_mov_b32_e32 v3, v5
	s_cbranch_scc1 .LBB103_169
.LBB103_170:
	s_and_not1_b32 vcc_lo, exec_lo, s10
	s_cbranch_vccnz .LBB103_173
; %bb.171:
	s_clause 0x1
	s_load_b128 s[12:15], s[8:9], 0x4
	s_load_b32 s2, s[8:9], 0xc4
	s_cmp_lt_u32 s22, 2
	s_waitcnt lgkmcnt(0)
	v_mul_hi_u32 v1, s13, v13
	s_delay_alu instid0(VALU_DEP_1) | instskip(NEXT) | instid1(VALU_DEP_1)
	v_add_nc_u32_e32 v1, v13, v1
	v_lshrrev_b32_e32 v1, s14, v1
	s_delay_alu instid0(VALU_DEP_1) | instskip(NEXT) | instid1(VALU_DEP_1)
	v_mul_lo_u32 v2, v1, s12
	v_sub_nc_u32_e32 v2, v13, v2
	s_delay_alu instid0(VALU_DEP_1)
	v_mul_lo_u32 v3, v2, s2
	s_cbranch_scc1 .LBB103_173
; %bb.172:
	s_clause 0x1
	s_load_b128 s[12:15], s[8:9], 0x10
	s_load_b32 s2, s[8:9], 0xc8
	s_waitcnt lgkmcnt(0)
	v_mul_hi_u32 v2, s13, v1
	s_delay_alu instid0(VALU_DEP_1) | instskip(NEXT) | instid1(VALU_DEP_1)
	v_add_nc_u32_e32 v2, v1, v2
	v_lshrrev_b32_e32 v2, s14, v2
	s_delay_alu instid0(VALU_DEP_1) | instskip(NEXT) | instid1(VALU_DEP_1)
	v_mul_lo_u32 v2, v2, s12
	v_sub_nc_u32_e32 v5, v1, v2
	s_delay_alu instid0(VALU_DEP_1) | instskip(NEXT) | instid1(VALU_DEP_1)
	v_mad_u64_u32 v[1:2], null, v5, s2, v[3:4]
	v_mov_b32_e32 v3, v1
.LBB103_173:
	v_cmp_ne_u32_e32 vcc_lo, 1, v0
	v_add_nc_u32_e32 v1, 0x80, v13
	s_cbranch_vccnz .LBB103_179
; %bb.174:
	v_mov_b32_e32 v2, 0
	s_cmp_eq_u32 s22, 0
	s_mov_b32 s10, 0
	s_cbranch_scc1 .LBB103_183
; %bb.175:
	s_min_u32 s11, s23, 15
	v_mov_b32_e32 v2, 0
	s_add_i32 s11, s11, 1
	s_cmp_eq_u32 s23, 2
	s_mov_b32 s12, 0
	s_cbranch_scc1 .LBB103_180
; %bb.176:
	v_dual_mov_b32 v2, 0 :: v_dual_mov_b32 v5, v1
	s_add_u32 s2, s8, 0xc4
	s_addc_u32 s3, s9, 0
	s_and_b32 s12, s11, 28
	s_mov_b32 s13, 0
	s_mov_b64 s[4:5], s[8:9]
.LBB103_177:                            ; =>This Inner Loop Header: Depth=1
	s_clause 0x1
	s_load_b256 s[24:31], s[4:5], 0x4
	s_load_b128 s[16:19], s[4:5], 0x24
	s_load_b128 s[36:39], s[2:3], 0x0
	s_add_u32 s4, s4, 48
	s_addc_u32 s5, s5, 0
	s_add_i32 s13, s13, 4
	s_add_u32 s2, s2, 16
	s_addc_u32 s3, s3, 0
	s_cmp_lg_u32 s12, s13
	s_waitcnt lgkmcnt(0)
	v_mul_hi_u32 v6, s25, v5
	s_delay_alu instid0(VALU_DEP_1) | instskip(NEXT) | instid1(VALU_DEP_1)
	v_add_nc_u32_e32 v6, v5, v6
	v_lshrrev_b32_e32 v6, s26, v6
	s_delay_alu instid0(VALU_DEP_1) | instskip(SKIP_1) | instid1(VALU_DEP_2)
	v_mul_hi_u32 v7, s28, v6
	v_mul_lo_u32 v10, v6, s24
	v_add_nc_u32_e32 v7, v6, v7
	s_delay_alu instid0(VALU_DEP_2) | instskip(NEXT) | instid1(VALU_DEP_2)
	v_sub_nc_u32_e32 v10, v5, v10
	v_lshrrev_b32_e32 v7, s29, v7
	s_delay_alu instid0(VALU_DEP_2) | instskip(NEXT) | instid1(VALU_DEP_2)
	v_mul_lo_u32 v10, v10, s36
	v_mul_hi_u32 v8, s31, v7
	v_mul_lo_u32 v11, v7, s27
	s_delay_alu instid0(VALU_DEP_2) | instskip(NEXT) | instid1(VALU_DEP_2)
	v_add_nc_u32_e32 v8, v7, v8
	v_sub_nc_u32_e32 v6, v6, v11
	s_delay_alu instid0(VALU_DEP_2) | instskip(NEXT) | instid1(VALU_DEP_2)
	v_lshrrev_b32_e32 v8, s16, v8
	v_mul_lo_u32 v6, v6, s37
	s_delay_alu instid0(VALU_DEP_2) | instskip(NEXT) | instid1(VALU_DEP_2)
	v_mul_hi_u32 v9, s18, v8
	v_add3_u32 v2, v10, v2, v6
	s_delay_alu instid0(VALU_DEP_2) | instskip(NEXT) | instid1(VALU_DEP_1)
	v_add_nc_u32_e32 v9, v8, v9
	v_lshrrev_b32_e32 v5, s19, v9
	v_mul_lo_u32 v9, v8, s30
	s_delay_alu instid0(VALU_DEP_2) | instskip(NEXT) | instid1(VALU_DEP_2)
	v_mul_lo_u32 v12, v5, s17
	v_sub_nc_u32_e32 v7, v7, v9
	s_delay_alu instid0(VALU_DEP_2) | instskip(NEXT) | instid1(VALU_DEP_2)
	v_sub_nc_u32_e32 v8, v8, v12
	v_mul_lo_u32 v7, v7, s38
	s_delay_alu instid0(VALU_DEP_2) | instskip(NEXT) | instid1(VALU_DEP_1)
	v_mul_lo_u32 v8, v8, s39
	v_add3_u32 v2, v7, v2, v8
	s_cbranch_scc1 .LBB103_177
; %bb.178:
	s_and_b32 s11, s11, 3
	s_delay_alu instid0(SALU_CYCLE_1)
	s_cmp_eq_u32 s11, 0
	s_cbranch_scc0 .LBB103_181
	s_branch .LBB103_183
.LBB103_179:
	s_mov_b32 s10, -1
                                        ; implicit-def: $vgpr2
	s_branch .LBB103_183
.LBB103_180:
	v_mov_b32_e32 v5, v1
	s_and_b32 s11, s11, 3
	s_delay_alu instid0(SALU_CYCLE_1)
	s_cmp_eq_u32 s11, 0
	s_cbranch_scc1 .LBB103_183
.LBB103_181:
	s_lshl_b32 s2, s12, 2
	s_mul_i32 s4, s12, 12
	s_add_u32 s2, s2, s8
	s_addc_u32 s3, 0, s9
	s_add_u32 s2, s2, 0xc4
	s_addc_u32 s3, s3, 0
	;; [unrolled: 2-line block ×3, first 2 shown]
	.p2align	6
.LBB103_182:                            ; =>This Inner Loop Header: Depth=1
	s_clause 0x1
	s_load_b64 s[12:13], s[4:5], 0x4
	s_load_b32 s14, s[4:5], 0xc
	s_add_u32 s4, s4, 12
	s_addc_u32 s5, s5, 0
	s_waitcnt lgkmcnt(0)
	v_mul_hi_u32 v6, s13, v5
	s_load_b32 s13, s[2:3], 0x0
	s_add_u32 s2, s2, 4
	s_addc_u32 s3, s3, 0
	s_add_i32 s11, s11, -1
	s_delay_alu instid0(SALU_CYCLE_1) | instskip(NEXT) | instid1(VALU_DEP_1)
	s_cmp_lg_u32 s11, 0
	v_add_nc_u32_e32 v6, v5, v6
	s_delay_alu instid0(VALU_DEP_1) | instskip(NEXT) | instid1(VALU_DEP_1)
	v_lshrrev_b32_e32 v8, s14, v6
	v_mul_lo_u32 v6, v8, s12
	s_delay_alu instid0(VALU_DEP_1) | instskip(SKIP_1) | instid1(VALU_DEP_1)
	v_sub_nc_u32_e32 v5, v5, v6
	s_waitcnt lgkmcnt(0)
	v_mad_u64_u32 v[6:7], null, v5, s13, v[2:3]
	s_delay_alu instid0(VALU_DEP_1)
	v_dual_mov_b32 v5, v8 :: v_dual_mov_b32 v2, v6
	s_cbranch_scc1 .LBB103_182
.LBB103_183:
	s_and_not1_b32 vcc_lo, exec_lo, s10
	s_cbranch_vccnz .LBB103_186
; %bb.184:
	s_clause 0x1
	s_load_b128 s[12:15], s[8:9], 0x4
	s_load_b32 s2, s[8:9], 0xc4
	s_cmp_lt_u32 s22, 2
	s_waitcnt lgkmcnt(0)
	v_mul_hi_u32 v2, s13, v1
	s_delay_alu instid0(VALU_DEP_1) | instskip(NEXT) | instid1(VALU_DEP_1)
	v_add_nc_u32_e32 v2, v1, v2
	v_lshrrev_b32_e32 v5, s14, v2
	s_delay_alu instid0(VALU_DEP_1) | instskip(NEXT) | instid1(VALU_DEP_1)
	v_mul_lo_u32 v2, v5, s12
	v_sub_nc_u32_e32 v1, v1, v2
	s_delay_alu instid0(VALU_DEP_1)
	v_mul_lo_u32 v2, v1, s2
	s_cbranch_scc1 .LBB103_186
; %bb.185:
	s_clause 0x1
	s_load_b128 s[12:15], s[8:9], 0x10
	s_load_b32 s2, s[8:9], 0xc8
	s_waitcnt lgkmcnt(0)
	v_mul_hi_u32 v1, s13, v5
	s_delay_alu instid0(VALU_DEP_1) | instskip(NEXT) | instid1(VALU_DEP_1)
	v_add_nc_u32_e32 v1, v5, v1
	v_lshrrev_b32_e32 v1, s14, v1
	s_delay_alu instid0(VALU_DEP_1) | instskip(NEXT) | instid1(VALU_DEP_1)
	v_mul_lo_u32 v1, v1, s12
	v_sub_nc_u32_e32 v1, v5, v1
	s_delay_alu instid0(VALU_DEP_1) | instskip(NEXT) | instid1(VALU_DEP_1)
	v_mad_u64_u32 v[5:6], null, v1, s2, v[2:3]
	v_mov_b32_e32 v2, v5
.LBB103_186:
	v_cmp_ne_u32_e32 vcc_lo, 1, v0
	v_add_nc_u32_e32 v5, 0x100, v13
	s_cbranch_vccnz .LBB103_192
; %bb.187:
	v_mov_b32_e32 v1, 0
	s_cmp_eq_u32 s22, 0
	s_mov_b32 s10, 0
	s_cbranch_scc1 .LBB103_196
; %bb.188:
	s_min_u32 s11, s23, 15
	v_mov_b32_e32 v1, 0
	s_add_i32 s11, s11, 1
	s_cmp_eq_u32 s23, 2
	s_mov_b32 s12, 0
	s_cbranch_scc1 .LBB103_193
; %bb.189:
	v_dual_mov_b32 v1, 0 :: v_dual_mov_b32 v6, v5
	s_add_u32 s2, s8, 0xc4
	s_addc_u32 s3, s9, 0
	s_and_b32 s12, s11, 28
	s_mov_b32 s13, 0
	s_mov_b64 s[4:5], s[8:9]
.LBB103_190:                            ; =>This Inner Loop Header: Depth=1
	s_clause 0x1
	s_load_b256 s[24:31], s[4:5], 0x4
	s_load_b128 s[16:19], s[4:5], 0x24
	s_load_b128 s[36:39], s[2:3], 0x0
	s_add_u32 s4, s4, 48
	s_addc_u32 s5, s5, 0
	s_add_i32 s13, s13, 4
	s_add_u32 s2, s2, 16
	s_addc_u32 s3, s3, 0
	s_cmp_lg_u32 s12, s13
	s_waitcnt lgkmcnt(0)
	v_mul_hi_u32 v7, s25, v6
	s_delay_alu instid0(VALU_DEP_1) | instskip(NEXT) | instid1(VALU_DEP_1)
	v_add_nc_u32_e32 v7, v6, v7
	v_lshrrev_b32_e32 v7, s26, v7
	s_delay_alu instid0(VALU_DEP_1) | instskip(SKIP_1) | instid1(VALU_DEP_2)
	v_mul_hi_u32 v8, s28, v7
	v_mul_lo_u32 v11, v7, s24
	v_add_nc_u32_e32 v8, v7, v8
	s_delay_alu instid0(VALU_DEP_2) | instskip(NEXT) | instid1(VALU_DEP_2)
	v_sub_nc_u32_e32 v11, v6, v11
	v_lshrrev_b32_e32 v8, s29, v8
	s_delay_alu instid0(VALU_DEP_2) | instskip(NEXT) | instid1(VALU_DEP_2)
	v_mul_lo_u32 v11, v11, s36
	v_mul_hi_u32 v9, s31, v8
	v_mul_lo_u32 v12, v8, s27
	s_delay_alu instid0(VALU_DEP_2) | instskip(NEXT) | instid1(VALU_DEP_2)
	v_add_nc_u32_e32 v9, v8, v9
	v_sub_nc_u32_e32 v7, v7, v12
	s_delay_alu instid0(VALU_DEP_2) | instskip(NEXT) | instid1(VALU_DEP_2)
	v_lshrrev_b32_e32 v9, s16, v9
	v_mul_lo_u32 v7, v7, s37
	s_delay_alu instid0(VALU_DEP_2) | instskip(NEXT) | instid1(VALU_DEP_2)
	v_mul_hi_u32 v10, s18, v9
	v_add3_u32 v1, v11, v1, v7
	s_delay_alu instid0(VALU_DEP_2) | instskip(NEXT) | instid1(VALU_DEP_1)
	v_add_nc_u32_e32 v10, v9, v10
	v_lshrrev_b32_e32 v6, s19, v10
	v_mul_lo_u32 v10, v9, s30
	s_delay_alu instid0(VALU_DEP_2) | instskip(NEXT) | instid1(VALU_DEP_2)
	v_mul_lo_u32 v13, v6, s17
	v_sub_nc_u32_e32 v8, v8, v10
	s_delay_alu instid0(VALU_DEP_2) | instskip(NEXT) | instid1(VALU_DEP_2)
	v_sub_nc_u32_e32 v9, v9, v13
	v_mul_lo_u32 v8, v8, s38
	s_delay_alu instid0(VALU_DEP_2) | instskip(NEXT) | instid1(VALU_DEP_1)
	v_mul_lo_u32 v9, v9, s39
	v_add3_u32 v1, v8, v1, v9
	s_cbranch_scc1 .LBB103_190
; %bb.191:
	s_and_b32 s11, s11, 3
	s_delay_alu instid0(SALU_CYCLE_1)
	s_cmp_eq_u32 s11, 0
	s_cbranch_scc0 .LBB103_194
	s_branch .LBB103_196
.LBB103_192:
	s_mov_b32 s10, -1
                                        ; implicit-def: $vgpr1
	s_branch .LBB103_196
.LBB103_193:
	v_mov_b32_e32 v6, v5
	s_and_b32 s11, s11, 3
	s_delay_alu instid0(SALU_CYCLE_1)
	s_cmp_eq_u32 s11, 0
	s_cbranch_scc1 .LBB103_196
.LBB103_194:
	s_lshl_b32 s2, s12, 2
	s_mul_i32 s4, s12, 12
	s_add_u32 s2, s2, s8
	s_addc_u32 s3, 0, s9
	s_add_u32 s2, s2, 0xc4
	s_addc_u32 s3, s3, 0
	;; [unrolled: 2-line block ×3, first 2 shown]
	.p2align	6
.LBB103_195:                            ; =>This Inner Loop Header: Depth=1
	s_clause 0x1
	s_load_b64 s[12:13], s[4:5], 0x4
	s_load_b32 s14, s[4:5], 0xc
	s_add_u32 s4, s4, 12
	s_addc_u32 s5, s5, 0
	s_waitcnt lgkmcnt(0)
	v_mul_hi_u32 v7, s13, v6
	s_load_b32 s13, s[2:3], 0x0
	s_add_u32 s2, s2, 4
	s_addc_u32 s3, s3, 0
	s_add_i32 s11, s11, -1
	s_delay_alu instid0(SALU_CYCLE_1) | instskip(NEXT) | instid1(VALU_DEP_1)
	s_cmp_lg_u32 s11, 0
	v_add_nc_u32_e32 v7, v6, v7
	s_delay_alu instid0(VALU_DEP_1) | instskip(NEXT) | instid1(VALU_DEP_1)
	v_lshrrev_b32_e32 v9, s14, v7
	v_mul_lo_u32 v7, v9, s12
	s_delay_alu instid0(VALU_DEP_1) | instskip(SKIP_1) | instid1(VALU_DEP_1)
	v_sub_nc_u32_e32 v6, v6, v7
	s_waitcnt lgkmcnt(0)
	v_mad_u64_u32 v[7:8], null, v6, s13, v[1:2]
	s_delay_alu instid0(VALU_DEP_1)
	v_dual_mov_b32 v6, v9 :: v_dual_mov_b32 v1, v7
	s_cbranch_scc1 .LBB103_195
.LBB103_196:
	s_and_not1_b32 vcc_lo, exec_lo, s10
	s_cbranch_vccnz .LBB103_199
; %bb.197:
	s_clause 0x1
	s_load_b128 s[12:15], s[8:9], 0x4
	s_load_b32 s2, s[8:9], 0xc4
	s_cmp_lt_u32 s22, 2
	s_waitcnt lgkmcnt(0)
	v_mul_hi_u32 v1, s13, v5
	s_delay_alu instid0(VALU_DEP_1) | instskip(NEXT) | instid1(VALU_DEP_1)
	v_add_nc_u32_e32 v1, v5, v1
	v_lshrrev_b32_e32 v6, s14, v1
	s_delay_alu instid0(VALU_DEP_1) | instskip(NEXT) | instid1(VALU_DEP_1)
	v_mul_lo_u32 v1, v6, s12
	v_sub_nc_u32_e32 v1, v5, v1
	s_delay_alu instid0(VALU_DEP_1)
	v_mul_lo_u32 v1, v1, s2
	s_cbranch_scc1 .LBB103_199
; %bb.198:
	s_clause 0x1
	s_load_b128 s[12:15], s[8:9], 0x10
	s_load_b32 s2, s[8:9], 0xc8
	s_waitcnt lgkmcnt(0)
	v_mul_hi_u32 v5, s13, v6
	s_delay_alu instid0(VALU_DEP_1) | instskip(NEXT) | instid1(VALU_DEP_1)
	v_add_nc_u32_e32 v5, v6, v5
	v_lshrrev_b32_e32 v5, s14, v5
	s_delay_alu instid0(VALU_DEP_1) | instskip(NEXT) | instid1(VALU_DEP_1)
	v_mul_lo_u32 v5, v5, s12
	v_sub_nc_u32_e32 v7, v6, v5
	s_delay_alu instid0(VALU_DEP_1) | instskip(NEXT) | instid1(VALU_DEP_1)
	v_mad_u64_u32 v[5:6], null, v7, s2, v[1:2]
	v_mov_b32_e32 v1, v5
.LBB103_199:
	v_cmp_ne_u32_e32 vcc_lo, 1, v0
	s_cbranch_vccnz .LBB103_205
; %bb.200:
	v_mov_b32_e32 v0, 0
	s_cmp_eq_u32 s22, 0
	s_mov_b32 s10, 0
	s_cbranch_scc1 .LBB103_209
; %bb.201:
	s_min_u32 s11, s23, 15
	v_mov_b32_e32 v0, 0
	s_add_i32 s11, s11, 1
	s_cmp_eq_u32 s23, 2
	s_mov_b32 s12, 0
	s_cbranch_scc1 .LBB103_206
; %bb.202:
	v_dual_mov_b32 v0, 0 :: v_dual_mov_b32 v5, v4
	s_add_u32 s2, s8, 0xc4
	s_addc_u32 s3, s9, 0
	s_and_b32 s12, s11, 28
	s_mov_b32 s13, 0
	s_mov_b64 s[4:5], s[8:9]
.LBB103_203:                            ; =>This Inner Loop Header: Depth=1
	s_clause 0x1
	s_load_b256 s[24:31], s[4:5], 0x4
	s_load_b128 s[16:19], s[4:5], 0x24
	s_load_b128 s[36:39], s[2:3], 0x0
	s_add_u32 s4, s4, 48
	s_addc_u32 s5, s5, 0
	s_add_i32 s13, s13, 4
	s_add_u32 s2, s2, 16
	s_addc_u32 s3, s3, 0
	s_cmp_lg_u32 s12, s13
	s_waitcnt lgkmcnt(0)
	v_mul_hi_u32 v6, s25, v5
	s_delay_alu instid0(VALU_DEP_1) | instskip(NEXT) | instid1(VALU_DEP_1)
	v_add_nc_u32_e32 v6, v5, v6
	v_lshrrev_b32_e32 v6, s26, v6
	s_delay_alu instid0(VALU_DEP_1) | instskip(SKIP_1) | instid1(VALU_DEP_2)
	v_mul_hi_u32 v7, s28, v6
	v_mul_lo_u32 v10, v6, s24
	v_add_nc_u32_e32 v7, v6, v7
	s_delay_alu instid0(VALU_DEP_2) | instskip(NEXT) | instid1(VALU_DEP_2)
	v_sub_nc_u32_e32 v10, v5, v10
	v_lshrrev_b32_e32 v7, s29, v7
	s_delay_alu instid0(VALU_DEP_2) | instskip(NEXT) | instid1(VALU_DEP_2)
	v_mul_lo_u32 v10, v10, s36
	v_mul_hi_u32 v8, s31, v7
	v_mul_lo_u32 v11, v7, s27
	s_delay_alu instid0(VALU_DEP_2) | instskip(NEXT) | instid1(VALU_DEP_2)
	v_add_nc_u32_e32 v8, v7, v8
	v_sub_nc_u32_e32 v6, v6, v11
	s_delay_alu instid0(VALU_DEP_2) | instskip(NEXT) | instid1(VALU_DEP_2)
	v_lshrrev_b32_e32 v8, s16, v8
	v_mul_lo_u32 v6, v6, s37
	s_delay_alu instid0(VALU_DEP_2) | instskip(NEXT) | instid1(VALU_DEP_2)
	v_mul_hi_u32 v9, s18, v8
	v_add3_u32 v0, v10, v0, v6
	s_delay_alu instid0(VALU_DEP_2) | instskip(NEXT) | instid1(VALU_DEP_1)
	v_add_nc_u32_e32 v9, v8, v9
	v_lshrrev_b32_e32 v5, s19, v9
	v_mul_lo_u32 v9, v8, s30
	s_delay_alu instid0(VALU_DEP_2) | instskip(NEXT) | instid1(VALU_DEP_2)
	v_mul_lo_u32 v12, v5, s17
	v_sub_nc_u32_e32 v7, v7, v9
	s_delay_alu instid0(VALU_DEP_2) | instskip(NEXT) | instid1(VALU_DEP_2)
	v_sub_nc_u32_e32 v8, v8, v12
	v_mul_lo_u32 v7, v7, s38
	s_delay_alu instid0(VALU_DEP_2) | instskip(NEXT) | instid1(VALU_DEP_1)
	v_mul_lo_u32 v8, v8, s39
	v_add3_u32 v0, v7, v0, v8
	s_cbranch_scc1 .LBB103_203
; %bb.204:
	s_and_b32 s11, s11, 3
	s_delay_alu instid0(SALU_CYCLE_1)
	s_cmp_eq_u32 s11, 0
	s_cbranch_scc0 .LBB103_207
	s_branch .LBB103_209
.LBB103_205:
	s_mov_b32 s10, -1
                                        ; implicit-def: $vgpr0
	s_branch .LBB103_209
.LBB103_206:
	v_mov_b32_e32 v5, v4
	s_and_b32 s11, s11, 3
	s_delay_alu instid0(SALU_CYCLE_1)
	s_cmp_eq_u32 s11, 0
	s_cbranch_scc1 .LBB103_209
.LBB103_207:
	s_lshl_b32 s2, s12, 2
	s_mul_i32 s4, s12, 12
	s_add_u32 s2, s2, s8
	s_addc_u32 s3, 0, s9
	s_add_u32 s2, s2, 0xc4
	s_addc_u32 s3, s3, 0
	;; [unrolled: 2-line block ×3, first 2 shown]
	.p2align	6
.LBB103_208:                            ; =>This Inner Loop Header: Depth=1
	s_clause 0x1
	s_load_b64 s[12:13], s[4:5], 0x4
	s_load_b32 s14, s[4:5], 0xc
	s_add_u32 s4, s4, 12
	s_addc_u32 s5, s5, 0
	s_waitcnt lgkmcnt(0)
	v_mul_hi_u32 v6, s13, v5
	s_load_b32 s13, s[2:3], 0x0
	s_add_u32 s2, s2, 4
	s_addc_u32 s3, s3, 0
	s_add_i32 s11, s11, -1
	s_delay_alu instid0(SALU_CYCLE_1) | instskip(NEXT) | instid1(VALU_DEP_1)
	s_cmp_lg_u32 s11, 0
	v_add_nc_u32_e32 v6, v5, v6
	s_delay_alu instid0(VALU_DEP_1) | instskip(NEXT) | instid1(VALU_DEP_1)
	v_lshrrev_b32_e32 v8, s14, v6
	v_mul_lo_u32 v6, v8, s12
	s_delay_alu instid0(VALU_DEP_1) | instskip(SKIP_1) | instid1(VALU_DEP_1)
	v_sub_nc_u32_e32 v5, v5, v6
	s_waitcnt lgkmcnt(0)
	v_mad_u64_u32 v[6:7], null, v5, s13, v[0:1]
	s_delay_alu instid0(VALU_DEP_1)
	v_dual_mov_b32 v5, v8 :: v_dual_mov_b32 v0, v6
	s_cbranch_scc1 .LBB103_208
.LBB103_209:
	s_and_not1_b32 vcc_lo, exec_lo, s10
	s_cbranch_vccnz .LBB103_212
; %bb.210:
	s_clause 0x1
	s_load_b128 s[12:15], s[8:9], 0x4
	s_load_b32 s2, s[8:9], 0xc4
	s_cmp_lt_u32 s22, 2
	s_waitcnt lgkmcnt(0)
	v_mul_hi_u32 v0, s13, v4
	s_delay_alu instid0(VALU_DEP_1) | instskip(NEXT) | instid1(VALU_DEP_1)
	v_add_nc_u32_e32 v0, v4, v0
	v_lshrrev_b32_e32 v5, s14, v0
	s_delay_alu instid0(VALU_DEP_1) | instskip(NEXT) | instid1(VALU_DEP_1)
	v_mul_lo_u32 v0, v5, s12
	v_sub_nc_u32_e32 v0, v4, v0
	s_delay_alu instid0(VALU_DEP_1)
	v_mul_lo_u32 v0, v0, s2
	s_cbranch_scc1 .LBB103_212
; %bb.211:
	s_clause 0x1
	s_load_b128 s[12:15], s[8:9], 0x10
	s_load_b32 s2, s[8:9], 0xc8
	s_waitcnt lgkmcnt(0)
	v_mul_hi_u32 v4, s13, v5
	s_delay_alu instid0(VALU_DEP_1) | instskip(NEXT) | instid1(VALU_DEP_1)
	v_add_nc_u32_e32 v4, v5, v4
	v_lshrrev_b32_e32 v4, s14, v4
	s_delay_alu instid0(VALU_DEP_1) | instskip(NEXT) | instid1(VALU_DEP_1)
	v_mul_lo_u32 v4, v4, s12
	v_sub_nc_u32_e32 v6, v5, v4
	s_delay_alu instid0(VALU_DEP_1) | instskip(NEXT) | instid1(VALU_DEP_1)
	v_mad_u64_u32 v[4:5], null, v6, s2, v[0:1]
	v_mov_b32_e32 v0, v4
.LBB103_212:
	s_clause 0x2
	s_load_b32 s3, s[0:1], 0x118
	s_load_b64 s[0:1], s[8:9], 0x108
	s_load_b32 s2, s[8:9], 0x110
	s_mov_b32 s5, 0
	s_mov_b32 s4, -1
	s_waitcnt lgkmcnt(0)
	s_lshr_b32 s3, s3, 16
	s_delay_alu instid0(SALU_CYCLE_1) | instskip(SKIP_1) | instid1(VALU_DEP_1)
	v_and_b32_e64 v5, 0xff, s3
	v_add_co_u32 v3, s3, s0, v3
	v_add_co_ci_u32_e64 v4, null, s1, 0, s3
	s_delay_alu instid0(VALU_DEP_3)
	v_cmp_gt_i16_e32 vcc_lo, 11, v5
	s_mov_b32 s3, s6
	s_cbranch_vccnz .LBB103_471
; %bb.213:
	v_cmp_lt_i16_e32 vcc_lo, 25, v5
	s_mov_b32 s8, -1
	s_mov_b32 s4, 0
	s_mov_b32 s3, 0
	s_cbranch_vccz .LBB103_306
; %bb.214:
	v_cmp_lt_i16_e32 vcc_lo, 28, v5
	s_cbranch_vccz .LBB103_229
; %bb.215:
	v_cmp_lt_i16_e32 vcc_lo, 43, v5
	;; [unrolled: 3-line block ×3, first 2 shown]
	s_cbranch_vccz .LBB103_219
; %bb.217:
	v_cmp_eq_u16_e32 vcc_lo, 46, v5
	s_mov_b32 s3, -1
	s_mov_b32 s8, 0
	s_cbranch_vccz .LBB103_219
; %bb.218:
	v_cvt_f32_f16_e32 v6, s2
	v_cmp_o_f16_e64 vcc_lo, s2, s2
	s_mov_b32 s3, 0
	s_mov_b32 s5, -1
	s_delay_alu instid0(VALU_DEP_2) | instskip(NEXT) | instid1(VALU_DEP_1)
	v_bfe_u32 v7, v6, 16, 1
	v_add_nc_u32_e32 v6, v6, v7
	s_delay_alu instid0(VALU_DEP_1) | instskip(NEXT) | instid1(VALU_DEP_1)
	v_add_nc_u32_e32 v6, 0x7fff, v6
	v_lshrrev_b32_e32 v6, 16, v6
	s_delay_alu instid0(VALU_DEP_1)
	v_cndmask_b32_e32 v6, 0x7fc0, v6, vcc_lo
	global_store_b32 v[3:4], v6, off
.LBB103_219:
	s_and_b32 vcc_lo, exec_lo, s8
	s_cbranch_vccz .LBB103_224
; %bb.220:
	v_cmp_eq_u16_e32 vcc_lo, 44, v5
	s_mov_b32 s3, -1
	s_cbranch_vccz .LBB103_224
; %bb.221:
	v_cvt_f32_f16_e32 v6, s2
	v_mov_b32_e32 v7, 0xff
	s_delay_alu instid0(VALU_DEP_2) | instskip(NEXT) | instid1(VALU_DEP_1)
	v_readfirstlane_b32 s3, v6
	s_bfe_u32 s5, s3, 0x80017
	s_delay_alu instid0(SALU_CYCLE_1)
	s_cmpk_eq_i32 s5, 0xff
	s_cbranch_scc1 .LBB103_223
; %bb.222:
	s_bitcmp1_b32 s3, 22
	v_lshrrev_b32_e32 v6, 23, v6
	s_cselect_b32 s8, -1, 0
	s_and_b32 s3, s3, 0x3fffff
	s_delay_alu instid0(SALU_CYCLE_1) | instskip(NEXT) | instid1(SALU_CYCLE_1)
	s_or_b32 s3, s5, s3
	s_cmp_lg_u32 s3, 0
	s_cselect_b32 s3, -1, 0
	s_delay_alu instid0(SALU_CYCLE_1) | instskip(NEXT) | instid1(SALU_CYCLE_1)
	s_and_b32 s3, s8, s3
	v_cndmask_b32_e64 v7, 0, 1, s3
	s_delay_alu instid0(VALU_DEP_1)
	v_add_nc_u32_e32 v7, v6, v7
.LBB103_223:
	s_mov_b32 s3, 0
	s_mov_b32 s5, -1
	global_store_b8 v[3:4], v7, off
.LBB103_224:
	s_mov_b32 s8, 0
.LBB103_225:
	s_delay_alu instid0(SALU_CYCLE_1)
	s_and_b32 vcc_lo, exec_lo, s8
	s_cbranch_vccz .LBB103_228
; %bb.226:
	v_cmp_eq_u16_e32 vcc_lo, 29, v5
	s_mov_b32 s3, -1
	s_cbranch_vccz .LBB103_228
; %bb.227:
	v_cvt_f32_f16_e32 v6, s2
	v_mov_b32_e32 v7, 0
	s_mov_b32 s3, 0
	s_mov_b32 s5, -1
	s_delay_alu instid0(VALU_DEP_2)
	v_cvt_u32_f32_e32 v6, v6
	global_store_b64 v[3:4], v[6:7], off
.LBB103_228:
	s_mov_b32 s8, 0
.LBB103_229:
	s_delay_alu instid0(SALU_CYCLE_1)
	s_and_b32 vcc_lo, exec_lo, s8
	s_cbranch_vccz .LBB103_305
; %bb.230:
	v_cmp_gt_i16_e32 vcc_lo, 27, v5
	s_mov_b32 s5, -1
	s_cbranch_vccnz .LBB103_236
; %bb.231:
	v_cmp_lt_i16_e32 vcc_lo, 27, v5
	s_cbranch_vccz .LBB103_233
; %bb.232:
	v_cvt_f32_f16_e32 v6, s2
	s_mov_b32 s5, 0
	s_delay_alu instid0(VALU_DEP_1)
	v_cvt_u32_f32_e32 v6, v6
	global_store_b32 v[3:4], v6, off
.LBB103_233:
	s_and_not1_b32 vcc_lo, exec_lo, s5
	s_cbranch_vccnz .LBB103_235
; %bb.234:
	v_cvt_u16_f16_e32 v6, s2
	global_store_b16 v[3:4], v6, off
.LBB103_235:
	s_mov_b32 s5, 0
.LBB103_236:
	s_delay_alu instid0(SALU_CYCLE_1)
	s_and_not1_b32 vcc_lo, exec_lo, s5
	s_cbranch_vccnz .LBB103_304
; %bb.237:
	v_cvt_f32_f16_e32 v6, s2
	v_mov_b32_e32 v7, 0x80
	s_delay_alu instid0(VALU_DEP_2) | instskip(NEXT) | instid1(VALU_DEP_1)
	v_readfirstlane_b32 s5, v6
	s_and_b32 s8, s5, 0x7fffffff
	s_delay_alu instid0(SALU_CYCLE_1)
	s_cmp_gt_u32 s8, 0x437fffff
	s_cbranch_scc1 .LBB103_303
; %bb.238:
	s_cmp_gt_u32 s8, 0x3bffffff
	s_cbranch_scc0 .LBB103_298
; %bb.239:
	s_bfe_u32 s8, s5, 0x10014
	s_mov_b32 s9, 0
	s_add_i32 s8, s5, s8
	s_delay_alu instid0(SALU_CYCLE_1) | instskip(NEXT) | instid1(SALU_CYCLE_1)
	s_add_i32 s8, s8, 0x487ffff
	s_lshr_b32 s10, s8, 20
	s_mov_b32 s8, -1
	s_branch .LBB103_299
.LBB103_240:
                                        ; implicit-def: $vgpr2
	s_branch .LBB103_246
.LBB103_241:
	v_mov_b32_e32 v3, v13
.LBB103_242:
	s_and_b32 s56, s56, 3
	s_delay_alu instid0(SALU_CYCLE_1)
	s_cmp_eq_u32 s56, 0
	s_cbranch_scc1 .LBB103_245
; %bb.243:
	s_lshl_b32 s18, s54, 2
	s_mul_i32 s20, s54, 12
	s_add_u32 s18, s18, s8
	s_addc_u32 s19, s9, 0
	s_add_u32 s18, s18, 0xc4
	s_addc_u32 s19, s19, 0
	;; [unrolled: 2-line block ×3, first 2 shown]
	.p2align	6
.LBB103_244:                            ; =>This Inner Loop Header: Depth=1
	s_clause 0x1
	s_load_b64 s[58:59], s[20:21], 0x4
	s_load_b32 s54, s[20:21], 0xc
	s_load_b32 s57, s[18:19], 0x0
	s_add_u32 s20, s20, 12
	s_addc_u32 s21, s21, 0
	s_add_u32 s18, s18, 4
	s_addc_u32 s19, s19, 0
	s_add_i32 s56, s56, -1
	s_delay_alu instid0(SALU_CYCLE_1) | instskip(SKIP_2) | instid1(VALU_DEP_1)
	s_cmp_lg_u32 s56, 0
	s_waitcnt lgkmcnt(0)
	v_mul_hi_u32 v5, s59, v3
	v_add_nc_u32_e32 v5, v3, v5
	s_delay_alu instid0(VALU_DEP_1) | instskip(NEXT) | instid1(VALU_DEP_1)
	v_lshrrev_b32_e32 v5, s54, v5
	v_mul_lo_u32 v10, v5, s58
	s_delay_alu instid0(VALU_DEP_1) | instskip(NEXT) | instid1(VALU_DEP_1)
	v_sub_nc_u32_e32 v3, v3, v10
	v_mad_u64_u32 v[10:11], null, v3, s57, v[2:3]
	s_delay_alu instid0(VALU_DEP_1)
	v_dual_mov_b32 v3, v5 :: v_dual_mov_b32 v2, v10
	s_cbranch_scc1 .LBB103_244
.LBB103_245:
	s_cbranch_execnz .LBB103_248
.LBB103_246:
	v_mul_hi_u32 v2, s5, v13
	s_and_not1_b32 vcc_lo, exec_lo, s48
	s_delay_alu instid0(VALU_DEP_1) | instskip(NEXT) | instid1(VALU_DEP_1)
	v_add_nc_u32_e32 v2, v13, v2
	v_lshrrev_b32_e32 v3, s6, v2
	s_delay_alu instid0(VALU_DEP_1) | instskip(NEXT) | instid1(VALU_DEP_1)
	v_mul_lo_u32 v2, v3, s4
	v_sub_nc_u32_e32 v2, v13, v2
	s_delay_alu instid0(VALU_DEP_1)
	v_mul_lo_u32 v2, v2, s12
	s_cbranch_vccnz .LBB103_248
; %bb.247:
	v_mul_hi_u32 v5, s14, v3
	s_delay_alu instid0(VALU_DEP_1) | instskip(NEXT) | instid1(VALU_DEP_1)
	v_add_nc_u32_e32 v5, v3, v5
	v_lshrrev_b32_e32 v5, s15, v5
	s_delay_alu instid0(VALU_DEP_1) | instskip(NEXT) | instid1(VALU_DEP_1)
	v_mul_lo_u32 v5, v5, s7
	v_sub_nc_u32_e32 v3, v3, v5
	s_delay_alu instid0(VALU_DEP_1) | instskip(NEXT) | instid1(VALU_DEP_1)
	v_mad_u64_u32 v[10:11], null, v3, s13, v[2:3]
	v_mov_b32_e32 v2, v10
.LBB103_248:
	v_and_b32_e64 v21, 0xff, s47
	s_delay_alu instid0(VALU_DEP_2) | instskip(NEXT) | instid1(VALU_DEP_1)
	v_add_co_u32 v10, s18, s10, v2
	v_add_co_ci_u32_e64 v11, null, s11, 0, s18
	s_delay_alu instid0(VALU_DEP_3)
	v_cmp_gt_i16_e32 vcc_lo, 11, v21
	s_mov_b32 s19, 0
	s_mov_b32 s20, -1
	s_mov_b32 s18, s52
	s_cbranch_vccnz .LBB103_255
; %bb.249:
	v_cmp_lt_i16_e32 vcc_lo, 25, v21
	s_cbranch_vccz .LBB103_295
; %bb.250:
	v_cmp_lt_i16_e32 vcc_lo, 28, v21
	s_cbranch_vccz .LBB103_296
	;; [unrolled: 3-line block ×4, first 2 shown]
; %bb.253:
	v_cmp_eq_u16_e32 vcc_lo, 46, v21
	s_mov_b32 s20, 0
	s_mov_b32 s18, -1
	s_cbranch_vccz .LBB103_314
; %bb.254:
	s_mov_b32 s19, -1
	s_mov_b32 s18, 0
	global_store_b32 v[10:11], v15, off
	s_branch .LBB103_314
.LBB103_255:
	s_and_b32 vcc_lo, exec_lo, s20
	s_cbranch_vccz .LBB103_359
; %bb.256:
	v_cmp_gt_i16_e32 vcc_lo, 5, v21
	s_mov_b32 s19, -1
	s_cbranch_vccnz .LBB103_277
; %bb.257:
	v_cmp_gt_i16_e32 vcc_lo, 8, v21
	s_cbranch_vccnz .LBB103_267
; %bb.258:
	v_cmp_gt_i16_e32 vcc_lo, 9, v21
	s_cbranch_vccnz .LBB103_264
; %bb.259:
	v_cmp_lt_i16_e32 vcc_lo, 9, v21
	s_cbranch_vccz .LBB103_261
; %bb.260:
	v_mov_b32_e32 v2, 0
	s_mov_b32 s19, 0
	s_delay_alu instid0(VALU_DEP_1)
	v_mov_b32_e32 v3, v2
	global_store_b128 v[10:11], v[0:3], off
.LBB103_261:
	s_and_not1_b32 vcc_lo, exec_lo, s19
	s_cbranch_vccnz .LBB103_263
; %bb.262:
	v_mov_b32_e32 v5, 0
	global_store_b64 v[10:11], v[4:5], off
.LBB103_263:
	s_mov_b32 s19, 0
.LBB103_264:
	s_delay_alu instid0(SALU_CYCLE_1)
	s_and_not1_b32 vcc_lo, exec_lo, s19
	s_cbranch_vccnz .LBB103_266
; %bb.265:
	v_mov_b32_e32 v2, s27
	global_store_b32 v[10:11], v2, off
.LBB103_266:
	s_mov_b32 s19, 0
.LBB103_267:
	s_delay_alu instid0(SALU_CYCLE_1)
	s_and_not1_b32 vcc_lo, exec_lo, s19
	s_cbranch_vccnz .LBB103_276
; %bb.268:
	v_cmp_gt_i16_e32 vcc_lo, 6, v21
	s_mov_b32 s19, -1
	s_cbranch_vccnz .LBB103_274
; %bb.269:
	v_cmp_lt_i16_e32 vcc_lo, 6, v21
	s_cbranch_vccz .LBB103_271
; %bb.270:
	s_mov_b32 s19, 0
	global_store_b64 v[10:11], v[0:1], off
.LBB103_271:
	s_and_not1_b32 vcc_lo, exec_lo, s19
	s_cbranch_vccnz .LBB103_273
; %bb.272:
	global_store_b32 v[10:11], v4, off
.LBB103_273:
	s_mov_b32 s19, 0
.LBB103_274:
	s_delay_alu instid0(SALU_CYCLE_1)
	s_and_not1_b32 vcc_lo, exec_lo, s19
	s_cbranch_vccnz .LBB103_276
; %bb.275:
	v_mov_b32_e32 v2, s26
	global_store_b16 v[10:11], v2, off
.LBB103_276:
	s_mov_b32 s19, 0
.LBB103_277:
	s_delay_alu instid0(SALU_CYCLE_1)
	s_and_not1_b32 vcc_lo, exec_lo, s19
	s_cbranch_vccnz .LBB103_293
; %bb.278:
	v_cmp_gt_i16_e32 vcc_lo, 2, v21
	s_mov_b32 s19, -1
	s_cbranch_vccnz .LBB103_288
; %bb.279:
	v_cmp_gt_i16_e32 vcc_lo, 3, v21
	s_cbranch_vccnz .LBB103_285
; %bb.280:
	v_cmp_lt_i16_e32 vcc_lo, 3, v21
	s_cbranch_vccz .LBB103_282
; %bb.281:
	s_mov_b32 s19, 0
	global_store_b64 v[10:11], v[6:7], off
.LBB103_282:
	s_and_not1_b32 vcc_lo, exec_lo, s19
	s_cbranch_vccnz .LBB103_284
; %bb.283:
	global_store_b32 v[10:11], v6, off
.LBB103_284:
	s_mov_b32 s19, 0
.LBB103_285:
	s_delay_alu instid0(SALU_CYCLE_1)
	s_and_not1_b32 vcc_lo, exec_lo, s19
	s_cbranch_vccnz .LBB103_287
; %bb.286:
	global_store_b16 v[10:11], v12, off
.LBB103_287:
	s_mov_b32 s19, 0
.LBB103_288:
	s_delay_alu instid0(SALU_CYCLE_1)
	s_and_not1_b32 vcc_lo, exec_lo, s19
	s_cbranch_vccnz .LBB103_293
; %bb.289:
	v_cmp_lt_i16_e32 vcc_lo, 0, v21
	s_mov_b32 s19, -1
	s_cbranch_vccz .LBB103_291
; %bb.290:
	s_mov_b32 s19, 0
	global_store_b8 v[10:11], v12, off
.LBB103_291:
	s_and_not1_b32 vcc_lo, exec_lo, s19
	s_cbranch_vccnz .LBB103_293
; %bb.292:
	global_store_b8 v[10:11], v6, off
.LBB103_293:
	s_branch .LBB103_360
.LBB103_294:
	s_mov_b32 s19, 0
                                        ; implicit-def: $vgpr13
	s_branch .LBB103_361
.LBB103_295:
	s_mov_b32 s18, s52
	s_branch .LBB103_336
.LBB103_296:
	s_mov_b32 s18, s52
	s_branch .LBB103_322
.LBB103_297:
	s_mov_b32 s18, s52
	s_branch .LBB103_318
.LBB103_298:
	s_mov_b32 s9, -1
	s_mov_b32 s8, 0
                                        ; implicit-def: $sgpr10
.LBB103_299:
	v_mov_b32_e32 v6, s10
	s_and_not1_b32 vcc_lo, exec_lo, s9
                                        ; implicit-def: $sgpr9
	s_cbranch_vccnz .LBB103_301
; %bb.300:
	v_add_f32_e64 v6, 0x46000000, |s5|
	s_mov_b32 s9, 0
	s_delay_alu instid0(VALU_DEP_1) | instskip(NEXT) | instid1(VALU_DEP_1)
	v_and_b32_e32 v6, 0xff, v6
	v_cmp_ne_u32_e64 s8, 0, v6
.LBB103_301:
	v_mov_b32_e32 v7, s9
	s_delay_alu instid0(VALU_DEP_2)
	s_and_not1_b32 vcc_lo, exec_lo, s8
	s_cbranch_vccnz .LBB103_303
; %bb.302:
	s_lshr_b32 s5, s5, 24
	s_delay_alu instid0(SALU_CYCLE_1) | instskip(NEXT) | instid1(SALU_CYCLE_1)
	s_and_b32 s5, s5, 0x80
	v_or_b32_e32 v7, s5, v6
.LBB103_303:
	global_store_b8 v[3:4], v7, off
.LBB103_304:
	s_mov_b32 s5, -1
.LBB103_305:
	s_mov_b32 s8, 0
.LBB103_306:
	s_delay_alu instid0(SALU_CYCLE_1)
	s_and_b32 vcc_lo, exec_lo, s8
	s_cbranch_vccz .LBB103_467
; %bb.307:
	v_cmp_lt_i16_e32 vcc_lo, 22, v5
	s_mov_b32 s4, -1
	s_cbranch_vccz .LBB103_460
; %bb.308:
	v_cmp_gt_i16_e32 vcc_lo, 24, v5
	s_cbranch_vccnz .LBB103_447
; %bb.309:
	v_cmp_lt_i16_e32 vcc_lo, 24, v5
	s_cbranch_vccz .LBB103_434
; %bb.310:
	v_cvt_f32_f16_e32 v6, s2
	v_mov_b32_e32 v7, 0x80
	s_delay_alu instid0(VALU_DEP_2) | instskip(NEXT) | instid1(VALU_DEP_1)
	v_readfirstlane_b32 s4, v6
	s_and_b32 s5, s4, 0x7fffffff
	s_delay_alu instid0(SALU_CYCLE_1)
	s_cmp_gt_u32 s5, 0x477fffff
	s_cbranch_scc1 .LBB103_433
; %bb.311:
	s_cmp_gt_u32 s5, 0x37ffffff
	s_cbranch_scc0 .LBB103_428
; %bb.312:
	s_bfe_u32 s5, s4, 0x10015
	s_mov_b32 s8, 0
	s_add_i32 s5, s4, s5
	s_delay_alu instid0(SALU_CYCLE_1) | instskip(NEXT) | instid1(SALU_CYCLE_1)
	s_add_i32 s5, s5, 0x88fffff
	s_lshr_b32 s9, s5, 21
	s_mov_b32 s5, -1
	s_branch .LBB103_429
.LBB103_313:
	s_mov_b32 s18, s52
.LBB103_314:
	s_and_b32 vcc_lo, exec_lo, s20
	s_cbranch_vccz .LBB103_317
; %bb.315:
	v_cmp_eq_u16_e32 vcc_lo, 44, v21
	s_mov_b32 s18, -1
	s_cbranch_vccz .LBB103_317
; %bb.316:
	v_cndmask_b32_e64 v2, v20, 0xff, s2
	s_mov_b32 s19, -1
	s_mov_b32 s18, 0
	global_store_b8 v[10:11], v2, off
.LBB103_317:
	s_mov_b32 s20, 0
.LBB103_318:
	s_delay_alu instid0(SALU_CYCLE_1)
	s_and_b32 vcc_lo, exec_lo, s20
	s_cbranch_vccz .LBB103_321
; %bb.319:
	v_cmp_eq_u16_e32 vcc_lo, 29, v21
	s_mov_b32 s18, -1
	s_cbranch_vccz .LBB103_321
; %bb.320:
	s_mov_b32 s19, -1
	s_mov_b32 s18, 0
	global_store_b64 v[10:11], v[8:9], off
.LBB103_321:
	s_mov_b32 s20, 0
.LBB103_322:
	s_delay_alu instid0(SALU_CYCLE_1)
	s_and_b32 vcc_lo, exec_lo, s20
	s_cbranch_vccz .LBB103_335
; %bb.323:
	v_cmp_gt_i16_e32 vcc_lo, 27, v21
	s_mov_b32 s19, -1
	s_cbranch_vccnz .LBB103_329
; %bb.324:
	v_cmp_lt_i16_e32 vcc_lo, 27, v21
	s_cbranch_vccz .LBB103_326
; %bb.325:
	s_mov_b32 s19, 0
	global_store_b32 v[10:11], v8, off
.LBB103_326:
	s_and_not1_b32 vcc_lo, exec_lo, s19
	s_cbranch_vccnz .LBB103_328
; %bb.327:
	global_store_b16 v[10:11], v19, off
.LBB103_328:
	s_mov_b32 s19, 0
.LBB103_329:
	s_delay_alu instid0(SALU_CYCLE_1)
	s_and_not1_b32 vcc_lo, exec_lo, s19
	s_cbranch_vccnz .LBB103_334
; %bb.330:
	v_mov_b32_e32 v2, 0x80
	s_and_not1_b32 vcc_lo, exec_lo, s45
	s_cbranch_vccnz .LBB103_333
; %bb.331:
	v_mov_b32_e32 v2, 0
	s_or_b32 s19, s43, s46
	s_delay_alu instid0(SALU_CYCLE_1)
	s_and_not1_b32 vcc_lo, exec_lo, s19
	s_cbranch_vccnz .LBB103_333
; %bb.332:
	v_cndmask_b32_e64 v2, v18, s44, s43
	s_delay_alu instid0(VALU_DEP_1)
	v_or_b32_e32 v2, v2, v16
.LBB103_333:
	global_store_b8 v[10:11], v2, off
.LBB103_334:
	s_mov_b32 s19, -1
.LBB103_335:
	s_mov_b32 s20, 0
.LBB103_336:
	s_delay_alu instid0(SALU_CYCLE_1)
	s_and_b32 vcc_lo, exec_lo, s20
	s_cbranch_vccz .LBB103_358
; %bb.337:
	v_cmp_lt_i16_e32 vcc_lo, 22, v21
	s_mov_b32 s20, -1
	s_cbranch_vccz .LBB103_350
; %bb.338:
	v_cmp_gt_i16_e32 vcc_lo, 24, v21
	s_mov_b32 s19, -1
	s_cbranch_vccnz .LBB103_347
; %bb.339:
	v_cmp_lt_i16_e32 vcc_lo, 24, v21
	s_cbranch_vccz .LBB103_344
; %bb.340:
	v_mov_b32_e32 v2, 0x80
	s_and_not1_b32 vcc_lo, exec_lo, s39
	s_cbranch_vccnz .LBB103_343
; %bb.341:
	v_mov_b32_e32 v2, 0
	s_or_b32 s19, s35, s42
	s_delay_alu instid0(SALU_CYCLE_1)
	s_and_not1_b32 vcc_lo, exec_lo, s19
	s_cbranch_vccnz .LBB103_343
; %bb.342:
	v_cndmask_b32_e64 v2, v17, s40, s35
	s_delay_alu instid0(VALU_DEP_1)
	v_or_b32_e32 v2, v2, v16
.LBB103_343:
	s_mov_b32 s19, 0
	global_store_b8 v[10:11], v2, off
.LBB103_344:
	s_and_b32 vcc_lo, exec_lo, s19
	s_cbranch_vccz .LBB103_346
; %bb.345:
	s_and_b32 s19, s36, exec_lo
	s_cselect_b32 s19, s33, s37
	s_and_b32 s20, s34, exec_lo
	s_cselect_b32 s19, s41, s19
	s_delay_alu instid0(SALU_CYCLE_1)
	v_or_b32_e32 v2, s19, v16
	global_store_b8 v[10:11], v2, off
.LBB103_346:
	s_mov_b32 s19, 0
.LBB103_347:
	s_delay_alu instid0(SALU_CYCLE_1)
	s_and_not1_b32 vcc_lo, exec_lo, s19
	s_cbranch_vccnz .LBB103_349
; %bb.348:
	s_and_b32 s19, s30, exec_lo
	s_cselect_b32 s19, s29, s31
	s_and_b32 s20, s28, exec_lo
	s_cselect_b32 s19, s38, s19
	s_delay_alu instid0(SALU_CYCLE_1)
	v_or_b32_e32 v2, s19, v16
	global_store_b8 v[10:11], v2, off
.LBB103_349:
	s_mov_b32 s20, 0
	s_mov_b32 s19, -1
.LBB103_350:
	s_and_not1_b32 vcc_lo, exec_lo, s20
	s_cbranch_vccnz .LBB103_358
; %bb.351:
	v_cmp_lt_i16_e32 vcc_lo, 14, v21
	s_mov_b32 s20, -1
	s_cbranch_vccz .LBB103_355
; %bb.352:
	v_cmp_eq_u16_e32 vcc_lo, 15, v21
	s_mov_b32 s18, -1
	s_cbranch_vccz .LBB103_354
; %bb.353:
	s_mov_b32 s19, -1
	s_mov_b32 s18, 0
	global_store_b16 v[10:11], v15, off
.LBB103_354:
	s_mov_b32 s20, 0
.LBB103_355:
	s_delay_alu instid0(SALU_CYCLE_1)
	s_and_b32 vcc_lo, exec_lo, s20
	s_cbranch_vccz .LBB103_358
; %bb.356:
	v_cmp_eq_u16_e32 vcc_lo, 11, v21
	s_mov_b32 s18, -1
	s_cbranch_vccz .LBB103_358
; %bb.357:
	s_mov_b32 s19, -1
	s_mov_b32 s18, 0
	global_store_b8 v[10:11], v14, off
.LBB103_358:
.LBB103_359:
	s_and_not1_b32 vcc_lo, exec_lo, s19
	s_cbranch_vccnz .LBB103_294
.LBB103_360:
	v_add_nc_u32_e32 v13, 0x80, v13
	s_mov_b32 s19, -1
.LBB103_361:
	s_and_not1_b32 s20, s52, exec_lo
	s_and_b32 s18, s18, exec_lo
	s_delay_alu instid0(SALU_CYCLE_1)
	s_or_b32 s54, s20, s18
	s_or_not1_b32 s20, s19, exec_lo
.LBB103_362:
	s_or_b32 exec_lo, exec_lo, s55
	s_mov_b32 s18, 0
	s_mov_b32 s19, 0
                                        ; implicit-def: $vgpr21
                                        ; implicit-def: $vgpr10_vgpr11
	s_and_saveexec_b32 s55, s20
	s_cbranch_execz .LBB103_676
; %bb.363:
	s_mov_b32 s57, -1
	s_mov_b32 s20, s54
	s_mov_b32 s56, exec_lo
	v_cmpx_gt_i32_e64 s49, v13
	s_cbranch_execz .LBB103_607
; %bb.364:
	s_and_not1_b32 vcc_lo, exec_lo, s24
	s_cbranch_vccnz .LBB103_369
; %bb.365:
	v_mov_b32_e32 v2, 0
	s_and_not1_b32 vcc_lo, exec_lo, s51
	s_cbranch_vccnz .LBB103_374
; %bb.366:
	s_add_i32 s58, s50, 1
	s_cmp_eq_u32 s23, 2
	s_mov_b32 s57, 0
	s_cbranch_scc1 .LBB103_370
; %bb.367:
	v_dual_mov_b32 v2, 0 :: v_dual_mov_b32 v3, v13
	s_and_b32 s57, s58, 28
	s_mov_b32 s59, 0
	s_mov_b64 s[18:19], s[8:9]
	s_mov_b64 s[20:21], s[16:17]
.LBB103_368:                            ; =>This Inner Loop Header: Depth=1
	s_clause 0x1
	s_load_b256 s[60:67], s[18:19], 0x4
	s_load_b128 s[68:71], s[18:19], 0x24
	s_load_b128 s[72:75], s[20:21], 0x0
	s_add_u32 s18, s18, 48
	s_addc_u32 s19, s19, 0
	s_add_i32 s59, s59, 4
	s_add_u32 s20, s20, 16
	s_addc_u32 s21, s21, 0
	s_cmp_eq_u32 s57, s59
	s_waitcnt lgkmcnt(0)
	v_mul_hi_u32 v5, s61, v3
	s_delay_alu instid0(VALU_DEP_1) | instskip(NEXT) | instid1(VALU_DEP_1)
	v_add_nc_u32_e32 v5, v3, v5
	v_lshrrev_b32_e32 v5, s62, v5
	s_delay_alu instid0(VALU_DEP_1) | instskip(SKIP_1) | instid1(VALU_DEP_2)
	v_mul_hi_u32 v10, s64, v5
	v_mul_lo_u32 v22, v5, s60
	v_add_nc_u32_e32 v10, v5, v10
	s_delay_alu instid0(VALU_DEP_2) | instskip(NEXT) | instid1(VALU_DEP_2)
	v_sub_nc_u32_e32 v22, v3, v22
	v_lshrrev_b32_e32 v10, s65, v10
	s_delay_alu instid0(VALU_DEP_2) | instskip(NEXT) | instid1(VALU_DEP_2)
	v_mul_lo_u32 v22, v22, s72
	v_mul_hi_u32 v11, s67, v10
	v_mul_lo_u32 v23, v10, s63
	s_delay_alu instid0(VALU_DEP_2) | instskip(NEXT) | instid1(VALU_DEP_2)
	v_add_nc_u32_e32 v11, v10, v11
	v_sub_nc_u32_e32 v5, v5, v23
	s_delay_alu instid0(VALU_DEP_2) | instskip(NEXT) | instid1(VALU_DEP_2)
	v_lshrrev_b32_e32 v11, s68, v11
	v_mul_lo_u32 v5, v5, s73
	s_delay_alu instid0(VALU_DEP_2) | instskip(NEXT) | instid1(VALU_DEP_2)
	v_mul_hi_u32 v21, s70, v11
	v_add3_u32 v2, v22, v2, v5
	s_delay_alu instid0(VALU_DEP_2) | instskip(NEXT) | instid1(VALU_DEP_1)
	v_add_nc_u32_e32 v21, v11, v21
	v_lshrrev_b32_e32 v3, s71, v21
	v_mul_lo_u32 v21, v11, s66
	s_delay_alu instid0(VALU_DEP_2) | instskip(NEXT) | instid1(VALU_DEP_2)
	v_mul_lo_u32 v24, v3, s69
	v_sub_nc_u32_e32 v10, v10, v21
	s_delay_alu instid0(VALU_DEP_2) | instskip(NEXT) | instid1(VALU_DEP_2)
	v_sub_nc_u32_e32 v11, v11, v24
	v_mul_lo_u32 v10, v10, s74
	s_delay_alu instid0(VALU_DEP_2) | instskip(NEXT) | instid1(VALU_DEP_1)
	v_mul_lo_u32 v11, v11, s75
	v_add3_u32 v2, v10, v2, v11
	s_cbranch_scc0 .LBB103_368
	s_branch .LBB103_371
.LBB103_369:
	s_mov_b32 s18, -1
                                        ; implicit-def: $vgpr2
	s_branch .LBB103_375
.LBB103_370:
	v_mov_b32_e32 v3, v13
.LBB103_371:
	s_and_b32 s58, s58, 3
	s_delay_alu instid0(SALU_CYCLE_1)
	s_cmp_eq_u32 s58, 0
	s_cbranch_scc1 .LBB103_374
; %bb.372:
	s_lshl_b32 s18, s57, 2
	s_mul_i32 s20, s57, 12
	s_add_u32 s18, s18, s8
	s_addc_u32 s19, s9, 0
	s_add_u32 s18, s18, 0xc4
	s_addc_u32 s19, s19, 0
	;; [unrolled: 2-line block ×3, first 2 shown]
	.p2align	6
.LBB103_373:                            ; =>This Inner Loop Header: Depth=1
	s_clause 0x1
	s_load_b64 s[60:61], s[20:21], 0x4
	s_load_b32 s57, s[20:21], 0xc
	s_load_b32 s59, s[18:19], 0x0
	s_add_u32 s20, s20, 12
	s_addc_u32 s21, s21, 0
	s_add_u32 s18, s18, 4
	s_addc_u32 s19, s19, 0
	s_add_i32 s58, s58, -1
	s_delay_alu instid0(SALU_CYCLE_1) | instskip(SKIP_2) | instid1(VALU_DEP_1)
	s_cmp_lg_u32 s58, 0
	s_waitcnt lgkmcnt(0)
	v_mul_hi_u32 v5, s61, v3
	v_add_nc_u32_e32 v5, v3, v5
	s_delay_alu instid0(VALU_DEP_1) | instskip(NEXT) | instid1(VALU_DEP_1)
	v_lshrrev_b32_e32 v5, s57, v5
	v_mul_lo_u32 v10, v5, s60
	s_delay_alu instid0(VALU_DEP_1) | instskip(NEXT) | instid1(VALU_DEP_1)
	v_sub_nc_u32_e32 v3, v3, v10
	v_mad_u64_u32 v[10:11], null, v3, s59, v[2:3]
	s_delay_alu instid0(VALU_DEP_1)
	v_dual_mov_b32 v3, v5 :: v_dual_mov_b32 v2, v10
	s_cbranch_scc1 .LBB103_373
.LBB103_374:
	s_mov_b32 s18, 0
.LBB103_375:
	s_delay_alu instid0(SALU_CYCLE_1)
	s_and_not1_b32 vcc_lo, exec_lo, s18
	s_cbranch_vccnz .LBB103_378
; %bb.376:
	v_mul_hi_u32 v2, s5, v13
	s_and_not1_b32 vcc_lo, exec_lo, s48
	s_delay_alu instid0(VALU_DEP_1) | instskip(NEXT) | instid1(VALU_DEP_1)
	v_add_nc_u32_e32 v2, v13, v2
	v_lshrrev_b32_e32 v3, s6, v2
	s_delay_alu instid0(VALU_DEP_1) | instskip(NEXT) | instid1(VALU_DEP_1)
	v_mul_lo_u32 v2, v3, s4
	v_sub_nc_u32_e32 v2, v13, v2
	s_delay_alu instid0(VALU_DEP_1)
	v_mul_lo_u32 v2, v2, s12
	s_cbranch_vccnz .LBB103_378
; %bb.377:
	v_mul_hi_u32 v5, s14, v3
	s_delay_alu instid0(VALU_DEP_1) | instskip(NEXT) | instid1(VALU_DEP_1)
	v_add_nc_u32_e32 v5, v3, v5
	v_lshrrev_b32_e32 v5, s15, v5
	s_delay_alu instid0(VALU_DEP_1) | instskip(NEXT) | instid1(VALU_DEP_1)
	v_mul_lo_u32 v5, v5, s7
	v_sub_nc_u32_e32 v3, v3, v5
	s_delay_alu instid0(VALU_DEP_1) | instskip(NEXT) | instid1(VALU_DEP_1)
	v_mad_u64_u32 v[10:11], null, v3, s13, v[2:3]
	v_mov_b32_e32 v2, v10
.LBB103_378:
	v_and_b32_e64 v21, 0xff, s47
	s_delay_alu instid0(VALU_DEP_2) | instskip(NEXT) | instid1(VALU_DEP_1)
	v_add_co_u32 v10, s18, s10, v2
	v_add_co_ci_u32_e64 v11, null, s11, 0, s18
	s_delay_alu instid0(VALU_DEP_3)
	v_cmp_gt_i16_e32 vcc_lo, 11, v21
	s_mov_b32 s19, 0
	s_mov_b32 s20, -1
	s_mov_b32 s18, s54
	s_cbranch_vccnz .LBB103_385
; %bb.379:
	v_cmp_lt_i16_e32 vcc_lo, 25, v21
	s_cbranch_vccz .LBB103_425
; %bb.380:
	v_cmp_lt_i16_e32 vcc_lo, 28, v21
	s_cbranch_vccz .LBB103_426
	;; [unrolled: 3-line block ×4, first 2 shown]
; %bb.383:
	v_cmp_eq_u16_e32 vcc_lo, 46, v21
	s_mov_b32 s20, 0
	s_mov_b32 s18, -1
	s_cbranch_vccz .LBB103_559
; %bb.384:
	s_mov_b32 s19, -1
	s_mov_b32 s18, 0
	global_store_b32 v[10:11], v15, off
	s_branch .LBB103_559
.LBB103_385:
	s_and_b32 vcc_lo, exec_lo, s20
	s_cbranch_vccz .LBB103_604
; %bb.386:
	v_cmp_gt_i16_e32 vcc_lo, 5, v21
	s_mov_b32 s19, -1
	s_cbranch_vccnz .LBB103_407
; %bb.387:
	v_cmp_gt_i16_e32 vcc_lo, 8, v21
	s_cbranch_vccnz .LBB103_397
; %bb.388:
	v_cmp_gt_i16_e32 vcc_lo, 9, v21
	s_cbranch_vccnz .LBB103_394
; %bb.389:
	v_cmp_lt_i16_e32 vcc_lo, 9, v21
	s_cbranch_vccz .LBB103_391
; %bb.390:
	v_mov_b32_e32 v2, 0
	s_mov_b32 s19, 0
	s_delay_alu instid0(VALU_DEP_1)
	v_mov_b32_e32 v3, v2
	global_store_b128 v[10:11], v[0:3], off
.LBB103_391:
	s_and_not1_b32 vcc_lo, exec_lo, s19
	s_cbranch_vccnz .LBB103_393
; %bb.392:
	v_mov_b32_e32 v5, 0
	global_store_b64 v[10:11], v[4:5], off
.LBB103_393:
	s_mov_b32 s19, 0
.LBB103_394:
	s_delay_alu instid0(SALU_CYCLE_1)
	s_and_not1_b32 vcc_lo, exec_lo, s19
	s_cbranch_vccnz .LBB103_396
; %bb.395:
	v_mov_b32_e32 v2, s27
	global_store_b32 v[10:11], v2, off
.LBB103_396:
	s_mov_b32 s19, 0
.LBB103_397:
	s_delay_alu instid0(SALU_CYCLE_1)
	s_and_not1_b32 vcc_lo, exec_lo, s19
	s_cbranch_vccnz .LBB103_406
; %bb.398:
	v_cmp_gt_i16_e32 vcc_lo, 6, v21
	s_mov_b32 s19, -1
	s_cbranch_vccnz .LBB103_404
; %bb.399:
	v_cmp_lt_i16_e32 vcc_lo, 6, v21
	s_cbranch_vccz .LBB103_401
; %bb.400:
	s_mov_b32 s19, 0
	global_store_b64 v[10:11], v[0:1], off
.LBB103_401:
	s_and_not1_b32 vcc_lo, exec_lo, s19
	s_cbranch_vccnz .LBB103_403
; %bb.402:
	global_store_b32 v[10:11], v4, off
.LBB103_403:
	s_mov_b32 s19, 0
.LBB103_404:
	s_delay_alu instid0(SALU_CYCLE_1)
	s_and_not1_b32 vcc_lo, exec_lo, s19
	s_cbranch_vccnz .LBB103_406
; %bb.405:
	v_mov_b32_e32 v2, s26
	global_store_b16 v[10:11], v2, off
.LBB103_406:
	s_mov_b32 s19, 0
.LBB103_407:
	s_delay_alu instid0(SALU_CYCLE_1)
	s_and_not1_b32 vcc_lo, exec_lo, s19
	s_cbranch_vccnz .LBB103_423
; %bb.408:
	v_cmp_gt_i16_e32 vcc_lo, 2, v21
	s_mov_b32 s19, -1
	s_cbranch_vccnz .LBB103_418
; %bb.409:
	v_cmp_gt_i16_e32 vcc_lo, 3, v21
	s_cbranch_vccnz .LBB103_415
; %bb.410:
	v_cmp_lt_i16_e32 vcc_lo, 3, v21
	s_cbranch_vccz .LBB103_412
; %bb.411:
	s_mov_b32 s19, 0
	global_store_b64 v[10:11], v[6:7], off
.LBB103_412:
	s_and_not1_b32 vcc_lo, exec_lo, s19
	s_cbranch_vccnz .LBB103_414
; %bb.413:
	global_store_b32 v[10:11], v6, off
.LBB103_414:
	s_mov_b32 s19, 0
.LBB103_415:
	s_delay_alu instid0(SALU_CYCLE_1)
	s_and_not1_b32 vcc_lo, exec_lo, s19
	s_cbranch_vccnz .LBB103_417
; %bb.416:
	global_store_b16 v[10:11], v12, off
.LBB103_417:
	s_mov_b32 s19, 0
.LBB103_418:
	s_delay_alu instid0(SALU_CYCLE_1)
	s_and_not1_b32 vcc_lo, exec_lo, s19
	s_cbranch_vccnz .LBB103_423
; %bb.419:
	v_cmp_lt_i16_e32 vcc_lo, 0, v21
	s_mov_b32 s19, -1
	s_cbranch_vccz .LBB103_421
; %bb.420:
	s_mov_b32 s19, 0
	global_store_b8 v[10:11], v12, off
.LBB103_421:
	s_and_not1_b32 vcc_lo, exec_lo, s19
	s_cbranch_vccnz .LBB103_423
; %bb.422:
	global_store_b8 v[10:11], v6, off
.LBB103_423:
	s_branch .LBB103_605
.LBB103_424:
	s_mov_b32 s19, 0
                                        ; implicit-def: $vgpr13
	s_branch .LBB103_606
.LBB103_425:
	s_mov_b32 s18, s54
	s_branch .LBB103_581
.LBB103_426:
	s_mov_b32 s18, s54
	s_branch .LBB103_567
.LBB103_427:
	s_mov_b32 s18, s54
	s_branch .LBB103_563
.LBB103_428:
	s_mov_b32 s8, -1
	s_mov_b32 s5, 0
                                        ; implicit-def: $sgpr9
.LBB103_429:
	v_mov_b32_e32 v6, s9
	s_and_not1_b32 vcc_lo, exec_lo, s8
                                        ; implicit-def: $sgpr8
	s_cbranch_vccnz .LBB103_431
; %bb.430:
	v_add_f32_e64 v6, 0x42800000, |s4|
	s_mov_b32 s8, 0
	s_delay_alu instid0(VALU_DEP_1) | instskip(NEXT) | instid1(VALU_DEP_1)
	v_and_b32_e32 v6, 0xff, v6
	v_cmp_ne_u32_e64 s5, 0, v6
.LBB103_431:
	v_mov_b32_e32 v7, s8
	s_delay_alu instid0(VALU_DEP_2)
	s_and_not1_b32 vcc_lo, exec_lo, s5
	s_cbranch_vccnz .LBB103_433
; %bb.432:
	s_lshr_b32 s4, s4, 24
	s_delay_alu instid0(SALU_CYCLE_1) | instskip(NEXT) | instid1(SALU_CYCLE_1)
	s_and_b32 s4, s4, 0x80
	v_or_b32_e32 v7, s4, v6
.LBB103_433:
	s_mov_b32 s4, 0
	global_store_b8 v[3:4], v7, off
.LBB103_434:
	s_and_b32 vcc_lo, exec_lo, s4
	s_cbranch_vccz .LBB103_446
; %bb.435:
	v_cvt_f32_f16_e32 v6, s2
	s_delay_alu instid0(VALU_DEP_1) | instskip(NEXT) | instid1(VALU_DEP_1)
	v_readfirstlane_b32 s4, v6
	s_and_b32 s5, s4, 0x7fffffff
	s_delay_alu instid0(SALU_CYCLE_1)
	s_cmp_lt_u32 s5, 0x43f00000
	s_cbranch_scc0 .LBB103_438
; %bb.436:
	s_cmp_gt_u32 s5, 0x3c7fffff
	s_cbranch_scc0 .LBB103_439
; %bb.437:
	s_bfe_u32 s8, s4, 0x10014
	s_delay_alu instid0(SALU_CYCLE_1) | instskip(NEXT) | instid1(SALU_CYCLE_1)
	s_add_i32 s8, s4, s8
	s_add_i32 s8, s8, 0x407ffff
	s_delay_alu instid0(SALU_CYCLE_1)
	s_and_b32 s9, s8, 0xff00000
	s_lshr_b32 s8, s8, 20
	s_cmp_lg_u32 s9, 0x7f00000
	s_cselect_b32 s9, s8, 0x7e
	s_mov_b32 s8, 0
	s_branch .LBB103_440
.LBB103_438:
	s_mov_b32 s8, -1
                                        ; implicit-def: $vgpr7
	s_branch .LBB103_443
.LBB103_439:
	s_mov_b32 s8, -1
                                        ; implicit-def: $sgpr9
.LBB103_440:
	v_mov_b32_e32 v7, s9
	s_and_not1_b32 vcc_lo, exec_lo, s8
	s_cbranch_vccnz .LBB103_442
; %bb.441:
	v_add_f32_e64 v7, 0x46800000, |v6|
.LBB103_442:
	s_mov_b32 s8, 0
.LBB103_443:
	s_delay_alu instid0(SALU_CYCLE_1)
	s_and_not1_b32 vcc_lo, exec_lo, s8
	s_cbranch_vccnz .LBB103_445
; %bb.444:
	s_cmp_gt_u32 s5, 0x7f800000
	s_movk_i32 s5, 0x7f
	s_delay_alu instid0(SALU_CYCLE_1) | instskip(NEXT) | instid1(SALU_CYCLE_1)
	s_cselect_b32 s5, s5, 0x7e
	v_mov_b32_e32 v7, s5
.LBB103_445:
	s_lshr_b32 s4, s4, 24
	s_delay_alu instid0(SALU_CYCLE_1)
	s_and_b32 s4, s4, 0x80
	s_delay_alu instid0(VALU_DEP_1) | instid1(SALU_CYCLE_1)
	v_or_b32_e32 v6, s4, v7
	global_store_b8 v[3:4], v6, off
.LBB103_446:
	s_mov_b32 s4, 0
.LBB103_447:
	s_delay_alu instid0(SALU_CYCLE_1)
	s_and_not1_b32 vcc_lo, exec_lo, s4
	s_cbranch_vccnz .LBB103_459
; %bb.448:
	v_cvt_f32_f16_e32 v6, s2
	s_delay_alu instid0(VALU_DEP_1) | instskip(NEXT) | instid1(VALU_DEP_1)
	v_readfirstlane_b32 s4, v6
	s_and_b32 s5, s4, 0x7fffffff
	s_delay_alu instid0(SALU_CYCLE_1)
	s_cmp_lt_u32 s5, 0x47800000
	s_cbranch_scc0 .LBB103_451
; %bb.449:
	s_cmp_gt_u32 s5, 0x387fffff
	s_cbranch_scc0 .LBB103_452
; %bb.450:
	s_bfe_u32 s8, s4, 0x10015
	s_delay_alu instid0(SALU_CYCLE_1) | instskip(NEXT) | instid1(SALU_CYCLE_1)
	s_add_i32 s8, s4, s8
	s_add_i32 s8, s8, 0x80fffff
	s_delay_alu instid0(SALU_CYCLE_1)
	s_lshr_b32 s9, s8, 21
	s_mov_b32 s8, 0
	s_branch .LBB103_453
.LBB103_451:
	s_mov_b32 s8, -1
                                        ; implicit-def: $vgpr7
	s_branch .LBB103_456
.LBB103_452:
	s_mov_b32 s8, -1
                                        ; implicit-def: $sgpr9
.LBB103_453:
	v_mov_b32_e32 v7, s9
	s_and_not1_b32 vcc_lo, exec_lo, s8
	s_cbranch_vccnz .LBB103_455
; %bb.454:
	v_add_f32_e64 v7, 0x43000000, |v6|
.LBB103_455:
	s_mov_b32 s8, 0
.LBB103_456:
	s_delay_alu instid0(SALU_CYCLE_1)
	s_and_not1_b32 vcc_lo, exec_lo, s8
	s_cbranch_vccnz .LBB103_458
; %bb.457:
	s_cmp_gt_u32 s5, 0x7f800000
	s_movk_i32 s5, 0x7f
	s_delay_alu instid0(SALU_CYCLE_1) | instskip(NEXT) | instid1(SALU_CYCLE_1)
	s_cselect_b32 s5, s5, 0x7c
	v_mov_b32_e32 v7, s5
.LBB103_458:
	s_lshr_b32 s4, s4, 24
	s_delay_alu instid0(SALU_CYCLE_1)
	s_and_b32 s4, s4, 0x80
	s_delay_alu instid0(VALU_DEP_1) | instid1(SALU_CYCLE_1)
	v_or_b32_e32 v6, s4, v7
	global_store_b8 v[3:4], v6, off
.LBB103_459:
	s_mov_b32 s4, 0
	s_mov_b32 s5, -1
.LBB103_460:
	s_and_not1_b32 vcc_lo, exec_lo, s4
	s_mov_b32 s4, 0
	s_cbranch_vccnz .LBB103_467
; %bb.461:
	v_cmp_lt_i16_e32 vcc_lo, 14, v5
	s_mov_b32 s4, -1
	s_cbranch_vccz .LBB103_465
; %bb.462:
	v_cmp_eq_u16_e32 vcc_lo, 15, v5
	s_mov_b32 s3, -1
	s_cbranch_vccz .LBB103_464
; %bb.463:
	v_cvt_f32_f16_e32 v6, s2
	v_cmp_o_f16_e64 vcc_lo, s2, s2
	s_mov_b32 s3, 0
	s_mov_b32 s5, -1
	s_delay_alu instid0(VALU_DEP_2) | instskip(NEXT) | instid1(VALU_DEP_1)
	v_bfe_u32 v7, v6, 16, 1
	v_add_nc_u32_e32 v6, v6, v7
	s_delay_alu instid0(VALU_DEP_1) | instskip(NEXT) | instid1(VALU_DEP_1)
	v_add_nc_u32_e32 v6, 0x7fff, v6
	v_lshrrev_b32_e32 v6, 16, v6
	s_delay_alu instid0(VALU_DEP_1)
	v_cndmask_b32_e32 v6, 0x7fc0, v6, vcc_lo
	global_store_b16 v[3:4], v6, off
.LBB103_464:
	s_mov_b32 s4, 0
.LBB103_465:
	s_delay_alu instid0(SALU_CYCLE_1)
	s_and_b32 vcc_lo, exec_lo, s4
	s_mov_b32 s4, 0
	s_cbranch_vccz .LBB103_467
; %bb.466:
	v_cmp_ne_u16_e64 s3, 11, v5
	s_mov_b32 s4, -1
.LBB103_467:
	s_delay_alu instid0(VALU_DEP_1)
	s_and_b32 vcc_lo, exec_lo, s3
	s_mov_b32 s3, s6
	s_cbranch_vccnz .LBB103_539
; %bb.468:
	s_and_not1_b32 vcc_lo, exec_lo, s4
	s_cbranch_vccnz .LBB103_470
.LBB103_469:
	v_and_b32_e64 v6, 0x7fff, s2
	s_mov_b32 s5, -1
	s_delay_alu instid0(VALU_DEP_1)
	v_cmp_ne_u16_e32 vcc_lo, 0, v6
	v_cndmask_b32_e64 v6, 0, 1, vcc_lo
	global_store_b8 v[3:4], v6, off
.LBB103_470:
	s_mov_b32 s4, 0
.LBB103_471:
	s_delay_alu instid0(SALU_CYCLE_1)
	s_and_b32 vcc_lo, exec_lo, s4
	s_cbranch_vccz .LBB103_510
; %bb.472:
	v_cmp_gt_i16_e32 vcc_lo, 5, v5
	s_mov_b32 s4, -1
	s_cbranch_vccnz .LBB103_493
; %bb.473:
	v_cmp_gt_i16_e32 vcc_lo, 8, v5
	s_cbranch_vccnz .LBB103_483
; %bb.474:
	v_cmp_gt_i16_e32 vcc_lo, 9, v5
	s_cbranch_vccnz .LBB103_480
; %bb.475:
	v_cmp_lt_i16_e32 vcc_lo, 9, v5
	s_cbranch_vccz .LBB103_477
; %bb.476:
	v_cvt_f32_f16_e32 v6, s2
	v_mov_b32_e32 v8, 0
	s_mov_b32 s4, 0
	s_delay_alu instid0(VALU_DEP_2) | instskip(NEXT) | instid1(VALU_DEP_2)
	v_cvt_f64_f32_e32 v[6:7], v6
	v_mov_b32_e32 v9, v8
	global_store_b128 v[3:4], v[6:9], off
.LBB103_477:
	s_and_not1_b32 vcc_lo, exec_lo, s4
	s_cbranch_vccnz .LBB103_479
; %bb.478:
	v_cvt_f32_f16_e32 v6, s2
	v_mov_b32_e32 v7, 0
	global_store_b64 v[3:4], v[6:7], off
.LBB103_479:
	s_mov_b32 s4, 0
.LBB103_480:
	s_delay_alu instid0(SALU_CYCLE_1)
	s_and_not1_b32 vcc_lo, exec_lo, s4
	s_cbranch_vccnz .LBB103_482
; %bb.481:
	s_and_b32 s4, 0xffff, s2
	s_delay_alu instid0(SALU_CYCLE_1)
	v_mov_b32_e32 v6, s4
	global_store_b32 v[3:4], v6, off
.LBB103_482:
	s_mov_b32 s4, 0
.LBB103_483:
	s_delay_alu instid0(SALU_CYCLE_1)
	s_and_not1_b32 vcc_lo, exec_lo, s4
	s_cbranch_vccnz .LBB103_492
; %bb.484:
	v_cmp_gt_i16_e32 vcc_lo, 6, v5
	s_mov_b32 s4, -1
	s_cbranch_vccnz .LBB103_490
; %bb.485:
	v_cmp_lt_i16_e32 vcc_lo, 6, v5
	s_cbranch_vccz .LBB103_487
; %bb.486:
	v_cvt_f32_f16_e32 v6, s2
	s_mov_b32 s4, 0
	s_delay_alu instid0(VALU_DEP_1)
	v_cvt_f64_f32_e32 v[6:7], v6
	global_store_b64 v[3:4], v[6:7], off
.LBB103_487:
	s_and_not1_b32 vcc_lo, exec_lo, s4
	s_cbranch_vccnz .LBB103_489
; %bb.488:
	v_cvt_f32_f16_e32 v6, s2
	global_store_b32 v[3:4], v6, off
.LBB103_489:
	s_mov_b32 s4, 0
.LBB103_490:
	s_delay_alu instid0(SALU_CYCLE_1)
	s_and_not1_b32 vcc_lo, exec_lo, s4
	s_cbranch_vccnz .LBB103_492
; %bb.491:
	v_mov_b32_e32 v6, s2
	global_store_b16 v[3:4], v6, off
.LBB103_492:
	s_mov_b32 s4, 0
.LBB103_493:
	s_delay_alu instid0(SALU_CYCLE_1)
	s_and_not1_b32 vcc_lo, exec_lo, s4
	s_cbranch_vccnz .LBB103_509
; %bb.494:
	v_cmp_gt_i16_e32 vcc_lo, 2, v5
	s_mov_b32 s4, -1
	s_cbranch_vccnz .LBB103_504
; %bb.495:
	v_cmp_gt_i16_e32 vcc_lo, 3, v5
	s_cbranch_vccnz .LBB103_501
; %bb.496:
	v_cmp_lt_i16_e32 vcc_lo, 3, v5
	s_cbranch_vccz .LBB103_498
; %bb.497:
	v_cvt_f32_f16_e32 v6, s2
	s_mov_b32 s4, 0
	s_delay_alu instid0(VALU_DEP_1) | instskip(NEXT) | instid1(VALU_DEP_1)
	v_cvt_i32_f32_e32 v6, v6
	v_ashrrev_i32_e32 v7, 31, v6
	global_store_b64 v[3:4], v[6:7], off
.LBB103_498:
	s_and_not1_b32 vcc_lo, exec_lo, s4
	s_cbranch_vccnz .LBB103_500
; %bb.499:
	v_cvt_f32_f16_e32 v6, s2
	s_delay_alu instid0(VALU_DEP_1)
	v_cvt_i32_f32_e32 v6, v6
	global_store_b32 v[3:4], v6, off
.LBB103_500:
	s_mov_b32 s4, 0
.LBB103_501:
	s_delay_alu instid0(SALU_CYCLE_1)
	s_and_not1_b32 vcc_lo, exec_lo, s4
	s_cbranch_vccnz .LBB103_503
; %bb.502:
	v_cvt_i16_f16_e32 v6, s2
	global_store_b16 v[3:4], v6, off
.LBB103_503:
	s_mov_b32 s4, 0
.LBB103_504:
	s_delay_alu instid0(SALU_CYCLE_1)
	s_and_not1_b32 vcc_lo, exec_lo, s4
	s_cbranch_vccnz .LBB103_509
; %bb.505:
	v_cmp_lt_i16_e32 vcc_lo, 0, v5
	s_mov_b32 s4, -1
	s_cbranch_vccz .LBB103_507
; %bb.506:
	v_cvt_i16_f16_e32 v6, s2
	s_mov_b32 s4, 0
	global_store_b8 v[3:4], v6, off
.LBB103_507:
	s_and_not1_b32 vcc_lo, exec_lo, s4
	s_cbranch_vccnz .LBB103_509
; %bb.508:
	v_cvt_f32_f16_e32 v6, s2
	s_delay_alu instid0(VALU_DEP_1)
	v_cvt_i32_f32_e32 v6, v6
	global_store_b8 v[3:4], v6, off
.LBB103_509:
	s_mov_b32 s5, -1
.LBB103_510:
	s_delay_alu instid0(SALU_CYCLE_1)
	s_and_not1_b32 vcc_lo, exec_lo, s5
	s_cbranch_vccnz .LBB103_923
; %bb.511:
	v_cmp_gt_i16_e32 vcc_lo, 11, v5
	v_add_co_u32 v2, s4, s0, v2
	s_delay_alu instid0(VALU_DEP_1)
	v_add_co_ci_u32_e64 v3, null, s1, 0, s4
	s_mov_b32 s8, 0
	s_mov_b32 s4, -1
	s_cbranch_vccnz .LBB103_724
; %bb.512:
	v_cmp_lt_i16_e32 vcc_lo, 25, v5
	s_mov_b32 s9, -1
	s_mov_b32 s5, 0
	s_mov_b32 s4, 0
	s_cbranch_vccz .LBB103_551
; %bb.513:
	v_cmp_lt_i16_e32 vcc_lo, 28, v5
	s_cbranch_vccz .LBB103_528
; %bb.514:
	v_cmp_lt_i16_e32 vcc_lo, 43, v5
	s_cbranch_vccz .LBB103_524
; %bb.515:
	v_cmp_lt_i16_e32 vcc_lo, 45, v5
	s_cbranch_vccz .LBB103_518
; %bb.516:
	v_cmp_eq_u16_e32 vcc_lo, 46, v5
	s_mov_b32 s4, -1
	s_mov_b32 s9, 0
	s_cbranch_vccz .LBB103_518
; %bb.517:
	v_cvt_f32_f16_e32 v4, s2
	v_cmp_o_f16_e64 vcc_lo, s2, s2
	s_mov_b32 s4, 0
	s_mov_b32 s8, -1
	s_delay_alu instid0(VALU_DEP_2) | instskip(NEXT) | instid1(VALU_DEP_1)
	v_bfe_u32 v6, v4, 16, 1
	v_add_nc_u32_e32 v4, v4, v6
	s_delay_alu instid0(VALU_DEP_1) | instskip(NEXT) | instid1(VALU_DEP_1)
	v_add_nc_u32_e32 v4, 0x7fff, v4
	v_lshrrev_b32_e32 v4, 16, v4
	s_delay_alu instid0(VALU_DEP_1)
	v_cndmask_b32_e32 v4, 0x7fc0, v4, vcc_lo
	global_store_b32 v[2:3], v4, off
.LBB103_518:
	s_and_b32 vcc_lo, exec_lo, s9
	s_cbranch_vccz .LBB103_523
; %bb.519:
	v_cmp_eq_u16_e32 vcc_lo, 44, v5
	s_mov_b32 s4, -1
	s_cbranch_vccz .LBB103_523
; %bb.520:
	v_cvt_f32_f16_e32 v4, s2
	v_mov_b32_e32 v6, 0xff
	s_delay_alu instid0(VALU_DEP_2) | instskip(NEXT) | instid1(VALU_DEP_1)
	v_readfirstlane_b32 s4, v4
	s_bfe_u32 s8, s4, 0x80017
	s_delay_alu instid0(SALU_CYCLE_1)
	s_cmpk_eq_i32 s8, 0xff
	s_cbranch_scc1 .LBB103_522
; %bb.521:
	s_bitcmp1_b32 s4, 22
	v_lshrrev_b32_e32 v4, 23, v4
	s_cselect_b32 s9, -1, 0
	s_and_b32 s4, s4, 0x3fffff
	s_delay_alu instid0(SALU_CYCLE_1) | instskip(NEXT) | instid1(SALU_CYCLE_1)
	s_or_b32 s4, s8, s4
	s_cmp_lg_u32 s4, 0
	s_cselect_b32 s4, -1, 0
	s_delay_alu instid0(SALU_CYCLE_1) | instskip(NEXT) | instid1(SALU_CYCLE_1)
	s_and_b32 s4, s9, s4
	v_cndmask_b32_e64 v6, 0, 1, s4
	s_delay_alu instid0(VALU_DEP_1)
	v_add_nc_u32_e32 v6, v4, v6
.LBB103_522:
	s_mov_b32 s4, 0
	s_mov_b32 s8, -1
	global_store_b8 v[2:3], v6, off
.LBB103_523:
	s_mov_b32 s9, 0
.LBB103_524:
	s_delay_alu instid0(SALU_CYCLE_1)
	s_and_b32 vcc_lo, exec_lo, s9
	s_cbranch_vccz .LBB103_527
; %bb.525:
	v_cmp_eq_u16_e32 vcc_lo, 29, v5
	s_mov_b32 s4, -1
	s_cbranch_vccz .LBB103_527
; %bb.526:
	v_cvt_f32_f16_e32 v4, s2
	v_mov_b32_e32 v7, 0
	s_mov_b32 s4, 0
	s_mov_b32 s8, -1
	s_delay_alu instid0(VALU_DEP_2)
	v_cvt_u32_f32_e32 v6, v4
	global_store_b64 v[2:3], v[6:7], off
.LBB103_527:
	s_mov_b32 s9, 0
.LBB103_528:
	s_delay_alu instid0(SALU_CYCLE_1)
	s_and_b32 vcc_lo, exec_lo, s9
	s_cbranch_vccz .LBB103_550
; %bb.529:
	v_cmp_gt_i16_e32 vcc_lo, 27, v5
	s_mov_b32 s8, -1
	s_cbranch_vccnz .LBB103_535
; %bb.530:
	v_cmp_lt_i16_e32 vcc_lo, 27, v5
	s_cbranch_vccz .LBB103_532
; %bb.531:
	v_cvt_f32_f16_e32 v4, s2
	s_mov_b32 s8, 0
	s_delay_alu instid0(VALU_DEP_1)
	v_cvt_u32_f32_e32 v4, v4
	global_store_b32 v[2:3], v4, off
.LBB103_532:
	s_and_not1_b32 vcc_lo, exec_lo, s8
	s_cbranch_vccnz .LBB103_534
; %bb.533:
	v_cvt_u16_f16_e32 v4, s2
	global_store_b16 v[2:3], v4, off
.LBB103_534:
	s_mov_b32 s8, 0
.LBB103_535:
	s_delay_alu instid0(SALU_CYCLE_1)
	s_and_not1_b32 vcc_lo, exec_lo, s8
	s_cbranch_vccnz .LBB103_549
; %bb.536:
	v_cvt_f32_f16_e32 v4, s2
	v_mov_b32_e32 v6, 0x80
	s_delay_alu instid0(VALU_DEP_2) | instskip(NEXT) | instid1(VALU_DEP_1)
	v_readfirstlane_b32 s8, v4
	s_and_b32 s9, s8, 0x7fffffff
	s_delay_alu instid0(SALU_CYCLE_1)
	s_cmp_gt_u32 s9, 0x437fffff
	s_cbranch_scc1 .LBB103_548
; %bb.537:
	s_cmp_gt_u32 s9, 0x3bffffff
	s_cbranch_scc0 .LBB103_543
; %bb.538:
	s_bfe_u32 s9, s8, 0x10014
	s_mov_b32 s10, 0
	s_add_i32 s9, s8, s9
	s_delay_alu instid0(SALU_CYCLE_1) | instskip(NEXT) | instid1(SALU_CYCLE_1)
	s_add_i32 s9, s9, 0x487ffff
	s_lshr_b32 s11, s9, 20
	s_mov_b32 s9, -1
	s_branch .LBB103_544
.LBB103_539:
	s_cbranch_execnz .LBB103_541
; %bb.540:
	s_or_b32 s3, s6, exec_lo
	s_cbranch_execz .LBB103_469
	s_branch .LBB103_470
.LBB103_541:
	s_trap 2
	s_sendmsg_rtn_b32 s0, sendmsg(MSG_RTN_GET_DOORBELL)
	s_mov_b32 ttmp2, m0
	s_waitcnt lgkmcnt(0)
	s_and_b32 s0, s0, 0x3ff
	s_delay_alu instid0(SALU_CYCLE_1) | instskip(NEXT) | instid1(SALU_CYCLE_1)
	s_bitset1_b32 s0, 10
	s_mov_b32 m0, s0
	s_sendmsg sendmsg(MSG_INTERRUPT)
	s_mov_b32 m0, ttmp2
.LBB103_542:                            ; =>This Inner Loop Header: Depth=1
	s_sethalt 5
	s_branch .LBB103_542
.LBB103_543:
	s_mov_b32 s10, -1
	s_mov_b32 s9, 0
                                        ; implicit-def: $sgpr11
.LBB103_544:
	v_mov_b32_e32 v4, s11
	s_and_not1_b32 vcc_lo, exec_lo, s10
                                        ; implicit-def: $sgpr10
	s_cbranch_vccnz .LBB103_546
; %bb.545:
	v_add_f32_e64 v4, 0x46000000, |s8|
	s_mov_b32 s10, 0
	s_delay_alu instid0(VALU_DEP_1) | instskip(NEXT) | instid1(VALU_DEP_1)
	v_and_b32_e32 v4, 0xff, v4
	v_cmp_ne_u32_e64 s9, 0, v4
.LBB103_546:
	v_mov_b32_e32 v6, s10
	s_delay_alu instid0(VALU_DEP_2)
	s_and_not1_b32 vcc_lo, exec_lo, s9
	s_cbranch_vccnz .LBB103_548
; %bb.547:
	s_lshr_b32 s8, s8, 24
	s_delay_alu instid0(SALU_CYCLE_1) | instskip(NEXT) | instid1(SALU_CYCLE_1)
	s_and_b32 s8, s8, 0x80
	v_or_b32_e32 v6, s8, v4
.LBB103_548:
	global_store_b8 v[2:3], v6, off
.LBB103_549:
	s_mov_b32 s8, -1
.LBB103_550:
	s_mov_b32 s9, 0
.LBB103_551:
	s_delay_alu instid0(SALU_CYCLE_1)
	s_and_b32 vcc_lo, exec_lo, s9
	s_cbranch_vccz .LBB103_720
; %bb.552:
	v_cmp_lt_i16_e32 vcc_lo, 22, v5
	s_mov_b32 s5, -1
	s_cbranch_vccz .LBB103_713
; %bb.553:
	v_cmp_gt_i16_e32 vcc_lo, 24, v5
	s_cbranch_vccnz .LBB103_700
; %bb.554:
	v_cmp_lt_i16_e32 vcc_lo, 24, v5
	s_cbranch_vccz .LBB103_687
; %bb.555:
	v_cvt_f32_f16_e32 v4, s2
	v_mov_b32_e32 v6, 0x80
	s_delay_alu instid0(VALU_DEP_2) | instskip(NEXT) | instid1(VALU_DEP_1)
	v_readfirstlane_b32 s5, v4
	s_and_b32 s8, s5, 0x7fffffff
	s_delay_alu instid0(SALU_CYCLE_1)
	s_cmp_gt_u32 s8, 0x477fffff
	s_cbranch_scc1 .LBB103_686
; %bb.556:
	s_cmp_gt_u32 s8, 0x37ffffff
	s_cbranch_scc0 .LBB103_681
; %bb.557:
	s_bfe_u32 s8, s5, 0x10015
	s_mov_b32 s9, 0
	s_add_i32 s8, s5, s8
	s_delay_alu instid0(SALU_CYCLE_1) | instskip(NEXT) | instid1(SALU_CYCLE_1)
	s_add_i32 s8, s8, 0x88fffff
	s_lshr_b32 s10, s8, 21
	s_mov_b32 s8, -1
	s_branch .LBB103_682
.LBB103_558:
	s_mov_b32 s18, s54
.LBB103_559:
	s_and_b32 vcc_lo, exec_lo, s20
	s_cbranch_vccz .LBB103_562
; %bb.560:
	v_cmp_eq_u16_e32 vcc_lo, 44, v21
	s_mov_b32 s18, -1
	s_cbranch_vccz .LBB103_562
; %bb.561:
	v_cndmask_b32_e64 v2, v20, 0xff, s2
	s_mov_b32 s19, -1
	s_mov_b32 s18, 0
	global_store_b8 v[10:11], v2, off
.LBB103_562:
	s_mov_b32 s20, 0
.LBB103_563:
	s_delay_alu instid0(SALU_CYCLE_1)
	s_and_b32 vcc_lo, exec_lo, s20
	s_cbranch_vccz .LBB103_566
; %bb.564:
	v_cmp_eq_u16_e32 vcc_lo, 29, v21
	s_mov_b32 s18, -1
	s_cbranch_vccz .LBB103_566
; %bb.565:
	s_mov_b32 s19, -1
	s_mov_b32 s18, 0
	global_store_b64 v[10:11], v[8:9], off
.LBB103_566:
	s_mov_b32 s20, 0
.LBB103_567:
	s_delay_alu instid0(SALU_CYCLE_1)
	s_and_b32 vcc_lo, exec_lo, s20
	s_cbranch_vccz .LBB103_580
; %bb.568:
	v_cmp_gt_i16_e32 vcc_lo, 27, v21
	s_mov_b32 s19, -1
	s_cbranch_vccnz .LBB103_574
; %bb.569:
	v_cmp_lt_i16_e32 vcc_lo, 27, v21
	s_cbranch_vccz .LBB103_571
; %bb.570:
	s_mov_b32 s19, 0
	global_store_b32 v[10:11], v8, off
.LBB103_571:
	s_and_not1_b32 vcc_lo, exec_lo, s19
	s_cbranch_vccnz .LBB103_573
; %bb.572:
	global_store_b16 v[10:11], v19, off
.LBB103_573:
	s_mov_b32 s19, 0
.LBB103_574:
	s_delay_alu instid0(SALU_CYCLE_1)
	s_and_not1_b32 vcc_lo, exec_lo, s19
	s_cbranch_vccnz .LBB103_579
; %bb.575:
	v_mov_b32_e32 v2, 0x80
	s_and_not1_b32 vcc_lo, exec_lo, s45
	s_cbranch_vccnz .LBB103_578
; %bb.576:
	v_mov_b32_e32 v2, 0
	s_or_b32 s19, s43, s46
	s_delay_alu instid0(SALU_CYCLE_1)
	s_and_not1_b32 vcc_lo, exec_lo, s19
	s_cbranch_vccnz .LBB103_578
; %bb.577:
	v_cndmask_b32_e64 v2, v18, s44, s43
	s_delay_alu instid0(VALU_DEP_1)
	v_or_b32_e32 v2, v2, v16
.LBB103_578:
	global_store_b8 v[10:11], v2, off
.LBB103_579:
	s_mov_b32 s19, -1
.LBB103_580:
	s_mov_b32 s20, 0
.LBB103_581:
	s_delay_alu instid0(SALU_CYCLE_1)
	s_and_b32 vcc_lo, exec_lo, s20
	s_cbranch_vccz .LBB103_603
; %bb.582:
	v_cmp_lt_i16_e32 vcc_lo, 22, v21
	s_mov_b32 s20, -1
	s_cbranch_vccz .LBB103_595
; %bb.583:
	v_cmp_gt_i16_e32 vcc_lo, 24, v21
	s_mov_b32 s19, -1
	s_cbranch_vccnz .LBB103_592
; %bb.584:
	v_cmp_lt_i16_e32 vcc_lo, 24, v21
	s_cbranch_vccz .LBB103_589
; %bb.585:
	v_mov_b32_e32 v2, 0x80
	s_and_not1_b32 vcc_lo, exec_lo, s39
	s_cbranch_vccnz .LBB103_588
; %bb.586:
	v_mov_b32_e32 v2, 0
	s_or_b32 s19, s35, s42
	s_delay_alu instid0(SALU_CYCLE_1)
	s_and_not1_b32 vcc_lo, exec_lo, s19
	s_cbranch_vccnz .LBB103_588
; %bb.587:
	v_cndmask_b32_e64 v2, v17, s40, s35
	s_delay_alu instid0(VALU_DEP_1)
	v_or_b32_e32 v2, v2, v16
.LBB103_588:
	s_mov_b32 s19, 0
	global_store_b8 v[10:11], v2, off
.LBB103_589:
	s_and_b32 vcc_lo, exec_lo, s19
	s_cbranch_vccz .LBB103_591
; %bb.590:
	s_and_b32 s19, s36, exec_lo
	s_cselect_b32 s19, s33, s37
	s_and_b32 s20, s34, exec_lo
	s_cselect_b32 s19, s41, s19
	s_delay_alu instid0(SALU_CYCLE_1)
	v_or_b32_e32 v2, s19, v16
	global_store_b8 v[10:11], v2, off
.LBB103_591:
	s_mov_b32 s19, 0
.LBB103_592:
	s_delay_alu instid0(SALU_CYCLE_1)
	s_and_not1_b32 vcc_lo, exec_lo, s19
	s_cbranch_vccnz .LBB103_594
; %bb.593:
	s_and_b32 s19, s30, exec_lo
	s_cselect_b32 s19, s29, s31
	s_and_b32 s20, s28, exec_lo
	s_cselect_b32 s19, s38, s19
	s_delay_alu instid0(SALU_CYCLE_1)
	v_or_b32_e32 v2, s19, v16
	global_store_b8 v[10:11], v2, off
.LBB103_594:
	s_mov_b32 s20, 0
	s_mov_b32 s19, -1
.LBB103_595:
	s_and_not1_b32 vcc_lo, exec_lo, s20
	s_cbranch_vccnz .LBB103_603
; %bb.596:
	v_cmp_lt_i16_e32 vcc_lo, 14, v21
	s_mov_b32 s20, -1
	s_cbranch_vccz .LBB103_600
; %bb.597:
	v_cmp_eq_u16_e32 vcc_lo, 15, v21
	s_mov_b32 s18, -1
	s_cbranch_vccz .LBB103_599
; %bb.598:
	s_mov_b32 s19, -1
	s_mov_b32 s18, 0
	global_store_b16 v[10:11], v15, off
.LBB103_599:
	s_mov_b32 s20, 0
.LBB103_600:
	s_delay_alu instid0(SALU_CYCLE_1)
	s_and_b32 vcc_lo, exec_lo, s20
	s_cbranch_vccz .LBB103_603
; %bb.601:
	v_cmp_eq_u16_e32 vcc_lo, 11, v21
	s_mov_b32 s18, -1
	s_cbranch_vccz .LBB103_603
; %bb.602:
	s_mov_b32 s19, -1
	s_mov_b32 s18, 0
	global_store_b8 v[10:11], v14, off
.LBB103_603:
.LBB103_604:
	s_and_not1_b32 vcc_lo, exec_lo, s19
	s_cbranch_vccnz .LBB103_424
.LBB103_605:
	v_add_nc_u32_e32 v13, 0x80, v13
	s_mov_b32 s19, -1
.LBB103_606:
	s_and_not1_b32 s20, s54, exec_lo
	s_and_b32 s18, s18, exec_lo
	s_or_not1_b32 s57, s19, exec_lo
	s_or_b32 s20, s20, s18
.LBB103_607:
	s_or_b32 exec_lo, exec_lo, s56
	s_mov_b32 s18, 0
	s_mov_b32 s19, 0
                                        ; implicit-def: $vgpr21
                                        ; implicit-def: $vgpr10_vgpr11
	s_and_saveexec_b32 s21, s57
	s_cbranch_execz .LBB103_675
; %bb.608:
	v_cmp_gt_i32_e32 vcc_lo, s49, v13
	s_mov_b32 s56, s20
                                        ; implicit-def: $vgpr21
                                        ; implicit-def: $vgpr10_vgpr11
	s_and_saveexec_b32 s49, vcc_lo
	s_cbranch_execz .LBB103_674
; %bb.609:
	s_and_not1_b32 vcc_lo, exec_lo, s24
	s_cbranch_vccnz .LBB103_614
; %bb.610:
	v_mov_b32_e32 v2, 0
	s_and_not1_b32 vcc_lo, exec_lo, s51
	s_cbranch_vccnz .LBB103_619
; %bb.611:
	s_add_i32 s51, s50, 1
	s_cmp_eq_u32 s23, 2
	s_mov_b32 s50, 0
	s_cbranch_scc1 .LBB103_615
; %bb.612:
	v_dual_mov_b32 v2, 0 :: v_dual_mov_b32 v3, v13
	s_and_b32 s50, s51, 28
	s_mov_b32 s56, 0
	s_mov_b64 s[18:19], s[8:9]
.LBB103_613:                            ; =>This Inner Loop Header: Depth=1
	s_clause 0x1
	s_load_b256 s[60:67], s[18:19], 0x4
	s_load_b128 s[68:71], s[18:19], 0x24
	s_load_b128 s[72:75], s[16:17], 0x0
	s_add_u32 s18, s18, 48
	s_addc_u32 s19, s19, 0
	s_add_i32 s56, s56, 4
	s_add_u32 s16, s16, 16
	s_addc_u32 s17, s17, 0
	s_cmp_eq_u32 s50, s56
	s_waitcnt lgkmcnt(0)
	v_mul_hi_u32 v5, s61, v3
	s_delay_alu instid0(VALU_DEP_1) | instskip(NEXT) | instid1(VALU_DEP_1)
	v_add_nc_u32_e32 v5, v3, v5
	v_lshrrev_b32_e32 v5, s62, v5
	s_delay_alu instid0(VALU_DEP_1) | instskip(SKIP_1) | instid1(VALU_DEP_2)
	v_mul_hi_u32 v10, s64, v5
	v_mul_lo_u32 v22, v5, s60
	v_add_nc_u32_e32 v10, v5, v10
	s_delay_alu instid0(VALU_DEP_2) | instskip(NEXT) | instid1(VALU_DEP_2)
	v_sub_nc_u32_e32 v22, v3, v22
	v_lshrrev_b32_e32 v10, s65, v10
	s_delay_alu instid0(VALU_DEP_2) | instskip(NEXT) | instid1(VALU_DEP_2)
	v_mul_lo_u32 v22, v22, s72
	v_mul_hi_u32 v11, s67, v10
	v_mul_lo_u32 v23, v10, s63
	s_delay_alu instid0(VALU_DEP_2) | instskip(NEXT) | instid1(VALU_DEP_2)
	v_add_nc_u32_e32 v11, v10, v11
	v_sub_nc_u32_e32 v5, v5, v23
	s_delay_alu instid0(VALU_DEP_2) | instskip(NEXT) | instid1(VALU_DEP_2)
	v_lshrrev_b32_e32 v11, s68, v11
	v_mul_lo_u32 v5, v5, s73
	s_delay_alu instid0(VALU_DEP_2) | instskip(NEXT) | instid1(VALU_DEP_2)
	v_mul_hi_u32 v21, s70, v11
	v_add3_u32 v2, v22, v2, v5
	s_delay_alu instid0(VALU_DEP_2) | instskip(NEXT) | instid1(VALU_DEP_1)
	v_add_nc_u32_e32 v21, v11, v21
	v_lshrrev_b32_e32 v3, s71, v21
	v_mul_lo_u32 v21, v11, s66
	s_delay_alu instid0(VALU_DEP_2) | instskip(NEXT) | instid1(VALU_DEP_2)
	v_mul_lo_u32 v24, v3, s69
	v_sub_nc_u32_e32 v10, v10, v21
	s_delay_alu instid0(VALU_DEP_2) | instskip(NEXT) | instid1(VALU_DEP_2)
	v_sub_nc_u32_e32 v11, v11, v24
	v_mul_lo_u32 v10, v10, s74
	s_delay_alu instid0(VALU_DEP_2) | instskip(NEXT) | instid1(VALU_DEP_1)
	v_mul_lo_u32 v11, v11, s75
	v_add3_u32 v2, v10, v2, v11
	s_cbranch_scc0 .LBB103_613
	s_branch .LBB103_616
.LBB103_614:
	s_mov_b32 s16, -1
                                        ; implicit-def: $vgpr2
	s_branch .LBB103_620
.LBB103_615:
	v_mov_b32_e32 v3, v13
.LBB103_616:
	s_and_b32 s51, s51, 3
	s_delay_alu instid0(SALU_CYCLE_1)
	s_cmp_eq_u32 s51, 0
	s_cbranch_scc1 .LBB103_619
; %bb.617:
	s_lshl_b32 s16, s50, 2
	s_mul_i32 s18, s50, 12
	s_add_u32 s16, s16, s8
	s_addc_u32 s17, s9, 0
	s_add_u32 s16, s16, 0xc4
	s_addc_u32 s17, s17, 0
	;; [unrolled: 2-line block ×3, first 2 shown]
.LBB103_618:                            ; =>This Inner Loop Header: Depth=1
	s_clause 0x1
	s_load_b64 s[56:57], s[18:19], 0x4
	s_load_b32 s50, s[18:19], 0xc
	s_add_u32 s18, s18, 12
	s_addc_u32 s19, s19, 0
	s_waitcnt lgkmcnt(0)
	v_mul_hi_u32 v5, s57, v3
	s_load_b32 s57, s[16:17], 0x0
	s_add_u32 s16, s16, 4
	s_addc_u32 s17, s17, 0
	s_add_i32 s51, s51, -1
	s_delay_alu instid0(SALU_CYCLE_1) | instskip(NEXT) | instid1(VALU_DEP_1)
	s_cmp_lg_u32 s51, 0
	v_add_nc_u32_e32 v5, v3, v5
	s_delay_alu instid0(VALU_DEP_1) | instskip(NEXT) | instid1(VALU_DEP_1)
	v_lshrrev_b32_e32 v5, s50, v5
	v_mul_lo_u32 v10, v5, s56
	s_delay_alu instid0(VALU_DEP_1) | instskip(SKIP_1) | instid1(VALU_DEP_1)
	v_sub_nc_u32_e32 v3, v3, v10
	s_waitcnt lgkmcnt(0)
	v_mad_u64_u32 v[10:11], null, v3, s57, v[2:3]
	s_delay_alu instid0(VALU_DEP_1)
	v_dual_mov_b32 v3, v5 :: v_dual_mov_b32 v2, v10
	s_cbranch_scc1 .LBB103_618
.LBB103_619:
	s_mov_b32 s16, 0
.LBB103_620:
	s_delay_alu instid0(SALU_CYCLE_1)
	s_and_not1_b32 vcc_lo, exec_lo, s16
	s_cbranch_vccnz .LBB103_623
; %bb.621:
	v_mul_hi_u32 v2, s5, v13
	s_and_not1_b32 vcc_lo, exec_lo, s48
	s_delay_alu instid0(VALU_DEP_1) | instskip(NEXT) | instid1(VALU_DEP_1)
	v_add_nc_u32_e32 v2, v13, v2
	v_lshrrev_b32_e32 v3, s6, v2
	s_delay_alu instid0(VALU_DEP_1) | instskip(NEXT) | instid1(VALU_DEP_1)
	v_mul_lo_u32 v2, v3, s4
	v_sub_nc_u32_e32 v2, v13, v2
	s_delay_alu instid0(VALU_DEP_1)
	v_mul_lo_u32 v2, v2, s12
	s_cbranch_vccnz .LBB103_623
; %bb.622:
	v_mul_hi_u32 v5, s14, v3
	s_delay_alu instid0(VALU_DEP_1) | instskip(NEXT) | instid1(VALU_DEP_1)
	v_add_nc_u32_e32 v5, v3, v5
	v_lshrrev_b32_e32 v5, s15, v5
	s_delay_alu instid0(VALU_DEP_1) | instskip(NEXT) | instid1(VALU_DEP_1)
	v_mul_lo_u32 v5, v5, s7
	v_sub_nc_u32_e32 v3, v3, v5
	s_delay_alu instid0(VALU_DEP_1) | instskip(NEXT) | instid1(VALU_DEP_1)
	v_mad_u64_u32 v[10:11], null, v3, s13, v[2:3]
	v_mov_b32_e32 v2, v10
.LBB103_623:
	v_and_b32_e64 v21, 0xff, s47
	s_delay_alu instid0(VALU_DEP_2) | instskip(NEXT) | instid1(VALU_DEP_1)
	v_add_co_u32 v10, s4, s10, v2
	v_add_co_ci_u32_e64 v11, null, s11, 0, s4
	s_delay_alu instid0(VALU_DEP_3)
	v_cmp_gt_i16_e32 vcc_lo, 11, v21
	s_mov_b32 s6, 0
	s_mov_b32 s5, -1
	s_mov_b32 s4, s20
	s_cbranch_vccnz .LBB103_673
; %bb.624:
	v_cmp_lt_i16_e32 vcc_lo, 25, v21
	s_mov_b32 s4, s20
	s_cbranch_vccz .LBB103_652
; %bb.625:
	v_cmp_lt_i16_e32 vcc_lo, 28, v21
	s_mov_b32 s4, s20
	s_cbranch_vccz .LBB103_639
; %bb.626:
	v_cmp_lt_i16_e32 vcc_lo, 43, v21
	s_mov_b32 s4, s20
	s_cbranch_vccz .LBB103_635
; %bb.627:
	v_cmp_lt_i16_e32 vcc_lo, 45, v21
	s_mov_b32 s4, s20
	s_cbranch_vccz .LBB103_631
; %bb.628:
	v_cmp_eq_u16_e32 vcc_lo, 46, v21
	s_mov_b32 s4, -1
	s_cbranch_vccz .LBB103_630
; %bb.629:
	s_mov_b32 s4, 0
	global_store_b32 v[10:11], v15, off
.LBB103_630:
	s_mov_b32 s5, 0
.LBB103_631:
	s_delay_alu instid0(SALU_CYCLE_1)
	s_and_b32 vcc_lo, exec_lo, s5
	s_cbranch_vccz .LBB103_634
; %bb.632:
	v_cmp_eq_u16_e32 vcc_lo, 44, v21
	s_mov_b32 s4, -1
	s_cbranch_vccz .LBB103_634
; %bb.633:
	v_cndmask_b32_e64 v2, v20, 0xff, s2
	s_mov_b32 s4, 0
	global_store_b8 v[10:11], v2, off
.LBB103_634:
	s_mov_b32 s5, 0
.LBB103_635:
	s_delay_alu instid0(SALU_CYCLE_1)
	s_and_b32 vcc_lo, exec_lo, s5
	s_cbranch_vccz .LBB103_638
; %bb.636:
	v_cmp_eq_u16_e32 vcc_lo, 29, v21
	s_mov_b32 s4, -1
	s_cbranch_vccz .LBB103_638
; %bb.637:
	s_mov_b32 s4, 0
	global_store_b64 v[10:11], v[8:9], off
.LBB103_638:
	s_mov_b32 s5, 0
.LBB103_639:
	s_delay_alu instid0(SALU_CYCLE_1)
	s_and_b32 vcc_lo, exec_lo, s5
	s_cbranch_vccz .LBB103_651
; %bb.640:
	v_cmp_gt_i16_e32 vcc_lo, 27, v21
	s_mov_b32 s2, -1
	s_cbranch_vccnz .LBB103_646
; %bb.641:
	v_cmp_lt_i16_e32 vcc_lo, 27, v21
	s_cbranch_vccz .LBB103_643
; %bb.642:
	s_mov_b32 s2, 0
	global_store_b32 v[10:11], v8, off
.LBB103_643:
	s_and_not1_b32 vcc_lo, exec_lo, s2
	s_cbranch_vccnz .LBB103_645
; %bb.644:
	global_store_b16 v[10:11], v19, off
.LBB103_645:
	s_mov_b32 s2, 0
.LBB103_646:
	s_delay_alu instid0(SALU_CYCLE_1)
	s_and_not1_b32 vcc_lo, exec_lo, s2
	s_cbranch_vccnz .LBB103_651
; %bb.647:
	v_mov_b32_e32 v2, 0x80
	s_and_not1_b32 vcc_lo, exec_lo, s45
	s_cbranch_vccnz .LBB103_650
; %bb.648:
	v_mov_b32_e32 v2, 0
	s_or_b32 s2, s43, s46
	s_delay_alu instid0(SALU_CYCLE_1)
	s_and_not1_b32 vcc_lo, exec_lo, s2
	s_cbranch_vccnz .LBB103_650
; %bb.649:
	v_cndmask_b32_e64 v2, v18, s44, s43
	s_delay_alu instid0(VALU_DEP_1)
	v_or_b32_e32 v2, v2, v16
.LBB103_650:
	global_store_b8 v[10:11], v2, off
.LBB103_651:
	s_mov_b32 s5, 0
.LBB103_652:
	s_delay_alu instid0(SALU_CYCLE_1)
	s_and_b32 vcc_lo, exec_lo, s5
	s_mov_b32 s5, 0
	s_cbranch_vccz .LBB103_673
; %bb.653:
	v_cmp_lt_i16_e32 vcc_lo, 22, v21
	s_mov_b32 s2, -1
	s_cbranch_vccz .LBB103_666
; %bb.654:
	v_cmp_gt_i16_e32 vcc_lo, 24, v21
	s_cbranch_vccnz .LBB103_663
; %bb.655:
	v_cmp_lt_i16_e32 vcc_lo, 24, v21
	s_cbranch_vccz .LBB103_660
; %bb.656:
	v_mov_b32_e32 v2, 0x80
	s_and_not1_b32 vcc_lo, exec_lo, s39
	s_cbranch_vccnz .LBB103_659
; %bb.657:
	v_mov_b32_e32 v2, 0
	s_or_b32 s2, s35, s42
	s_delay_alu instid0(SALU_CYCLE_1)
	s_and_not1_b32 vcc_lo, exec_lo, s2
	s_cbranch_vccnz .LBB103_659
; %bb.658:
	v_cndmask_b32_e64 v2, v17, s40, s35
	s_delay_alu instid0(VALU_DEP_1)
	v_or_b32_e32 v2, v2, v16
.LBB103_659:
	s_mov_b32 s2, 0
	global_store_b8 v[10:11], v2, off
.LBB103_660:
	s_and_b32 vcc_lo, exec_lo, s2
	s_cbranch_vccz .LBB103_662
; %bb.661:
	s_and_b32 s2, s36, exec_lo
	s_cselect_b32 s2, s33, s37
	s_and_b32 s6, s34, exec_lo
	s_cselect_b32 s2, s41, s2
	s_delay_alu instid0(SALU_CYCLE_1)
	v_or_b32_e32 v2, s2, v16
	global_store_b8 v[10:11], v2, off
.LBB103_662:
	s_mov_b32 s2, 0
.LBB103_663:
	s_delay_alu instid0(SALU_CYCLE_1)
	s_and_not1_b32 vcc_lo, exec_lo, s2
	s_cbranch_vccnz .LBB103_665
; %bb.664:
	s_and_b32 s2, s30, exec_lo
	s_cselect_b32 s2, s29, s31
	s_and_b32 s6, s28, exec_lo
	s_cselect_b32 s2, s38, s2
	s_delay_alu instid0(SALU_CYCLE_1)
	v_or_b32_e32 v2, s2, v16
	global_store_b8 v[10:11], v2, off
.LBB103_665:
	s_mov_b32 s2, 0
.LBB103_666:
	s_delay_alu instid0(SALU_CYCLE_1)
	s_and_not1_b32 vcc_lo, exec_lo, s2
	s_mov_b32 s6, 0
	s_cbranch_vccnz .LBB103_673
; %bb.667:
	v_cmp_lt_i16_e32 vcc_lo, 14, v21
	s_mov_b32 s2, -1
	s_cbranch_vccz .LBB103_671
; %bb.668:
	v_cmp_eq_u16_e32 vcc_lo, 15, v21
	s_mov_b32 s4, -1
	s_cbranch_vccz .LBB103_670
; %bb.669:
	s_mov_b32 s4, 0
	global_store_b16 v[10:11], v15, off
.LBB103_670:
	s_mov_b32 s2, 0
.LBB103_671:
	s_delay_alu instid0(SALU_CYCLE_1)
	s_and_b32 vcc_lo, exec_lo, s2
	s_cbranch_vccz .LBB103_673
; %bb.672:
	v_cmp_ne_u16_e32 vcc_lo, 11, v21
	s_and_not1_b32 s2, s4, exec_lo
	s_mov_b32 s6, -1
	s_and_b32 s4, vcc_lo, exec_lo
	s_delay_alu instid0(SALU_CYCLE_1)
	s_or_b32 s4, s2, s4
.LBB103_673:
	s_and_not1_b32 s2, s20, exec_lo
	s_and_b32 s4, s4, exec_lo
	s_and_b32 s19, s5, exec_lo
	;; [unrolled: 1-line block ×3, first 2 shown]
	s_or_b32 s56, s2, s4
.LBB103_674:
	s_or_b32 exec_lo, exec_lo, s49
	s_delay_alu instid0(SALU_CYCLE_1)
	s_and_not1_b32 s2, s20, exec_lo
	s_and_b32 s4, s56, exec_lo
	s_and_b32 s19, s19, exec_lo
	;; [unrolled: 1-line block ×3, first 2 shown]
	s_or_b32 s20, s2, s4
.LBB103_675:
	s_or_b32 exec_lo, exec_lo, s21
	s_delay_alu instid0(SALU_CYCLE_1)
	s_and_not1_b32 s2, s54, exec_lo
	s_and_b32 s4, s20, exec_lo
	s_and_b32 s19, s19, exec_lo
	;; [unrolled: 1-line block ×3, first 2 shown]
	s_or_b32 s54, s2, s4
.LBB103_676:
	s_or_b32 exec_lo, exec_lo, s55
	s_delay_alu instid0(SALU_CYCLE_1)
	s_and_not1_b32 s2, s52, exec_lo
	s_and_b32 s4, s54, exec_lo
	s_and_b32 s19, s19, exec_lo
	;; [unrolled: 1-line block ×3, first 2 shown]
	s_or_b32 s52, s2, s4
	s_or_b32 exec_lo, exec_lo, s53
	s_mov_b32 s2, 0
	s_and_saveexec_b32 s4, s52
	s_cbranch_execz .LBB103_118
.LBB103_677:
	s_cbranch_execnz .LBB103_679
; %bb.678:
	s_mov_b32 s2, exec_lo
	s_and_not1_b32 s54, s54, exec_lo
	s_or_b32 exec_lo, exec_lo, s4
	s_and_saveexec_b32 s4, s54
	s_delay_alu instid0(SALU_CYCLE_1)
	s_xor_b32 s4, exec_lo, s4
	s_cbranch_execnz .LBB103_119
	s_branch .LBB103_120
.LBB103_679:
	s_trap 2
	s_sendmsg_rtn_b32 s0, sendmsg(MSG_RTN_GET_DOORBELL)
	s_mov_b32 ttmp2, m0
	s_waitcnt lgkmcnt(0)
	s_and_b32 s0, s0, 0x3ff
	s_delay_alu instid0(SALU_CYCLE_1) | instskip(NEXT) | instid1(SALU_CYCLE_1)
	s_bitset1_b32 s0, 10
	s_mov_b32 m0, s0
	s_sendmsg sendmsg(MSG_INTERRUPT)
	s_mov_b32 m0, ttmp2
.LBB103_680:                            ; =>This Inner Loop Header: Depth=1
	s_sethalt 5
	s_branch .LBB103_680
.LBB103_681:
	s_mov_b32 s9, -1
	s_mov_b32 s8, 0
                                        ; implicit-def: $sgpr10
.LBB103_682:
	v_mov_b32_e32 v4, s10
	s_and_not1_b32 vcc_lo, exec_lo, s9
                                        ; implicit-def: $sgpr9
	s_cbranch_vccnz .LBB103_684
; %bb.683:
	v_add_f32_e64 v4, 0x42800000, |s5|
	s_mov_b32 s9, 0
	s_delay_alu instid0(VALU_DEP_1) | instskip(NEXT) | instid1(VALU_DEP_1)
	v_and_b32_e32 v4, 0xff, v4
	v_cmp_ne_u32_e64 s8, 0, v4
.LBB103_684:
	v_mov_b32_e32 v6, s9
	s_delay_alu instid0(VALU_DEP_2)
	s_and_not1_b32 vcc_lo, exec_lo, s8
	s_cbranch_vccnz .LBB103_686
; %bb.685:
	s_lshr_b32 s5, s5, 24
	s_delay_alu instid0(SALU_CYCLE_1) | instskip(NEXT) | instid1(SALU_CYCLE_1)
	s_and_b32 s5, s5, 0x80
	v_or_b32_e32 v6, s5, v4
.LBB103_686:
	s_mov_b32 s5, 0
	global_store_b8 v[2:3], v6, off
.LBB103_687:
	s_and_b32 vcc_lo, exec_lo, s5
	s_cbranch_vccz .LBB103_699
; %bb.688:
	v_cvt_f32_f16_e32 v4, s2
	s_delay_alu instid0(VALU_DEP_1) | instskip(NEXT) | instid1(VALU_DEP_1)
	v_readfirstlane_b32 s5, v4
	s_and_b32 s8, s5, 0x7fffffff
	s_delay_alu instid0(SALU_CYCLE_1)
	s_cmp_lt_u32 s8, 0x43f00000
	s_cbranch_scc0 .LBB103_691
; %bb.689:
	s_cmp_gt_u32 s8, 0x3c7fffff
	s_cbranch_scc0 .LBB103_692
; %bb.690:
	s_bfe_u32 s9, s5, 0x10014
	s_delay_alu instid0(SALU_CYCLE_1) | instskip(NEXT) | instid1(SALU_CYCLE_1)
	s_add_i32 s9, s5, s9
	s_add_i32 s9, s9, 0x407ffff
	s_delay_alu instid0(SALU_CYCLE_1)
	s_and_b32 s10, s9, 0xff00000
	s_lshr_b32 s9, s9, 20
	s_cmp_lg_u32 s10, 0x7f00000
	s_cselect_b32 s10, s9, 0x7e
	s_mov_b32 s9, 0
	s_branch .LBB103_693
.LBB103_691:
	s_mov_b32 s9, -1
                                        ; implicit-def: $vgpr6
	s_branch .LBB103_696
.LBB103_692:
	s_mov_b32 s9, -1
                                        ; implicit-def: $sgpr10
.LBB103_693:
	v_mov_b32_e32 v6, s10
	s_and_not1_b32 vcc_lo, exec_lo, s9
	s_cbranch_vccnz .LBB103_695
; %bb.694:
	v_add_f32_e64 v6, 0x46800000, |v4|
.LBB103_695:
	s_mov_b32 s9, 0
.LBB103_696:
	s_delay_alu instid0(SALU_CYCLE_1)
	s_and_not1_b32 vcc_lo, exec_lo, s9
	s_cbranch_vccnz .LBB103_698
; %bb.697:
	s_cmp_gt_u32 s8, 0x7f800000
	s_movk_i32 s8, 0x7f
	s_delay_alu instid0(SALU_CYCLE_1) | instskip(NEXT) | instid1(SALU_CYCLE_1)
	s_cselect_b32 s8, s8, 0x7e
	v_mov_b32_e32 v6, s8
.LBB103_698:
	s_lshr_b32 s5, s5, 24
	s_delay_alu instid0(SALU_CYCLE_1)
	s_and_b32 s5, s5, 0x80
	s_delay_alu instid0(VALU_DEP_1) | instid1(SALU_CYCLE_1)
	v_or_b32_e32 v4, s5, v6
	global_store_b8 v[2:3], v4, off
.LBB103_699:
	s_mov_b32 s5, 0
.LBB103_700:
	s_delay_alu instid0(SALU_CYCLE_1)
	s_and_not1_b32 vcc_lo, exec_lo, s5
	s_cbranch_vccnz .LBB103_712
; %bb.701:
	v_cvt_f32_f16_e32 v4, s2
	s_delay_alu instid0(VALU_DEP_1) | instskip(NEXT) | instid1(VALU_DEP_1)
	v_readfirstlane_b32 s5, v4
	s_and_b32 s8, s5, 0x7fffffff
	s_delay_alu instid0(SALU_CYCLE_1)
	s_cmp_lt_u32 s8, 0x47800000
	s_cbranch_scc0 .LBB103_704
; %bb.702:
	s_cmp_gt_u32 s8, 0x387fffff
	s_cbranch_scc0 .LBB103_705
; %bb.703:
	s_bfe_u32 s9, s5, 0x10015
	s_delay_alu instid0(SALU_CYCLE_1) | instskip(NEXT) | instid1(SALU_CYCLE_1)
	s_add_i32 s9, s5, s9
	s_add_i32 s9, s9, 0x80fffff
	s_delay_alu instid0(SALU_CYCLE_1)
	s_lshr_b32 s10, s9, 21
	s_mov_b32 s9, 0
	s_branch .LBB103_706
.LBB103_704:
	s_mov_b32 s9, -1
                                        ; implicit-def: $vgpr6
	s_branch .LBB103_709
.LBB103_705:
	s_mov_b32 s9, -1
                                        ; implicit-def: $sgpr10
.LBB103_706:
	v_mov_b32_e32 v6, s10
	s_and_not1_b32 vcc_lo, exec_lo, s9
	s_cbranch_vccnz .LBB103_708
; %bb.707:
	v_add_f32_e64 v6, 0x43000000, |v4|
.LBB103_708:
	s_mov_b32 s9, 0
.LBB103_709:
	s_delay_alu instid0(SALU_CYCLE_1)
	s_and_not1_b32 vcc_lo, exec_lo, s9
	s_cbranch_vccnz .LBB103_711
; %bb.710:
	s_cmp_gt_u32 s8, 0x7f800000
	s_movk_i32 s8, 0x7f
	s_delay_alu instid0(SALU_CYCLE_1) | instskip(NEXT) | instid1(SALU_CYCLE_1)
	s_cselect_b32 s8, s8, 0x7c
	v_mov_b32_e32 v6, s8
.LBB103_711:
	s_lshr_b32 s5, s5, 24
	s_delay_alu instid0(SALU_CYCLE_1)
	s_and_b32 s5, s5, 0x80
	s_delay_alu instid0(VALU_DEP_1) | instid1(SALU_CYCLE_1)
	v_or_b32_e32 v4, s5, v6
	global_store_b8 v[2:3], v4, off
.LBB103_712:
	s_mov_b32 s5, 0
	s_mov_b32 s8, -1
.LBB103_713:
	s_and_not1_b32 vcc_lo, exec_lo, s5
	s_mov_b32 s5, 0
	s_cbranch_vccnz .LBB103_720
; %bb.714:
	v_cmp_lt_i16_e32 vcc_lo, 14, v5
	s_mov_b32 s5, -1
	s_cbranch_vccz .LBB103_718
; %bb.715:
	v_cmp_eq_u16_e32 vcc_lo, 15, v5
	s_mov_b32 s4, -1
	s_cbranch_vccz .LBB103_717
; %bb.716:
	v_cvt_f32_f16_e32 v4, s2
	v_cmp_o_f16_e64 vcc_lo, s2, s2
	s_mov_b32 s4, 0
	s_mov_b32 s8, -1
	s_delay_alu instid0(VALU_DEP_2) | instskip(NEXT) | instid1(VALU_DEP_1)
	v_bfe_u32 v6, v4, 16, 1
	v_add_nc_u32_e32 v4, v4, v6
	s_delay_alu instid0(VALU_DEP_1) | instskip(NEXT) | instid1(VALU_DEP_1)
	v_add_nc_u32_e32 v4, 0x7fff, v4
	v_lshrrev_b32_e32 v4, 16, v4
	s_delay_alu instid0(VALU_DEP_1)
	v_cndmask_b32_e32 v4, 0x7fc0, v4, vcc_lo
	global_store_b16 v[2:3], v4, off
.LBB103_717:
	s_mov_b32 s5, 0
.LBB103_718:
	s_delay_alu instid0(SALU_CYCLE_1)
	s_and_b32 vcc_lo, exec_lo, s5
	s_mov_b32 s5, 0
	s_cbranch_vccz .LBB103_720
; %bb.719:
	v_cmp_ne_u16_e64 s4, 11, v5
	s_mov_b32 s5, -1
.LBB103_720:
	s_delay_alu instid0(VALU_DEP_1)
	s_and_b32 vcc_lo, exec_lo, s4
	s_cbranch_vccnz .LBB103_792
; %bb.721:
	s_and_not1_b32 vcc_lo, exec_lo, s5
	s_cbranch_vccnz .LBB103_723
.LBB103_722:
	v_and_b32_e64 v4, 0x7fff, s2
	s_mov_b32 s8, -1
	s_delay_alu instid0(VALU_DEP_1)
	v_cmp_ne_u16_e32 vcc_lo, 0, v4
	v_cndmask_b32_e64 v4, 0, 1, vcc_lo
	global_store_b8 v[2:3], v4, off
.LBB103_723:
	s_mov_b32 s4, 0
.LBB103_724:
	s_delay_alu instid0(SALU_CYCLE_1)
	s_and_b32 vcc_lo, exec_lo, s4
	s_cbranch_vccz .LBB103_763
; %bb.725:
	v_cmp_gt_i16_e32 vcc_lo, 5, v5
	s_mov_b32 s4, -1
	s_cbranch_vccnz .LBB103_746
; %bb.726:
	v_cmp_gt_i16_e32 vcc_lo, 8, v5
	s_cbranch_vccnz .LBB103_736
; %bb.727:
	v_cmp_gt_i16_e32 vcc_lo, 9, v5
	s_cbranch_vccnz .LBB103_733
; %bb.728:
	v_cmp_lt_i16_e32 vcc_lo, 9, v5
	s_cbranch_vccz .LBB103_730
; %bb.729:
	v_cvt_f32_f16_e32 v4, s2
	v_mov_b32_e32 v8, 0
	s_mov_b32 s4, 0
	s_delay_alu instid0(VALU_DEP_2) | instskip(NEXT) | instid1(VALU_DEP_2)
	v_cvt_f64_f32_e32 v[6:7], v4
	v_mov_b32_e32 v9, v8
	global_store_b128 v[2:3], v[6:9], off
.LBB103_730:
	s_and_not1_b32 vcc_lo, exec_lo, s4
	s_cbranch_vccnz .LBB103_732
; %bb.731:
	v_cvt_f32_f16_e32 v6, s2
	v_mov_b32_e32 v7, 0
	global_store_b64 v[2:3], v[6:7], off
.LBB103_732:
	s_mov_b32 s4, 0
.LBB103_733:
	s_delay_alu instid0(SALU_CYCLE_1)
	s_and_not1_b32 vcc_lo, exec_lo, s4
	s_cbranch_vccnz .LBB103_735
; %bb.734:
	s_and_b32 s4, 0xffff, s2
	s_delay_alu instid0(SALU_CYCLE_1)
	v_mov_b32_e32 v4, s4
	global_store_b32 v[2:3], v4, off
.LBB103_735:
	s_mov_b32 s4, 0
.LBB103_736:
	s_delay_alu instid0(SALU_CYCLE_1)
	s_and_not1_b32 vcc_lo, exec_lo, s4
	s_cbranch_vccnz .LBB103_745
; %bb.737:
	v_cmp_gt_i16_e32 vcc_lo, 6, v5
	s_mov_b32 s4, -1
	s_cbranch_vccnz .LBB103_743
; %bb.738:
	v_cmp_lt_i16_e32 vcc_lo, 6, v5
	s_cbranch_vccz .LBB103_740
; %bb.739:
	v_cvt_f32_f16_e32 v4, s2
	s_mov_b32 s4, 0
	s_delay_alu instid0(VALU_DEP_1)
	v_cvt_f64_f32_e32 v[6:7], v4
	global_store_b64 v[2:3], v[6:7], off
.LBB103_740:
	s_and_not1_b32 vcc_lo, exec_lo, s4
	s_cbranch_vccnz .LBB103_742
; %bb.741:
	v_cvt_f32_f16_e32 v4, s2
	global_store_b32 v[2:3], v4, off
.LBB103_742:
	s_mov_b32 s4, 0
.LBB103_743:
	s_delay_alu instid0(SALU_CYCLE_1)
	s_and_not1_b32 vcc_lo, exec_lo, s4
	s_cbranch_vccnz .LBB103_745
; %bb.744:
	v_mov_b32_e32 v4, s2
	global_store_b16 v[2:3], v4, off
.LBB103_745:
	s_mov_b32 s4, 0
.LBB103_746:
	s_delay_alu instid0(SALU_CYCLE_1)
	s_and_not1_b32 vcc_lo, exec_lo, s4
	s_cbranch_vccnz .LBB103_762
; %bb.747:
	v_cmp_gt_i16_e32 vcc_lo, 2, v5
	s_mov_b32 s4, -1
	s_cbranch_vccnz .LBB103_757
; %bb.748:
	v_cmp_gt_i16_e32 vcc_lo, 3, v5
	s_cbranch_vccnz .LBB103_754
; %bb.749:
	v_cmp_lt_i16_e32 vcc_lo, 3, v5
	s_cbranch_vccz .LBB103_751
; %bb.750:
	v_cvt_f32_f16_e32 v4, s2
	s_mov_b32 s4, 0
	s_delay_alu instid0(VALU_DEP_1) | instskip(NEXT) | instid1(VALU_DEP_1)
	v_cvt_i32_f32_e32 v6, v4
	v_ashrrev_i32_e32 v7, 31, v6
	global_store_b64 v[2:3], v[6:7], off
.LBB103_751:
	s_and_not1_b32 vcc_lo, exec_lo, s4
	s_cbranch_vccnz .LBB103_753
; %bb.752:
	v_cvt_f32_f16_e32 v4, s2
	s_delay_alu instid0(VALU_DEP_1)
	v_cvt_i32_f32_e32 v4, v4
	global_store_b32 v[2:3], v4, off
.LBB103_753:
	s_mov_b32 s4, 0
.LBB103_754:
	s_delay_alu instid0(SALU_CYCLE_1)
	s_and_not1_b32 vcc_lo, exec_lo, s4
	s_cbranch_vccnz .LBB103_756
; %bb.755:
	v_cvt_i16_f16_e32 v4, s2
	global_store_b16 v[2:3], v4, off
.LBB103_756:
	s_mov_b32 s4, 0
.LBB103_757:
	s_delay_alu instid0(SALU_CYCLE_1)
	s_and_not1_b32 vcc_lo, exec_lo, s4
	s_cbranch_vccnz .LBB103_762
; %bb.758:
	v_cmp_lt_i16_e32 vcc_lo, 0, v5
	s_mov_b32 s4, -1
	s_cbranch_vccz .LBB103_760
; %bb.759:
	v_cvt_i16_f16_e32 v4, s2
	s_mov_b32 s4, 0
	global_store_b8 v[2:3], v4, off
.LBB103_760:
	s_and_not1_b32 vcc_lo, exec_lo, s4
	s_cbranch_vccnz .LBB103_762
; %bb.761:
	v_cvt_f32_f16_e32 v4, s2
	s_delay_alu instid0(VALU_DEP_1)
	v_cvt_i32_f32_e32 v4, v4
	global_store_b8 v[2:3], v4, off
.LBB103_762:
	s_mov_b32 s8, -1
.LBB103_763:
	s_delay_alu instid0(SALU_CYCLE_1)
	s_and_not1_b32 vcc_lo, exec_lo, s8
	s_cbranch_vccnz .LBB103_923
; %bb.764:
	v_cmp_gt_i16_e32 vcc_lo, 11, v5
	v_add_co_u32 v1, s4, s0, v1
	s_delay_alu instid0(VALU_DEP_1)
	v_add_co_ci_u32_e64 v2, null, s1, 0, s4
	s_mov_b32 s8, 0
	s_mov_b32 s4, -1
	s_cbranch_vccnz .LBB103_854
; %bb.765:
	v_cmp_lt_i16_e32 vcc_lo, 25, v5
	s_mov_b32 s9, -1
	s_mov_b32 s5, 0
	s_mov_b32 s4, 0
	s_cbranch_vccz .LBB103_804
; %bb.766:
	v_cmp_lt_i16_e32 vcc_lo, 28, v5
	s_cbranch_vccz .LBB103_781
; %bb.767:
	v_cmp_lt_i16_e32 vcc_lo, 43, v5
	;; [unrolled: 3-line block ×3, first 2 shown]
	s_cbranch_vccz .LBB103_771
; %bb.769:
	v_cmp_eq_u16_e32 vcc_lo, 46, v5
	s_mov_b32 s4, -1
	s_mov_b32 s9, 0
	s_cbranch_vccz .LBB103_771
; %bb.770:
	v_cvt_f32_f16_e32 v3, s2
	v_cmp_o_f16_e64 vcc_lo, s2, s2
	s_mov_b32 s4, 0
	s_mov_b32 s8, -1
	s_delay_alu instid0(VALU_DEP_2) | instskip(NEXT) | instid1(VALU_DEP_1)
	v_bfe_u32 v4, v3, 16, 1
	v_add_nc_u32_e32 v3, v3, v4
	s_delay_alu instid0(VALU_DEP_1) | instskip(NEXT) | instid1(VALU_DEP_1)
	v_add_nc_u32_e32 v3, 0x7fff, v3
	v_lshrrev_b32_e32 v3, 16, v3
	s_delay_alu instid0(VALU_DEP_1)
	v_cndmask_b32_e32 v3, 0x7fc0, v3, vcc_lo
	global_store_b32 v[1:2], v3, off
.LBB103_771:
	s_and_b32 vcc_lo, exec_lo, s9
	s_cbranch_vccz .LBB103_776
; %bb.772:
	v_cmp_eq_u16_e32 vcc_lo, 44, v5
	s_mov_b32 s4, -1
	s_cbranch_vccz .LBB103_776
; %bb.773:
	v_cvt_f32_f16_e32 v3, s2
	v_mov_b32_e32 v4, 0xff
	s_delay_alu instid0(VALU_DEP_2) | instskip(NEXT) | instid1(VALU_DEP_1)
	v_readfirstlane_b32 s4, v3
	s_bfe_u32 s8, s4, 0x80017
	s_delay_alu instid0(SALU_CYCLE_1)
	s_cmpk_eq_i32 s8, 0xff
	s_cbranch_scc1 .LBB103_775
; %bb.774:
	s_bitcmp1_b32 s4, 22
	v_lshrrev_b32_e32 v3, 23, v3
	s_cselect_b32 s9, -1, 0
	s_and_b32 s4, s4, 0x3fffff
	s_delay_alu instid0(SALU_CYCLE_1) | instskip(NEXT) | instid1(SALU_CYCLE_1)
	s_or_b32 s4, s8, s4
	s_cmp_lg_u32 s4, 0
	s_cselect_b32 s4, -1, 0
	s_delay_alu instid0(SALU_CYCLE_1) | instskip(NEXT) | instid1(SALU_CYCLE_1)
	s_and_b32 s4, s9, s4
	v_cndmask_b32_e64 v4, 0, 1, s4
	s_delay_alu instid0(VALU_DEP_1)
	v_add_nc_u32_e32 v4, v3, v4
.LBB103_775:
	s_mov_b32 s4, 0
	s_mov_b32 s8, -1
	global_store_b8 v[1:2], v4, off
.LBB103_776:
	s_mov_b32 s9, 0
.LBB103_777:
	s_delay_alu instid0(SALU_CYCLE_1)
	s_and_b32 vcc_lo, exec_lo, s9
	s_cbranch_vccz .LBB103_780
; %bb.778:
	v_cmp_eq_u16_e32 vcc_lo, 29, v5
	s_mov_b32 s4, -1
	s_cbranch_vccz .LBB103_780
; %bb.779:
	v_cvt_f32_f16_e32 v3, s2
	v_mov_b32_e32 v4, 0
	s_mov_b32 s4, 0
	s_mov_b32 s8, -1
	s_delay_alu instid0(VALU_DEP_2)
	v_cvt_u32_f32_e32 v3, v3
	global_store_b64 v[1:2], v[3:4], off
.LBB103_780:
	s_mov_b32 s9, 0
.LBB103_781:
	s_delay_alu instid0(SALU_CYCLE_1)
	s_and_b32 vcc_lo, exec_lo, s9
	s_cbranch_vccz .LBB103_803
; %bb.782:
	v_cmp_gt_i16_e32 vcc_lo, 27, v5
	s_mov_b32 s8, -1
	s_cbranch_vccnz .LBB103_788
; %bb.783:
	v_cmp_lt_i16_e32 vcc_lo, 27, v5
	s_cbranch_vccz .LBB103_785
; %bb.784:
	v_cvt_f32_f16_e32 v3, s2
	s_mov_b32 s8, 0
	s_delay_alu instid0(VALU_DEP_1)
	v_cvt_u32_f32_e32 v3, v3
	global_store_b32 v[1:2], v3, off
.LBB103_785:
	s_and_not1_b32 vcc_lo, exec_lo, s8
	s_cbranch_vccnz .LBB103_787
; %bb.786:
	v_cvt_u16_f16_e32 v3, s2
	global_store_b16 v[1:2], v3, off
.LBB103_787:
	s_mov_b32 s8, 0
.LBB103_788:
	s_delay_alu instid0(SALU_CYCLE_1)
	s_and_not1_b32 vcc_lo, exec_lo, s8
	s_cbranch_vccnz .LBB103_802
; %bb.789:
	v_cvt_f32_f16_e32 v3, s2
	v_mov_b32_e32 v4, 0x80
	s_delay_alu instid0(VALU_DEP_2) | instskip(NEXT) | instid1(VALU_DEP_1)
	v_readfirstlane_b32 s8, v3
	s_and_b32 s9, s8, 0x7fffffff
	s_delay_alu instid0(SALU_CYCLE_1)
	s_cmp_gt_u32 s9, 0x437fffff
	s_cbranch_scc1 .LBB103_801
; %bb.790:
	s_cmp_gt_u32 s9, 0x3bffffff
	s_cbranch_scc0 .LBB103_796
; %bb.791:
	s_bfe_u32 s9, s8, 0x10014
	s_mov_b32 s10, 0
	s_add_i32 s9, s8, s9
	s_delay_alu instid0(SALU_CYCLE_1) | instskip(NEXT) | instid1(SALU_CYCLE_1)
	s_add_i32 s9, s9, 0x487ffff
	s_lshr_b32 s11, s9, 20
	s_mov_b32 s9, -1
	s_branch .LBB103_797
.LBB103_792:
	s_cbranch_execnz .LBB103_794
; %bb.793:
	s_or_b32 s3, s3, exec_lo
	s_cbranch_execz .LBB103_722
	s_branch .LBB103_723
.LBB103_794:
	s_trap 2
	s_sendmsg_rtn_b32 s0, sendmsg(MSG_RTN_GET_DOORBELL)
	s_mov_b32 ttmp2, m0
	s_waitcnt lgkmcnt(0)
	s_and_b32 s0, s0, 0x3ff
	s_delay_alu instid0(SALU_CYCLE_1) | instskip(NEXT) | instid1(SALU_CYCLE_1)
	s_bitset1_b32 s0, 10
	s_mov_b32 m0, s0
	s_sendmsg sendmsg(MSG_INTERRUPT)
	s_mov_b32 m0, ttmp2
.LBB103_795:                            ; =>This Inner Loop Header: Depth=1
	s_sethalt 5
	s_branch .LBB103_795
.LBB103_796:
	s_mov_b32 s10, -1
	s_mov_b32 s9, 0
                                        ; implicit-def: $sgpr11
.LBB103_797:
	v_mov_b32_e32 v3, s11
	s_and_not1_b32 vcc_lo, exec_lo, s10
                                        ; implicit-def: $sgpr10
	s_cbranch_vccnz .LBB103_799
; %bb.798:
	v_add_f32_e64 v3, 0x46000000, |s8|
	s_mov_b32 s10, 0
	s_delay_alu instid0(VALU_DEP_1) | instskip(NEXT) | instid1(VALU_DEP_1)
	v_and_b32_e32 v3, 0xff, v3
	v_cmp_ne_u32_e64 s9, 0, v3
.LBB103_799:
	v_mov_b32_e32 v4, s10
	s_delay_alu instid0(VALU_DEP_2)
	s_and_not1_b32 vcc_lo, exec_lo, s9
	s_cbranch_vccnz .LBB103_801
; %bb.800:
	s_lshr_b32 s8, s8, 24
	s_delay_alu instid0(SALU_CYCLE_1) | instskip(NEXT) | instid1(SALU_CYCLE_1)
	s_and_b32 s8, s8, 0x80
	v_or_b32_e32 v4, s8, v3
.LBB103_801:
	global_store_b8 v[1:2], v4, off
.LBB103_802:
	s_mov_b32 s8, -1
.LBB103_803:
	s_mov_b32 s9, 0
.LBB103_804:
	s_delay_alu instid0(SALU_CYCLE_1)
	s_and_b32 vcc_lo, exec_lo, s9
	s_cbranch_vccz .LBB103_850
; %bb.805:
	v_cmp_lt_i16_e32 vcc_lo, 22, v5
	s_mov_b32 s5, -1
	s_cbranch_vccz .LBB103_843
; %bb.806:
	v_cmp_gt_i16_e32 vcc_lo, 24, v5
	s_cbranch_vccnz .LBB103_830
; %bb.807:
	v_cmp_lt_i16_e32 vcc_lo, 24, v5
	s_cbranch_vccz .LBB103_817
; %bb.808:
	v_cvt_f32_f16_e32 v3, s2
	v_mov_b32_e32 v4, 0x80
	s_delay_alu instid0(VALU_DEP_2) | instskip(NEXT) | instid1(VALU_DEP_1)
	v_readfirstlane_b32 s5, v3
	s_and_b32 s8, s5, 0x7fffffff
	s_delay_alu instid0(SALU_CYCLE_1)
	s_cmp_gt_u32 s8, 0x477fffff
	s_cbranch_scc1 .LBB103_816
; %bb.809:
	s_cmp_gt_u32 s8, 0x37ffffff
	s_cbranch_scc0 .LBB103_811
; %bb.810:
	s_bfe_u32 s8, s5, 0x10015
	s_mov_b32 s9, 0
	s_add_i32 s8, s5, s8
	s_delay_alu instid0(SALU_CYCLE_1) | instskip(NEXT) | instid1(SALU_CYCLE_1)
	s_add_i32 s8, s8, 0x88fffff
	s_lshr_b32 s10, s8, 21
	s_mov_b32 s8, -1
	s_branch .LBB103_812
.LBB103_811:
	s_mov_b32 s9, -1
	s_mov_b32 s8, 0
                                        ; implicit-def: $sgpr10
.LBB103_812:
	v_mov_b32_e32 v3, s10
	s_and_not1_b32 vcc_lo, exec_lo, s9
                                        ; implicit-def: $sgpr9
	s_cbranch_vccnz .LBB103_814
; %bb.813:
	v_add_f32_e64 v3, 0x42800000, |s5|
	s_mov_b32 s9, 0
	s_delay_alu instid0(VALU_DEP_1) | instskip(NEXT) | instid1(VALU_DEP_1)
	v_and_b32_e32 v3, 0xff, v3
	v_cmp_ne_u32_e64 s8, 0, v3
.LBB103_814:
	v_mov_b32_e32 v4, s9
	s_delay_alu instid0(VALU_DEP_2)
	s_and_not1_b32 vcc_lo, exec_lo, s8
	s_cbranch_vccnz .LBB103_816
; %bb.815:
	s_lshr_b32 s5, s5, 24
	s_delay_alu instid0(SALU_CYCLE_1) | instskip(NEXT) | instid1(SALU_CYCLE_1)
	s_and_b32 s5, s5, 0x80
	v_or_b32_e32 v4, s5, v3
.LBB103_816:
	s_mov_b32 s5, 0
	global_store_b8 v[1:2], v4, off
.LBB103_817:
	s_and_b32 vcc_lo, exec_lo, s5
	s_cbranch_vccz .LBB103_829
; %bb.818:
	v_cvt_f32_f16_e32 v3, s2
	s_delay_alu instid0(VALU_DEP_1) | instskip(NEXT) | instid1(VALU_DEP_1)
	v_readfirstlane_b32 s5, v3
	s_and_b32 s8, s5, 0x7fffffff
	s_delay_alu instid0(SALU_CYCLE_1)
	s_cmp_lt_u32 s8, 0x43f00000
	s_cbranch_scc0 .LBB103_821
; %bb.819:
	s_cmp_gt_u32 s8, 0x3c7fffff
	s_cbranch_scc0 .LBB103_822
; %bb.820:
	s_bfe_u32 s9, s5, 0x10014
	s_delay_alu instid0(SALU_CYCLE_1) | instskip(NEXT) | instid1(SALU_CYCLE_1)
	s_add_i32 s9, s5, s9
	s_add_i32 s9, s9, 0x407ffff
	s_delay_alu instid0(SALU_CYCLE_1)
	s_and_b32 s10, s9, 0xff00000
	s_lshr_b32 s9, s9, 20
	s_cmp_lg_u32 s10, 0x7f00000
	s_cselect_b32 s10, s9, 0x7e
	s_mov_b32 s9, 0
	s_branch .LBB103_823
.LBB103_821:
	s_mov_b32 s9, -1
                                        ; implicit-def: $vgpr4
	s_branch .LBB103_826
.LBB103_822:
	s_mov_b32 s9, -1
                                        ; implicit-def: $sgpr10
.LBB103_823:
	v_mov_b32_e32 v4, s10
	s_and_not1_b32 vcc_lo, exec_lo, s9
	s_cbranch_vccnz .LBB103_825
; %bb.824:
	v_add_f32_e64 v4, 0x46800000, |v3|
.LBB103_825:
	s_mov_b32 s9, 0
.LBB103_826:
	s_delay_alu instid0(SALU_CYCLE_1)
	s_and_not1_b32 vcc_lo, exec_lo, s9
	s_cbranch_vccnz .LBB103_828
; %bb.827:
	s_cmp_gt_u32 s8, 0x7f800000
	s_movk_i32 s8, 0x7f
	s_delay_alu instid0(SALU_CYCLE_1) | instskip(NEXT) | instid1(SALU_CYCLE_1)
	s_cselect_b32 s8, s8, 0x7e
	v_mov_b32_e32 v4, s8
.LBB103_828:
	s_lshr_b32 s5, s5, 24
	s_delay_alu instid0(SALU_CYCLE_1)
	s_and_b32 s5, s5, 0x80
	s_delay_alu instid0(VALU_DEP_1) | instid1(SALU_CYCLE_1)
	v_or_b32_e32 v3, s5, v4
	global_store_b8 v[1:2], v3, off
.LBB103_829:
	s_mov_b32 s5, 0
.LBB103_830:
	s_delay_alu instid0(SALU_CYCLE_1)
	s_and_not1_b32 vcc_lo, exec_lo, s5
	s_cbranch_vccnz .LBB103_842
; %bb.831:
	v_cvt_f32_f16_e32 v3, s2
	s_delay_alu instid0(VALU_DEP_1) | instskip(NEXT) | instid1(VALU_DEP_1)
	v_readfirstlane_b32 s5, v3
	s_and_b32 s8, s5, 0x7fffffff
	s_delay_alu instid0(SALU_CYCLE_1)
	s_cmp_lt_u32 s8, 0x47800000
	s_cbranch_scc0 .LBB103_834
; %bb.832:
	s_cmp_gt_u32 s8, 0x387fffff
	s_cbranch_scc0 .LBB103_835
; %bb.833:
	s_bfe_u32 s9, s5, 0x10015
	s_delay_alu instid0(SALU_CYCLE_1) | instskip(NEXT) | instid1(SALU_CYCLE_1)
	s_add_i32 s9, s5, s9
	s_add_i32 s9, s9, 0x80fffff
	s_delay_alu instid0(SALU_CYCLE_1)
	s_lshr_b32 s10, s9, 21
	s_mov_b32 s9, 0
	s_branch .LBB103_836
.LBB103_834:
	s_mov_b32 s9, -1
                                        ; implicit-def: $vgpr4
	s_branch .LBB103_839
.LBB103_835:
	s_mov_b32 s9, -1
                                        ; implicit-def: $sgpr10
.LBB103_836:
	v_mov_b32_e32 v4, s10
	s_and_not1_b32 vcc_lo, exec_lo, s9
	s_cbranch_vccnz .LBB103_838
; %bb.837:
	v_add_f32_e64 v4, 0x43000000, |v3|
.LBB103_838:
	s_mov_b32 s9, 0
.LBB103_839:
	s_delay_alu instid0(SALU_CYCLE_1)
	s_and_not1_b32 vcc_lo, exec_lo, s9
	s_cbranch_vccnz .LBB103_841
; %bb.840:
	s_cmp_gt_u32 s8, 0x7f800000
	s_movk_i32 s8, 0x7f
	s_delay_alu instid0(SALU_CYCLE_1) | instskip(NEXT) | instid1(SALU_CYCLE_1)
	s_cselect_b32 s8, s8, 0x7c
	v_mov_b32_e32 v4, s8
.LBB103_841:
	s_lshr_b32 s5, s5, 24
	s_delay_alu instid0(SALU_CYCLE_1)
	s_and_b32 s5, s5, 0x80
	s_delay_alu instid0(VALU_DEP_1) | instid1(SALU_CYCLE_1)
	v_or_b32_e32 v3, s5, v4
	global_store_b8 v[1:2], v3, off
.LBB103_842:
	s_mov_b32 s5, 0
	s_mov_b32 s8, -1
.LBB103_843:
	s_and_not1_b32 vcc_lo, exec_lo, s5
	s_mov_b32 s5, 0
	s_cbranch_vccnz .LBB103_850
; %bb.844:
	v_cmp_lt_i16_e32 vcc_lo, 14, v5
	s_mov_b32 s5, -1
	s_cbranch_vccz .LBB103_848
; %bb.845:
	v_cmp_eq_u16_e32 vcc_lo, 15, v5
	s_mov_b32 s4, -1
	s_cbranch_vccz .LBB103_847
; %bb.846:
	v_cvt_f32_f16_e32 v3, s2
	v_cmp_o_f16_e64 vcc_lo, s2, s2
	s_mov_b32 s4, 0
	s_mov_b32 s8, -1
	s_delay_alu instid0(VALU_DEP_2) | instskip(NEXT) | instid1(VALU_DEP_1)
	v_bfe_u32 v4, v3, 16, 1
	v_add_nc_u32_e32 v3, v3, v4
	s_delay_alu instid0(VALU_DEP_1) | instskip(NEXT) | instid1(VALU_DEP_1)
	v_add_nc_u32_e32 v3, 0x7fff, v3
	v_lshrrev_b32_e32 v3, 16, v3
	s_delay_alu instid0(VALU_DEP_1)
	v_cndmask_b32_e32 v3, 0x7fc0, v3, vcc_lo
	global_store_b16 v[1:2], v3, off
.LBB103_847:
	s_mov_b32 s5, 0
.LBB103_848:
	s_delay_alu instid0(SALU_CYCLE_1)
	s_and_b32 vcc_lo, exec_lo, s5
	s_mov_b32 s5, 0
	s_cbranch_vccz .LBB103_850
; %bb.849:
	v_cmp_ne_u16_e64 s4, 11, v5
	s_mov_b32 s5, -1
.LBB103_850:
	s_delay_alu instid0(VALU_DEP_1)
	s_and_b32 vcc_lo, exec_lo, s4
	s_cbranch_vccnz .LBB103_968
; %bb.851:
	s_and_not1_b32 vcc_lo, exec_lo, s5
	s_cbranch_vccnz .LBB103_853
.LBB103_852:
	v_and_b32_e64 v3, 0x7fff, s2
	s_mov_b32 s8, -1
	s_delay_alu instid0(VALU_DEP_1)
	v_cmp_ne_u16_e32 vcc_lo, 0, v3
	v_cndmask_b32_e64 v3, 0, 1, vcc_lo
	global_store_b8 v[1:2], v3, off
.LBB103_853:
	s_mov_b32 s4, 0
.LBB103_854:
	s_delay_alu instid0(SALU_CYCLE_1)
	s_and_b32 vcc_lo, exec_lo, s4
	s_cbranch_vccz .LBB103_893
; %bb.855:
	v_cmp_gt_i16_e32 vcc_lo, 5, v5
	s_mov_b32 s4, -1
	s_cbranch_vccnz .LBB103_876
; %bb.856:
	v_cmp_gt_i16_e32 vcc_lo, 8, v5
	s_cbranch_vccnz .LBB103_866
; %bb.857:
	v_cmp_gt_i16_e32 vcc_lo, 9, v5
	s_cbranch_vccnz .LBB103_863
; %bb.858:
	v_cmp_lt_i16_e32 vcc_lo, 9, v5
	s_cbranch_vccz .LBB103_860
; %bb.859:
	v_cvt_f32_f16_e32 v3, s2
	v_mov_b32_e32 v8, 0
	s_mov_b32 s4, 0
	s_delay_alu instid0(VALU_DEP_2) | instskip(NEXT) | instid1(VALU_DEP_2)
	v_cvt_f64_f32_e32 v[6:7], v3
	v_mov_b32_e32 v9, v8
	global_store_b128 v[1:2], v[6:9], off
.LBB103_860:
	s_and_not1_b32 vcc_lo, exec_lo, s4
	s_cbranch_vccnz .LBB103_862
; %bb.861:
	v_cvt_f32_f16_e32 v3, s2
	v_mov_b32_e32 v4, 0
	global_store_b64 v[1:2], v[3:4], off
.LBB103_862:
	s_mov_b32 s4, 0
.LBB103_863:
	s_delay_alu instid0(SALU_CYCLE_1)
	s_and_not1_b32 vcc_lo, exec_lo, s4
	s_cbranch_vccnz .LBB103_865
; %bb.864:
	s_and_b32 s4, 0xffff, s2
	s_delay_alu instid0(SALU_CYCLE_1)
	v_mov_b32_e32 v3, s4
	global_store_b32 v[1:2], v3, off
.LBB103_865:
	s_mov_b32 s4, 0
.LBB103_866:
	s_delay_alu instid0(SALU_CYCLE_1)
	s_and_not1_b32 vcc_lo, exec_lo, s4
	s_cbranch_vccnz .LBB103_875
; %bb.867:
	v_cmp_gt_i16_e32 vcc_lo, 6, v5
	s_mov_b32 s4, -1
	s_cbranch_vccnz .LBB103_873
; %bb.868:
	v_cmp_lt_i16_e32 vcc_lo, 6, v5
	s_cbranch_vccz .LBB103_870
; %bb.869:
	v_cvt_f32_f16_e32 v3, s2
	s_mov_b32 s4, 0
	s_delay_alu instid0(VALU_DEP_1)
	v_cvt_f64_f32_e32 v[3:4], v3
	global_store_b64 v[1:2], v[3:4], off
.LBB103_870:
	s_and_not1_b32 vcc_lo, exec_lo, s4
	s_cbranch_vccnz .LBB103_872
; %bb.871:
	v_cvt_f32_f16_e32 v3, s2
	global_store_b32 v[1:2], v3, off
.LBB103_872:
	s_mov_b32 s4, 0
.LBB103_873:
	s_delay_alu instid0(SALU_CYCLE_1)
	s_and_not1_b32 vcc_lo, exec_lo, s4
	s_cbranch_vccnz .LBB103_875
; %bb.874:
	v_mov_b32_e32 v3, s2
	global_store_b16 v[1:2], v3, off
.LBB103_875:
	s_mov_b32 s4, 0
.LBB103_876:
	s_delay_alu instid0(SALU_CYCLE_1)
	s_and_not1_b32 vcc_lo, exec_lo, s4
	s_cbranch_vccnz .LBB103_892
; %bb.877:
	v_cmp_gt_i16_e32 vcc_lo, 2, v5
	s_mov_b32 s4, -1
	s_cbranch_vccnz .LBB103_887
; %bb.878:
	v_cmp_gt_i16_e32 vcc_lo, 3, v5
	s_cbranch_vccnz .LBB103_884
; %bb.879:
	v_cmp_lt_i16_e32 vcc_lo, 3, v5
	s_cbranch_vccz .LBB103_881
; %bb.880:
	v_cvt_f32_f16_e32 v3, s2
	s_mov_b32 s4, 0
	s_delay_alu instid0(VALU_DEP_1) | instskip(NEXT) | instid1(VALU_DEP_1)
	v_cvt_i32_f32_e32 v3, v3
	v_ashrrev_i32_e32 v4, 31, v3
	global_store_b64 v[1:2], v[3:4], off
.LBB103_881:
	s_and_not1_b32 vcc_lo, exec_lo, s4
	s_cbranch_vccnz .LBB103_883
; %bb.882:
	v_cvt_f32_f16_e32 v3, s2
	s_delay_alu instid0(VALU_DEP_1)
	v_cvt_i32_f32_e32 v3, v3
	global_store_b32 v[1:2], v3, off
.LBB103_883:
	s_mov_b32 s4, 0
.LBB103_884:
	s_delay_alu instid0(SALU_CYCLE_1)
	s_and_not1_b32 vcc_lo, exec_lo, s4
	s_cbranch_vccnz .LBB103_886
; %bb.885:
	v_cvt_i16_f16_e32 v3, s2
	global_store_b16 v[1:2], v3, off
.LBB103_886:
	s_mov_b32 s4, 0
.LBB103_887:
	s_delay_alu instid0(SALU_CYCLE_1)
	s_and_not1_b32 vcc_lo, exec_lo, s4
	s_cbranch_vccnz .LBB103_892
; %bb.888:
	v_cmp_lt_i16_e32 vcc_lo, 0, v5
	s_mov_b32 s4, -1
	s_cbranch_vccz .LBB103_890
; %bb.889:
	v_cvt_i16_f16_e32 v3, s2
	s_mov_b32 s4, 0
	global_store_b8 v[1:2], v3, off
.LBB103_890:
	s_and_not1_b32 vcc_lo, exec_lo, s4
	s_cbranch_vccnz .LBB103_892
; %bb.891:
	v_cvt_f32_f16_e32 v3, s2
	s_delay_alu instid0(VALU_DEP_1)
	v_cvt_i32_f32_e32 v3, v3
	global_store_b8 v[1:2], v3, off
.LBB103_892:
	s_mov_b32 s8, -1
.LBB103_893:
	s_delay_alu instid0(SALU_CYCLE_1)
	s_and_not1_b32 vcc_lo, exec_lo, s8
	s_cbranch_vccnz .LBB103_923
; %bb.894:
	v_cmp_gt_i16_e32 vcc_lo, 11, v5
	v_add_co_u32 v0, s0, s0, v0
	s_delay_alu instid0(VALU_DEP_1)
	v_add_co_ci_u32_e64 v1, null, s1, 0, s0
	s_mov_b32 s4, 0
	s_mov_b32 s0, -1
	s_cbranch_vccnz .LBB103_924
; %bb.895:
	v_cmp_lt_i16_e32 vcc_lo, 25, v5
	s_mov_b32 s1, -1
	s_mov_b32 s0, 0
	s_cbranch_vccz .LBB103_979
; %bb.896:
	v_cmp_lt_i16_e32 vcc_lo, 28, v5
	s_cbranch_vccz .LBB103_912
; %bb.897:
	v_cmp_lt_i16_e32 vcc_lo, 43, v5
	;; [unrolled: 3-line block ×3, first 2 shown]
	s_cbranch_vccz .LBB103_902
; %bb.899:
	v_cmp_eq_u16_e32 vcc_lo, 46, v5
	s_mov_b32 s0, -1
	s_cbranch_vccz .LBB103_901
; %bb.900:
	v_cvt_f32_f16_e32 v2, s2
	v_cmp_o_f16_e64 vcc_lo, s2, s2
	s_mov_b32 s0, 0
	s_delay_alu instid0(VALU_DEP_2) | instskip(NEXT) | instid1(VALU_DEP_1)
	v_bfe_u32 v3, v2, 16, 1
	v_add_nc_u32_e32 v2, v2, v3
	s_delay_alu instid0(VALU_DEP_1) | instskip(NEXT) | instid1(VALU_DEP_1)
	v_add_nc_u32_e32 v2, 0x7fff, v2
	v_lshrrev_b32_e32 v2, 16, v2
	s_delay_alu instid0(VALU_DEP_1)
	v_cndmask_b32_e32 v2, 0x7fc0, v2, vcc_lo
	global_store_b32 v[0:1], v2, off
.LBB103_901:
	s_mov_b32 s1, 0
.LBB103_902:
	s_delay_alu instid0(SALU_CYCLE_1)
	s_and_b32 vcc_lo, exec_lo, s1
	s_cbranch_vccz .LBB103_907
; %bb.903:
	v_cmp_eq_u16_e32 vcc_lo, 44, v5
	s_mov_b32 s0, -1
	s_cbranch_vccz .LBB103_907
; %bb.904:
	v_cvt_f32_f16_e32 v2, s2
	v_mov_b32_e32 v3, 0xff
	s_delay_alu instid0(VALU_DEP_2) | instskip(NEXT) | instid1(VALU_DEP_1)
	v_readfirstlane_b32 s0, v2
	s_bfe_u32 s1, s0, 0x80017
	s_delay_alu instid0(SALU_CYCLE_1)
	s_cmpk_eq_i32 s1, 0xff
	s_cbranch_scc1 .LBB103_906
; %bb.905:
	s_bitcmp1_b32 s0, 22
	v_lshrrev_b32_e32 v2, 23, v2
	s_cselect_b32 s5, -1, 0
	s_and_b32 s0, s0, 0x3fffff
	s_delay_alu instid0(SALU_CYCLE_1) | instskip(NEXT) | instid1(SALU_CYCLE_1)
	s_or_b32 s0, s1, s0
	s_cmp_lg_u32 s0, 0
	s_cselect_b32 s0, -1, 0
	s_delay_alu instid0(SALU_CYCLE_1) | instskip(NEXT) | instid1(SALU_CYCLE_1)
	s_and_b32 s0, s5, s0
	v_cndmask_b32_e64 v3, 0, 1, s0
	s_delay_alu instid0(VALU_DEP_1)
	v_add_nc_u32_e32 v3, v2, v3
.LBB103_906:
	s_mov_b32 s0, 0
	global_store_b8 v[0:1], v3, off
.LBB103_907:
	s_mov_b32 s1, 0
.LBB103_908:
	s_delay_alu instid0(SALU_CYCLE_1)
	s_and_b32 vcc_lo, exec_lo, s1
	s_cbranch_vccz .LBB103_911
; %bb.909:
	v_cmp_eq_u16_e32 vcc_lo, 29, v5
	s_mov_b32 s0, -1
	s_cbranch_vccz .LBB103_911
; %bb.910:
	v_cvt_f32_f16_e32 v2, s2
	v_mov_b32_e32 v3, 0
	s_mov_b32 s0, 0
	s_delay_alu instid0(VALU_DEP_2)
	v_cvt_u32_f32_e32 v2, v2
	global_store_b64 v[0:1], v[2:3], off
.LBB103_911:
	s_mov_b32 s1, 0
.LBB103_912:
	s_delay_alu instid0(SALU_CYCLE_1)
	s_and_b32 vcc_lo, exec_lo, s1
	s_cbranch_vccz .LBB103_978
; %bb.913:
	v_cmp_gt_i16_e32 vcc_lo, 27, v5
	s_mov_b32 s1, -1
	s_cbranch_vccnz .LBB103_919
; %bb.914:
	v_cmp_lt_i16_e32 vcc_lo, 27, v5
	s_cbranch_vccz .LBB103_916
; %bb.915:
	v_cvt_f32_f16_e32 v2, s2
	s_mov_b32 s1, 0
	s_delay_alu instid0(VALU_DEP_1)
	v_cvt_u32_f32_e32 v2, v2
	global_store_b32 v[0:1], v2, off
.LBB103_916:
	s_and_not1_b32 vcc_lo, exec_lo, s1
	s_cbranch_vccnz .LBB103_918
; %bb.917:
	v_cvt_u16_f16_e32 v2, s2
	global_store_b16 v[0:1], v2, off
.LBB103_918:
	s_mov_b32 s1, 0
.LBB103_919:
	s_delay_alu instid0(SALU_CYCLE_1)
	s_and_not1_b32 vcc_lo, exec_lo, s1
	s_cbranch_vccnz .LBB103_978
; %bb.920:
	v_cvt_f32_f16_e32 v2, s2
	v_mov_b32_e32 v3, 0x80
	s_delay_alu instid0(VALU_DEP_2) | instskip(NEXT) | instid1(VALU_DEP_1)
	v_readfirstlane_b32 s1, v2
	s_and_b32 s5, s1, 0x7fffffff
	s_delay_alu instid0(SALU_CYCLE_1)
	s_cmp_gt_u32 s5, 0x437fffff
	s_cbranch_scc1 .LBB103_977
; %bb.921:
	s_cmp_gt_u32 s5, 0x3bffffff
	s_cbranch_scc0 .LBB103_972
; %bb.922:
	s_bfe_u32 s5, s1, 0x10014
	s_mov_b32 s8, 0
	s_add_i32 s5, s1, s5
	s_delay_alu instid0(SALU_CYCLE_1) | instskip(NEXT) | instid1(SALU_CYCLE_1)
	s_add_i32 s5, s5, 0x487ffff
	s_lshr_b32 s9, s5, 20
	s_mov_b32 s5, -1
	s_branch .LBB103_973
.LBB103_923:
	s_mov_b32 s0, 0
	s_mov_b32 s4, 0
                                        ; implicit-def: $vgpr5
                                        ; implicit-def: $vgpr0_vgpr1
.LBB103_924:
	s_and_b32 s5, s0, exec_lo
	s_and_not1_b32 s0, s6, exec_lo
	s_and_b32 s1, s3, exec_lo
	s_and_b32 s3, s4, exec_lo
	s_or_b32 s6, s0, s1
.LBB103_925:
	s_or_b32 exec_lo, exec_lo, s7
	s_and_saveexec_b32 s0, s6
	s_cbranch_execz .LBB103_928
; %bb.926:
	; divergent unreachable
	s_or_b32 exec_lo, exec_lo, s0
	s_and_saveexec_b32 s0, s3
	s_delay_alu instid0(SALU_CYCLE_1)
	s_xor_b32 s0, exec_lo, s0
	s_cbranch_execnz .LBB103_929
.LBB103_927:
	s_or_b32 exec_lo, exec_lo, s0
	s_and_saveexec_b32 s0, s5
	s_cbranch_execnz .LBB103_930
	s_branch .LBB103_967
.LBB103_928:
	s_or_b32 exec_lo, exec_lo, s0
	s_and_saveexec_b32 s0, s3
	s_delay_alu instid0(SALU_CYCLE_1)
	s_xor_b32 s0, exec_lo, s0
	s_cbranch_execz .LBB103_927
.LBB103_929:
	v_and_b32_e64 v2, 0x7fff, s2
	s_delay_alu instid0(VALU_DEP_1)
	v_cmp_ne_u16_e32 vcc_lo, 0, v2
	v_cndmask_b32_e64 v2, 0, 1, vcc_lo
	global_store_b8 v[0:1], v2, off
	s_or_b32 exec_lo, exec_lo, s0
	s_and_saveexec_b32 s0, s5
	s_cbranch_execz .LBB103_967
.LBB103_930:
	v_cmp_gt_i16_e32 vcc_lo, 5, v5
	s_mov_b32 s0, -1
	s_cbranch_vccnz .LBB103_951
; %bb.931:
	v_cmp_gt_i16_e32 vcc_lo, 8, v5
	s_cbranch_vccnz .LBB103_941
; %bb.932:
	v_cmp_gt_i16_e32 vcc_lo, 9, v5
	s_cbranch_vccnz .LBB103_938
; %bb.933:
	v_cmp_lt_i16_e32 vcc_lo, 9, v5
	s_cbranch_vccz .LBB103_935
; %bb.934:
	v_cvt_f32_f16_e32 v2, s2
	v_mov_b32_e32 v8, 0
	s_mov_b32 s0, 0
	s_delay_alu instid0(VALU_DEP_2) | instskip(NEXT) | instid1(VALU_DEP_2)
	v_cvt_f64_f32_e32 v[6:7], v2
	v_mov_b32_e32 v9, v8
	global_store_b128 v[0:1], v[6:9], off
.LBB103_935:
	s_and_not1_b32 vcc_lo, exec_lo, s0
	s_cbranch_vccnz .LBB103_937
; %bb.936:
	v_cvt_f32_f16_e32 v2, s2
	v_mov_b32_e32 v3, 0
	global_store_b64 v[0:1], v[2:3], off
.LBB103_937:
	s_mov_b32 s0, 0
.LBB103_938:
	s_delay_alu instid0(SALU_CYCLE_1)
	s_and_not1_b32 vcc_lo, exec_lo, s0
	s_cbranch_vccnz .LBB103_940
; %bb.939:
	s_and_b32 s0, 0xffff, s2
	s_delay_alu instid0(SALU_CYCLE_1)
	v_mov_b32_e32 v2, s0
	global_store_b32 v[0:1], v2, off
.LBB103_940:
	s_mov_b32 s0, 0
.LBB103_941:
	s_delay_alu instid0(SALU_CYCLE_1)
	s_and_not1_b32 vcc_lo, exec_lo, s0
	s_cbranch_vccnz .LBB103_950
; %bb.942:
	v_cmp_gt_i16_e32 vcc_lo, 6, v5
	s_mov_b32 s0, -1
	s_cbranch_vccnz .LBB103_948
; %bb.943:
	v_cmp_lt_i16_e32 vcc_lo, 6, v5
	s_cbranch_vccz .LBB103_945
; %bb.944:
	v_cvt_f32_f16_e32 v2, s2
	s_mov_b32 s0, 0
	s_delay_alu instid0(VALU_DEP_1)
	v_cvt_f64_f32_e32 v[2:3], v2
	global_store_b64 v[0:1], v[2:3], off
.LBB103_945:
	s_and_not1_b32 vcc_lo, exec_lo, s0
	s_cbranch_vccnz .LBB103_947
; %bb.946:
	v_cvt_f32_f16_e32 v2, s2
	global_store_b32 v[0:1], v2, off
.LBB103_947:
	s_mov_b32 s0, 0
.LBB103_948:
	s_delay_alu instid0(SALU_CYCLE_1)
	s_and_not1_b32 vcc_lo, exec_lo, s0
	s_cbranch_vccnz .LBB103_950
; %bb.949:
	v_mov_b32_e32 v2, s2
	global_store_b16 v[0:1], v2, off
.LBB103_950:
	s_mov_b32 s0, 0
.LBB103_951:
	s_delay_alu instid0(SALU_CYCLE_1)
	s_and_not1_b32 vcc_lo, exec_lo, s0
	s_cbranch_vccnz .LBB103_967
; %bb.952:
	v_cmp_gt_i16_e32 vcc_lo, 2, v5
	s_mov_b32 s0, -1
	s_cbranch_vccnz .LBB103_962
; %bb.953:
	v_cmp_gt_i16_e32 vcc_lo, 3, v5
	s_cbranch_vccnz .LBB103_959
; %bb.954:
	v_cmp_lt_i16_e32 vcc_lo, 3, v5
	s_cbranch_vccz .LBB103_956
; %bb.955:
	v_cvt_f32_f16_e32 v2, s2
	s_mov_b32 s0, 0
	s_delay_alu instid0(VALU_DEP_1) | instskip(NEXT) | instid1(VALU_DEP_1)
	v_cvt_i32_f32_e32 v2, v2
	v_ashrrev_i32_e32 v3, 31, v2
	global_store_b64 v[0:1], v[2:3], off
.LBB103_956:
	s_and_not1_b32 vcc_lo, exec_lo, s0
	s_cbranch_vccnz .LBB103_958
; %bb.957:
	v_cvt_f32_f16_e32 v2, s2
	s_delay_alu instid0(VALU_DEP_1)
	v_cvt_i32_f32_e32 v2, v2
	global_store_b32 v[0:1], v2, off
.LBB103_958:
	s_mov_b32 s0, 0
.LBB103_959:
	s_delay_alu instid0(SALU_CYCLE_1)
	s_and_not1_b32 vcc_lo, exec_lo, s0
	s_cbranch_vccnz .LBB103_961
; %bb.960:
	v_cvt_i16_f16_e32 v2, s2
	global_store_b16 v[0:1], v2, off
.LBB103_961:
	s_mov_b32 s0, 0
.LBB103_962:
	s_delay_alu instid0(SALU_CYCLE_1)
	s_and_not1_b32 vcc_lo, exec_lo, s0
	s_cbranch_vccnz .LBB103_967
; %bb.963:
	v_cmp_lt_i16_e32 vcc_lo, 0, v5
	s_mov_b32 s0, -1
	s_cbranch_vccz .LBB103_965
; %bb.964:
	v_cvt_i16_f16_e32 v2, s2
	s_mov_b32 s0, 0
	global_store_b8 v[0:1], v2, off
.LBB103_965:
	s_and_not1_b32 vcc_lo, exec_lo, s0
	s_cbranch_vccnz .LBB103_967
; %bb.966:
	v_cvt_f32_f16_e32 v2, s2
	s_delay_alu instid0(VALU_DEP_1)
	v_cvt_i32_f32_e32 v2, v2
	global_store_b8 v[0:1], v2, off
	s_nop 0
	s_sendmsg sendmsg(MSG_DEALLOC_VGPRS)
	s_endpgm
.LBB103_967:
	s_nop 0
	s_sendmsg sendmsg(MSG_DEALLOC_VGPRS)
	s_endpgm
.LBB103_968:
	s_cbranch_execnz .LBB103_970
; %bb.969:
	s_or_b32 s3, s3, exec_lo
	s_cbranch_execz .LBB103_852
	s_branch .LBB103_853
.LBB103_970:
	s_trap 2
	s_sendmsg_rtn_b32 s0, sendmsg(MSG_RTN_GET_DOORBELL)
	s_mov_b32 ttmp2, m0
	s_waitcnt lgkmcnt(0)
	s_and_b32 s0, s0, 0x3ff
	s_delay_alu instid0(SALU_CYCLE_1) | instskip(NEXT) | instid1(SALU_CYCLE_1)
	s_bitset1_b32 s0, 10
	s_mov_b32 m0, s0
	s_sendmsg sendmsg(MSG_INTERRUPT)
	s_mov_b32 m0, ttmp2
.LBB103_971:                            ; =>This Inner Loop Header: Depth=1
	s_sethalt 5
	s_branch .LBB103_971
.LBB103_972:
	s_mov_b32 s8, -1
	s_mov_b32 s5, 0
                                        ; implicit-def: $sgpr9
.LBB103_973:
	v_mov_b32_e32 v2, s9
	s_and_not1_b32 vcc_lo, exec_lo, s8
                                        ; implicit-def: $sgpr8
	s_cbranch_vccnz .LBB103_975
; %bb.974:
	v_add_f32_e64 v2, 0x46000000, |s1|
	s_mov_b32 s8, 0
	s_delay_alu instid0(VALU_DEP_1) | instskip(NEXT) | instid1(VALU_DEP_1)
	v_and_b32_e32 v2, 0xff, v2
	v_cmp_ne_u32_e64 s5, 0, v2
.LBB103_975:
	v_mov_b32_e32 v3, s8
	s_delay_alu instid0(VALU_DEP_2)
	s_and_not1_b32 vcc_lo, exec_lo, s5
	s_cbranch_vccnz .LBB103_977
; %bb.976:
	s_lshr_b32 s1, s1, 24
	s_delay_alu instid0(SALU_CYCLE_1) | instskip(NEXT) | instid1(SALU_CYCLE_1)
	s_and_b32 s1, s1, 0x80
	v_or_b32_e32 v3, s1, v2
.LBB103_977:
	global_store_b8 v[0:1], v3, off
.LBB103_978:
	s_mov_b32 s1, 0
.LBB103_979:
	s_delay_alu instid0(SALU_CYCLE_1)
	s_and_b32 vcc_lo, exec_lo, s1
	s_cbranch_vccz .LBB103_1025
; %bb.980:
	v_cmp_lt_i16_e32 vcc_lo, 22, v5
	s_mov_b32 s1, -1
	s_cbranch_vccz .LBB103_1018
; %bb.981:
	v_cmp_gt_i16_e32 vcc_lo, 24, v5
	s_cbranch_vccnz .LBB103_1005
; %bb.982:
	v_cmp_lt_i16_e32 vcc_lo, 24, v5
	s_cbranch_vccz .LBB103_992
; %bb.983:
	v_cvt_f32_f16_e32 v2, s2
	v_mov_b32_e32 v3, 0x80
	s_delay_alu instid0(VALU_DEP_2) | instskip(NEXT) | instid1(VALU_DEP_1)
	v_readfirstlane_b32 s1, v2
	s_and_b32 s4, s1, 0x7fffffff
	s_delay_alu instid0(SALU_CYCLE_1)
	s_cmp_gt_u32 s4, 0x477fffff
	s_cbranch_scc1 .LBB103_991
; %bb.984:
	s_cmp_gt_u32 s4, 0x37ffffff
	s_cbranch_scc0 .LBB103_986
; %bb.985:
	s_bfe_u32 s4, s1, 0x10015
	s_mov_b32 s5, 0
	s_add_i32 s4, s1, s4
	s_delay_alu instid0(SALU_CYCLE_1) | instskip(NEXT) | instid1(SALU_CYCLE_1)
	s_add_i32 s4, s4, 0x88fffff
	s_lshr_b32 s8, s4, 21
	s_mov_b32 s4, -1
	s_branch .LBB103_987
.LBB103_986:
	s_mov_b32 s5, -1
	s_mov_b32 s4, 0
                                        ; implicit-def: $sgpr8
.LBB103_987:
	v_mov_b32_e32 v2, s8
	s_and_not1_b32 vcc_lo, exec_lo, s5
                                        ; implicit-def: $sgpr5
	s_cbranch_vccnz .LBB103_989
; %bb.988:
	v_add_f32_e64 v2, 0x42800000, |s1|
	s_mov_b32 s5, 0
	s_delay_alu instid0(VALU_DEP_1) | instskip(NEXT) | instid1(VALU_DEP_1)
	v_and_b32_e32 v2, 0xff, v2
	v_cmp_ne_u32_e64 s4, 0, v2
.LBB103_989:
	v_mov_b32_e32 v3, s5
	s_delay_alu instid0(VALU_DEP_2)
	s_and_not1_b32 vcc_lo, exec_lo, s4
	s_cbranch_vccnz .LBB103_991
; %bb.990:
	s_lshr_b32 s1, s1, 24
	s_delay_alu instid0(SALU_CYCLE_1) | instskip(NEXT) | instid1(SALU_CYCLE_1)
	s_and_b32 s1, s1, 0x80
	v_or_b32_e32 v3, s1, v2
.LBB103_991:
	s_mov_b32 s1, 0
	global_store_b8 v[0:1], v3, off
.LBB103_992:
	s_and_b32 vcc_lo, exec_lo, s1
	s_cbranch_vccz .LBB103_1004
; %bb.993:
	v_cvt_f32_f16_e32 v2, s2
	s_delay_alu instid0(VALU_DEP_1) | instskip(NEXT) | instid1(VALU_DEP_1)
	v_readfirstlane_b32 s1, v2
	s_and_b32 s4, s1, 0x7fffffff
	s_delay_alu instid0(SALU_CYCLE_1)
	s_cmp_lt_u32 s4, 0x43f00000
	s_cbranch_scc0 .LBB103_996
; %bb.994:
	s_cmp_gt_u32 s4, 0x3c7fffff
	s_cbranch_scc0 .LBB103_997
; %bb.995:
	s_bfe_u32 s5, s1, 0x10014
	s_delay_alu instid0(SALU_CYCLE_1) | instskip(NEXT) | instid1(SALU_CYCLE_1)
	s_add_i32 s5, s1, s5
	s_add_i32 s5, s5, 0x407ffff
	s_delay_alu instid0(SALU_CYCLE_1)
	s_and_b32 s8, s5, 0xff00000
	s_lshr_b32 s5, s5, 20
	s_cmp_lg_u32 s8, 0x7f00000
	s_cselect_b32 s8, s5, 0x7e
	s_mov_b32 s5, 0
	s_branch .LBB103_998
.LBB103_996:
	s_mov_b32 s5, -1
                                        ; implicit-def: $vgpr3
	s_branch .LBB103_1001
.LBB103_997:
	s_mov_b32 s5, -1
                                        ; implicit-def: $sgpr8
.LBB103_998:
	v_mov_b32_e32 v3, s8
	s_and_not1_b32 vcc_lo, exec_lo, s5
	s_cbranch_vccnz .LBB103_1000
; %bb.999:
	v_add_f32_e64 v3, 0x46800000, |v2|
.LBB103_1000:
	s_mov_b32 s5, 0
.LBB103_1001:
	s_delay_alu instid0(SALU_CYCLE_1)
	s_and_not1_b32 vcc_lo, exec_lo, s5
	s_cbranch_vccnz .LBB103_1003
; %bb.1002:
	s_cmp_gt_u32 s4, 0x7f800000
	s_movk_i32 s4, 0x7f
	s_delay_alu instid0(SALU_CYCLE_1) | instskip(NEXT) | instid1(SALU_CYCLE_1)
	s_cselect_b32 s4, s4, 0x7e
	v_mov_b32_e32 v3, s4
.LBB103_1003:
	s_lshr_b32 s1, s1, 24
	s_delay_alu instid0(SALU_CYCLE_1)
	s_and_b32 s1, s1, 0x80
	s_delay_alu instid0(VALU_DEP_1) | instid1(SALU_CYCLE_1)
	v_or_b32_e32 v2, s1, v3
	global_store_b8 v[0:1], v2, off
.LBB103_1004:
	s_mov_b32 s1, 0
.LBB103_1005:
	s_delay_alu instid0(SALU_CYCLE_1)
	s_and_not1_b32 vcc_lo, exec_lo, s1
	s_cbranch_vccnz .LBB103_1017
; %bb.1006:
	v_cvt_f32_f16_e32 v2, s2
	s_delay_alu instid0(VALU_DEP_1) | instskip(NEXT) | instid1(VALU_DEP_1)
	v_readfirstlane_b32 s1, v2
	s_and_b32 s4, s1, 0x7fffffff
	s_delay_alu instid0(SALU_CYCLE_1)
	s_cmp_lt_u32 s4, 0x47800000
	s_cbranch_scc0 .LBB103_1009
; %bb.1007:
	s_cmp_gt_u32 s4, 0x387fffff
	s_cbranch_scc0 .LBB103_1010
; %bb.1008:
	s_bfe_u32 s5, s1, 0x10015
	s_delay_alu instid0(SALU_CYCLE_1) | instskip(NEXT) | instid1(SALU_CYCLE_1)
	s_add_i32 s5, s1, s5
	s_add_i32 s5, s5, 0x80fffff
	s_delay_alu instid0(SALU_CYCLE_1)
	s_lshr_b32 s8, s5, 21
	s_mov_b32 s5, 0
	s_branch .LBB103_1011
.LBB103_1009:
	s_mov_b32 s5, -1
                                        ; implicit-def: $vgpr3
	s_branch .LBB103_1014
.LBB103_1010:
	s_mov_b32 s5, -1
                                        ; implicit-def: $sgpr8
.LBB103_1011:
	v_mov_b32_e32 v3, s8
	s_and_not1_b32 vcc_lo, exec_lo, s5
	s_cbranch_vccnz .LBB103_1013
; %bb.1012:
	v_add_f32_e64 v3, 0x43000000, |v2|
.LBB103_1013:
	s_mov_b32 s5, 0
.LBB103_1014:
	s_delay_alu instid0(SALU_CYCLE_1)
	s_and_not1_b32 vcc_lo, exec_lo, s5
	s_cbranch_vccnz .LBB103_1016
; %bb.1015:
	s_cmp_gt_u32 s4, 0x7f800000
	s_movk_i32 s4, 0x7f
	s_delay_alu instid0(SALU_CYCLE_1) | instskip(NEXT) | instid1(SALU_CYCLE_1)
	s_cselect_b32 s4, s4, 0x7c
	v_mov_b32_e32 v3, s4
.LBB103_1016:
	s_lshr_b32 s1, s1, 24
	s_delay_alu instid0(SALU_CYCLE_1)
	s_and_b32 s1, s1, 0x80
	s_delay_alu instid0(VALU_DEP_1) | instid1(SALU_CYCLE_1)
	v_or_b32_e32 v2, s1, v3
	global_store_b8 v[0:1], v2, off
.LBB103_1017:
	s_mov_b32 s1, 0
.LBB103_1018:
	s_delay_alu instid0(SALU_CYCLE_1)
	s_and_not1_b32 vcc_lo, exec_lo, s1
	s_mov_b32 s4, 0
	s_cbranch_vccnz .LBB103_1025
; %bb.1019:
	v_cmp_lt_i16_e32 vcc_lo, 14, v5
	s_mov_b32 s1, -1
	s_cbranch_vccz .LBB103_1023
; %bb.1020:
	v_cmp_eq_u16_e32 vcc_lo, 15, v5
	s_mov_b32 s0, -1
	s_cbranch_vccz .LBB103_1022
; %bb.1021:
	v_cvt_f32_f16_e32 v2, s2
	v_cmp_o_f16_e64 vcc_lo, s2, s2
	s_mov_b32 s0, 0
	s_delay_alu instid0(VALU_DEP_2) | instskip(NEXT) | instid1(VALU_DEP_1)
	v_bfe_u32 v3, v2, 16, 1
	v_add_nc_u32_e32 v2, v2, v3
	s_delay_alu instid0(VALU_DEP_1) | instskip(NEXT) | instid1(VALU_DEP_1)
	v_add_nc_u32_e32 v2, 0x7fff, v2
	v_lshrrev_b32_e32 v2, 16, v2
	s_delay_alu instid0(VALU_DEP_1)
	v_cndmask_b32_e32 v2, 0x7fc0, v2, vcc_lo
	global_store_b16 v[0:1], v2, off
.LBB103_1022:
	s_mov_b32 s1, 0
.LBB103_1023:
	s_delay_alu instid0(SALU_CYCLE_1)
	s_and_b32 vcc_lo, exec_lo, s1
	s_cbranch_vccz .LBB103_1025
; %bb.1024:
	v_cmp_ne_u16_e64 s0, 11, v5
	s_mov_b32 s4, -1
.LBB103_1025:
	s_delay_alu instid0(VALU_DEP_1)
	s_and_b32 vcc_lo, exec_lo, s0
	s_cbranch_vccnz .LBB103_1027
.LBB103_1026:
	s_mov_b32 s0, 0
	s_branch .LBB103_924
.LBB103_1027:
	s_cbranch_execnz .LBB103_1029
; %bb.1028:
	s_mov_b32 s4, 0
	s_or_b32 s3, s3, exec_lo
	s_branch .LBB103_1026
.LBB103_1029:
	s_trap 2
	s_sendmsg_rtn_b32 s0, sendmsg(MSG_RTN_GET_DOORBELL)
	s_mov_b32 ttmp2, m0
	s_waitcnt lgkmcnt(0)
	s_and_b32 s0, s0, 0x3ff
	s_delay_alu instid0(SALU_CYCLE_1) | instskip(NEXT) | instid1(SALU_CYCLE_1)
	s_bitset1_b32 s0, 10
	s_mov_b32 m0, s0
	s_sendmsg sendmsg(MSG_INTERRUPT)
	s_mov_b32 m0, ttmp2
.LBB103_1030:                           ; =>This Inner Loop Header: Depth=1
	s_sethalt 5
	s_branch .LBB103_1030
	.section	.rodata,"a",@progbits
	.p2align	6, 0x0
	.amdhsa_kernel _ZN2at6native32elementwise_kernel_manual_unrollILi128ELi4EZNS0_15gpu_kernel_implINS0_11FillFunctorIN3c104HalfEEEEEvRNS_18TensorIteratorBaseERKT_EUlibE0_EEviT1_
		.amdhsa_group_segment_fixed_size 0
		.amdhsa_private_segment_fixed_size 0
		.amdhsa_kernarg_size 288
		.amdhsa_user_sgpr_count 15
		.amdhsa_user_sgpr_dispatch_ptr 0
		.amdhsa_user_sgpr_queue_ptr 0
		.amdhsa_user_sgpr_kernarg_segment_ptr 1
		.amdhsa_user_sgpr_dispatch_id 0
		.amdhsa_user_sgpr_private_segment_size 0
		.amdhsa_wavefront_size32 1
		.amdhsa_uses_dynamic_stack 0
		.amdhsa_enable_private_segment 0
		.amdhsa_system_sgpr_workgroup_id_x 1
		.amdhsa_system_sgpr_workgroup_id_y 0
		.amdhsa_system_sgpr_workgroup_id_z 0
		.amdhsa_system_sgpr_workgroup_info 0
		.amdhsa_system_vgpr_workitem_id 0
		.amdhsa_next_free_vgpr 25
		.amdhsa_next_free_sgpr 76
		.amdhsa_reserve_vcc 1
		.amdhsa_float_round_mode_32 0
		.amdhsa_float_round_mode_16_64 0
		.amdhsa_float_denorm_mode_32 3
		.amdhsa_float_denorm_mode_16_64 3
		.amdhsa_dx10_clamp 1
		.amdhsa_ieee_mode 1
		.amdhsa_fp16_overflow 0
		.amdhsa_workgroup_processor_mode 1
		.amdhsa_memory_ordered 1
		.amdhsa_forward_progress 0
		.amdhsa_shared_vgpr_count 0
		.amdhsa_exception_fp_ieee_invalid_op 0
		.amdhsa_exception_fp_denorm_src 0
		.amdhsa_exception_fp_ieee_div_zero 0
		.amdhsa_exception_fp_ieee_overflow 0
		.amdhsa_exception_fp_ieee_underflow 0
		.amdhsa_exception_fp_ieee_inexact 0
		.amdhsa_exception_int_div_zero 0
	.end_amdhsa_kernel
	.section	.text._ZN2at6native32elementwise_kernel_manual_unrollILi128ELi4EZNS0_15gpu_kernel_implINS0_11FillFunctorIN3c104HalfEEEEEvRNS_18TensorIteratorBaseERKT_EUlibE0_EEviT1_,"axG",@progbits,_ZN2at6native32elementwise_kernel_manual_unrollILi128ELi4EZNS0_15gpu_kernel_implINS0_11FillFunctorIN3c104HalfEEEEEvRNS_18TensorIteratorBaseERKT_EUlibE0_EEviT1_,comdat
.Lfunc_end103:
	.size	_ZN2at6native32elementwise_kernel_manual_unrollILi128ELi4EZNS0_15gpu_kernel_implINS0_11FillFunctorIN3c104HalfEEEEEvRNS_18TensorIteratorBaseERKT_EUlibE0_EEviT1_, .Lfunc_end103-_ZN2at6native32elementwise_kernel_manual_unrollILi128ELi4EZNS0_15gpu_kernel_implINS0_11FillFunctorIN3c104HalfEEEEEvRNS_18TensorIteratorBaseERKT_EUlibE0_EEviT1_
                                        ; -- End function
	.section	.AMDGPU.csdata,"",@progbits
; Kernel info:
; codeLenInByte = 19360
; NumSgprs: 78
; NumVgprs: 25
; ScratchSize: 0
; MemoryBound: 0
; FloatMode: 240
; IeeeMode: 1
; LDSByteSize: 0 bytes/workgroup (compile time only)
; SGPRBlocks: 9
; VGPRBlocks: 3
; NumSGPRsForWavesPerEU: 78
; NumVGPRsForWavesPerEU: 25
; Occupancy: 16
; WaveLimiterHint : 1
; COMPUTE_PGM_RSRC2:SCRATCH_EN: 0
; COMPUTE_PGM_RSRC2:USER_SGPR: 15
; COMPUTE_PGM_RSRC2:TRAP_HANDLER: 0
; COMPUTE_PGM_RSRC2:TGID_X_EN: 1
; COMPUTE_PGM_RSRC2:TGID_Y_EN: 0
; COMPUTE_PGM_RSRC2:TGID_Z_EN: 0
; COMPUTE_PGM_RSRC2:TIDIG_COMP_CNT: 0
	.section	.text._ZN2at6native29vectorized_elementwise_kernelILi16ENS0_11FillFunctorIN3c108BFloat16EEESt5arrayIPcLm1EEEEviT0_T1_,"axG",@progbits,_ZN2at6native29vectorized_elementwise_kernelILi16ENS0_11FillFunctorIN3c108BFloat16EEESt5arrayIPcLm1EEEEviT0_T1_,comdat
	.protected	_ZN2at6native29vectorized_elementwise_kernelILi16ENS0_11FillFunctorIN3c108BFloat16EEESt5arrayIPcLm1EEEEviT0_T1_ ; -- Begin function _ZN2at6native29vectorized_elementwise_kernelILi16ENS0_11FillFunctorIN3c108BFloat16EEESt5arrayIPcLm1EEEEviT0_T1_
	.globl	_ZN2at6native29vectorized_elementwise_kernelILi16ENS0_11FillFunctorIN3c108BFloat16EEESt5arrayIPcLm1EEEEviT0_T1_
	.p2align	8
	.type	_ZN2at6native29vectorized_elementwise_kernelILi16ENS0_11FillFunctorIN3c108BFloat16EEESt5arrayIPcLm1EEEEviT0_T1_,@function
_ZN2at6native29vectorized_elementwise_kernelILi16ENS0_11FillFunctorIN3c108BFloat16EEESt5arrayIPcLm1EEEEviT0_T1_: ; @_ZN2at6native29vectorized_elementwise_kernelILi16ENS0_11FillFunctorIN3c108BFloat16EEESt5arrayIPcLm1EEEEviT0_T1_
; %bb.0:
	s_load_b128 s[0:3], s[0:1], 0x0
	s_lshl_b32 s4, s15, 11
	s_waitcnt lgkmcnt(0)
	s_sub_i32 s0, s0, s4
	s_delay_alu instid0(SALU_CYCLE_1)
	s_cmpk_gt_i32 s0, 0x7ff
	s_cbranch_scc0 .LBB104_4
; %bb.1:
	s_ashr_i32 s5, s4, 31
	s_delay_alu instid0(SALU_CYCLE_1) | instskip(SKIP_1) | instid1(SALU_CYCLE_1)
	s_lshl_b64 s[6:7], s[4:5], 1
	s_pack_ll_b32_b16 s5, s1, s1
	v_dual_mov_b32 v3, s5 :: v_dual_lshlrev_b32 v6, 4, v0
	s_add_u32 s8, s2, s6
	s_addc_u32 s9, s3, s7
	v_mov_b32_e32 v7, s1
	s_delay_alu instid0(VALU_DEP_2) | instskip(SKIP_3) | instid1(VALU_DEP_4)
	v_add_co_u32 v1, s5, s8, v6
	v_mov_b32_e32 v4, v3
	v_add_co_ci_u32_e64 v2, null, s9, 0, s5
	v_mov_b32_e32 v5, v3
	v_add_co_u32 v1, vcc_lo, v1, 14
	s_delay_alu instid0(VALU_DEP_3)
	v_add_co_ci_u32_e32 v2, vcc_lo, 0, v2, vcc_lo
	s_mov_b32 s5, -1
	s_clause 0x1
	global_store_b16 v6, v7, s[8:9] offset:12
	global_store_b96 v6, v[3:5], s[8:9]
	s_cbranch_execz .LBB104_5
; %bb.2:
	s_and_saveexec_b32 s0, s5
	s_cbranch_execz .LBB104_16
.LBB104_3:
	v_mov_b32_e32 v0, s1
	global_store_b16 v[1:2], v0, off
	s_nop 0
	s_sendmsg sendmsg(MSG_DEALLOC_VGPRS)
	s_endpgm
.LBB104_4:
	s_mov_b32 s5, 0
                                        ; implicit-def: $vgpr1_vgpr2
.LBB104_5:
	s_mov_b32 s6, exec_lo
	v_cmpx_gt_i32_e64 s0, v0
	s_cbranch_execz .LBB104_17
; %bb.6:
	v_or_b32_e32 v1, s4, v0
	v_dual_mov_b32 v2, 0 :: v_dual_mov_b32 v3, s1
	v_or_b32_e32 v0, 0x100, v0
	s_delay_alu instid0(VALU_DEP_2) | instskip(NEXT) | instid1(VALU_DEP_1)
	v_lshlrev_b64 v[1:2], 1, v[1:2]
	v_add_co_u32 v1, vcc_lo, s2, v1
	s_delay_alu instid0(VALU_DEP_2) | instskip(SKIP_2) | instid1(SALU_CYCLE_1)
	v_add_co_ci_u32_e32 v2, vcc_lo, s3, v2, vcc_lo
	global_store_b16 v[1:2], v3, off
	s_or_b32 exec_lo, exec_lo, s6
	s_mov_b32 s6, exec_lo
	v_cmpx_gt_i32_e64 s0, v0
	s_cbranch_execnz .LBB104_18
.LBB104_7:
	s_or_b32 exec_lo, exec_lo, s6
	s_delay_alu instid0(SALU_CYCLE_1)
	s_mov_b32 s6, exec_lo
	v_cmpx_gt_i32_e64 s0, v0
	s_cbranch_execz .LBB104_19
.LBB104_8:
	v_dual_mov_b32 v2, 0 :: v_dual_add_nc_u32 v1, s4, v0
	v_dual_mov_b32 v3, s1 :: v_dual_add_nc_u32 v0, 0x100, v0
	s_delay_alu instid0(VALU_DEP_2) | instskip(NEXT) | instid1(VALU_DEP_1)
	v_lshlrev_b64 v[1:2], 1, v[1:2]
	v_add_co_u32 v1, vcc_lo, s2, v1
	s_delay_alu instid0(VALU_DEP_2) | instskip(SKIP_2) | instid1(SALU_CYCLE_1)
	v_add_co_ci_u32_e32 v2, vcc_lo, s3, v2, vcc_lo
	global_store_b16 v[1:2], v3, off
	s_or_b32 exec_lo, exec_lo, s6
	s_mov_b32 s6, exec_lo
	v_cmpx_gt_i32_e64 s0, v0
	s_cbranch_execnz .LBB104_20
.LBB104_9:
	s_or_b32 exec_lo, exec_lo, s6
	s_delay_alu instid0(SALU_CYCLE_1)
	s_mov_b32 s6, exec_lo
	v_cmpx_gt_i32_e64 s0, v0
	s_cbranch_execz .LBB104_21
.LBB104_10:
	v_dual_mov_b32 v2, 0 :: v_dual_add_nc_u32 v1, s4, v0
	v_dual_mov_b32 v3, s1 :: v_dual_add_nc_u32 v0, 0x100, v0
	s_delay_alu instid0(VALU_DEP_2) | instskip(NEXT) | instid1(VALU_DEP_1)
	v_lshlrev_b64 v[1:2], 1, v[1:2]
	v_add_co_u32 v1, vcc_lo, s2, v1
	s_delay_alu instid0(VALU_DEP_2) | instskip(SKIP_2) | instid1(SALU_CYCLE_1)
	v_add_co_ci_u32_e32 v2, vcc_lo, s3, v2, vcc_lo
	global_store_b16 v[1:2], v3, off
	s_or_b32 exec_lo, exec_lo, s6
	s_mov_b32 s6, exec_lo
	v_cmpx_gt_i32_e64 s0, v0
	s_cbranch_execnz .LBB104_22
.LBB104_11:
	s_or_b32 exec_lo, exec_lo, s6
	s_delay_alu instid0(SALU_CYCLE_1)
	s_mov_b32 s6, exec_lo
	v_cmpx_gt_i32_e64 s0, v0
	s_cbranch_execz .LBB104_13
.LBB104_12:
	v_dual_mov_b32 v2, 0 :: v_dual_add_nc_u32 v1, s4, v0
	v_dual_mov_b32 v3, s1 :: v_dual_add_nc_u32 v0, 0x100, v0
	s_delay_alu instid0(VALU_DEP_2) | instskip(NEXT) | instid1(VALU_DEP_1)
	v_lshlrev_b64 v[1:2], 1, v[1:2]
	v_add_co_u32 v1, vcc_lo, s2, v1
	s_delay_alu instid0(VALU_DEP_2)
	v_add_co_ci_u32_e32 v2, vcc_lo, s3, v2, vcc_lo
	global_store_b16 v[1:2], v3, off
.LBB104_13:
	s_or_b32 exec_lo, exec_lo, s6
	v_cmp_gt_i32_e32 vcc_lo, s0, v0
                                        ; implicit-def: $vgpr1_vgpr2
	s_and_saveexec_b32 s0, vcc_lo
; %bb.14:
	v_dual_mov_b32 v1, 0 :: v_dual_add_nc_u32 v0, s4, v0
	s_or_b32 s5, s5, exec_lo
	s_delay_alu instid0(VALU_DEP_1) | instskip(NEXT) | instid1(VALU_DEP_1)
	v_lshlrev_b64 v[1:2], 1, v[0:1]
	v_add_co_u32 v1, vcc_lo, s2, v1
	s_delay_alu instid0(VALU_DEP_2)
	v_add_co_ci_u32_e32 v2, vcc_lo, s3, v2, vcc_lo
; %bb.15:
	s_or_b32 exec_lo, exec_lo, s0
	s_and_saveexec_b32 s0, s5
	s_cbranch_execnz .LBB104_3
.LBB104_16:
	s_nop 0
	s_sendmsg sendmsg(MSG_DEALLOC_VGPRS)
	s_endpgm
.LBB104_17:
	s_or_b32 exec_lo, exec_lo, s6
	s_delay_alu instid0(SALU_CYCLE_1)
	s_mov_b32 s6, exec_lo
	v_cmpx_gt_i32_e64 s0, v0
	s_cbranch_execz .LBB104_7
.LBB104_18:
	v_dual_mov_b32 v2, 0 :: v_dual_add_nc_u32 v1, s4, v0
	v_dual_mov_b32 v3, s1 :: v_dual_add_nc_u32 v0, 0x100, v0
	s_delay_alu instid0(VALU_DEP_2) | instskip(NEXT) | instid1(VALU_DEP_1)
	v_lshlrev_b64 v[1:2], 1, v[1:2]
	v_add_co_u32 v1, vcc_lo, s2, v1
	s_delay_alu instid0(VALU_DEP_2) | instskip(SKIP_2) | instid1(SALU_CYCLE_1)
	v_add_co_ci_u32_e32 v2, vcc_lo, s3, v2, vcc_lo
	global_store_b16 v[1:2], v3, off
	s_or_b32 exec_lo, exec_lo, s6
	s_mov_b32 s6, exec_lo
	v_cmpx_gt_i32_e64 s0, v0
	s_cbranch_execnz .LBB104_8
.LBB104_19:
	s_or_b32 exec_lo, exec_lo, s6
	s_delay_alu instid0(SALU_CYCLE_1)
	s_mov_b32 s6, exec_lo
	v_cmpx_gt_i32_e64 s0, v0
	s_cbranch_execz .LBB104_9
.LBB104_20:
	v_dual_mov_b32 v2, 0 :: v_dual_add_nc_u32 v1, s4, v0
	v_dual_mov_b32 v3, s1 :: v_dual_add_nc_u32 v0, 0x100, v0
	s_delay_alu instid0(VALU_DEP_2) | instskip(NEXT) | instid1(VALU_DEP_1)
	v_lshlrev_b64 v[1:2], 1, v[1:2]
	v_add_co_u32 v1, vcc_lo, s2, v1
	s_delay_alu instid0(VALU_DEP_2) | instskip(SKIP_2) | instid1(SALU_CYCLE_1)
	v_add_co_ci_u32_e32 v2, vcc_lo, s3, v2, vcc_lo
	global_store_b16 v[1:2], v3, off
	s_or_b32 exec_lo, exec_lo, s6
	s_mov_b32 s6, exec_lo
	v_cmpx_gt_i32_e64 s0, v0
	s_cbranch_execnz .LBB104_10
.LBB104_21:
	s_or_b32 exec_lo, exec_lo, s6
	s_delay_alu instid0(SALU_CYCLE_1)
	s_mov_b32 s6, exec_lo
	v_cmpx_gt_i32_e64 s0, v0
	s_cbranch_execz .LBB104_11
.LBB104_22:
	v_dual_mov_b32 v2, 0 :: v_dual_add_nc_u32 v1, s4, v0
	v_dual_mov_b32 v3, s1 :: v_dual_add_nc_u32 v0, 0x100, v0
	s_delay_alu instid0(VALU_DEP_2) | instskip(NEXT) | instid1(VALU_DEP_1)
	v_lshlrev_b64 v[1:2], 1, v[1:2]
	v_add_co_u32 v1, vcc_lo, s2, v1
	s_delay_alu instid0(VALU_DEP_2) | instskip(SKIP_2) | instid1(SALU_CYCLE_1)
	v_add_co_ci_u32_e32 v2, vcc_lo, s3, v2, vcc_lo
	global_store_b16 v[1:2], v3, off
	s_or_b32 exec_lo, exec_lo, s6
	s_mov_b32 s6, exec_lo
	v_cmpx_gt_i32_e64 s0, v0
	s_cbranch_execz .LBB104_13
	s_branch .LBB104_12
	.section	.rodata,"a",@progbits
	.p2align	6, 0x0
	.amdhsa_kernel _ZN2at6native29vectorized_elementwise_kernelILi16ENS0_11FillFunctorIN3c108BFloat16EEESt5arrayIPcLm1EEEEviT0_T1_
		.amdhsa_group_segment_fixed_size 0
		.amdhsa_private_segment_fixed_size 0
		.amdhsa_kernarg_size 16
		.amdhsa_user_sgpr_count 15
		.amdhsa_user_sgpr_dispatch_ptr 0
		.amdhsa_user_sgpr_queue_ptr 0
		.amdhsa_user_sgpr_kernarg_segment_ptr 1
		.amdhsa_user_sgpr_dispatch_id 0
		.amdhsa_user_sgpr_private_segment_size 0
		.amdhsa_wavefront_size32 1
		.amdhsa_uses_dynamic_stack 0
		.amdhsa_enable_private_segment 0
		.amdhsa_system_sgpr_workgroup_id_x 1
		.amdhsa_system_sgpr_workgroup_id_y 0
		.amdhsa_system_sgpr_workgroup_id_z 0
		.amdhsa_system_sgpr_workgroup_info 0
		.amdhsa_system_vgpr_workitem_id 0
		.amdhsa_next_free_vgpr 8
		.amdhsa_next_free_sgpr 16
		.amdhsa_reserve_vcc 1
		.amdhsa_float_round_mode_32 0
		.amdhsa_float_round_mode_16_64 0
		.amdhsa_float_denorm_mode_32 3
		.amdhsa_float_denorm_mode_16_64 3
		.amdhsa_dx10_clamp 1
		.amdhsa_ieee_mode 1
		.amdhsa_fp16_overflow 0
		.amdhsa_workgroup_processor_mode 1
		.amdhsa_memory_ordered 1
		.amdhsa_forward_progress 0
		.amdhsa_shared_vgpr_count 0
		.amdhsa_exception_fp_ieee_invalid_op 0
		.amdhsa_exception_fp_denorm_src 0
		.amdhsa_exception_fp_ieee_div_zero 0
		.amdhsa_exception_fp_ieee_overflow 0
		.amdhsa_exception_fp_ieee_underflow 0
		.amdhsa_exception_fp_ieee_inexact 0
		.amdhsa_exception_int_div_zero 0
	.end_amdhsa_kernel
	.section	.text._ZN2at6native29vectorized_elementwise_kernelILi16ENS0_11FillFunctorIN3c108BFloat16EEESt5arrayIPcLm1EEEEviT0_T1_,"axG",@progbits,_ZN2at6native29vectorized_elementwise_kernelILi16ENS0_11FillFunctorIN3c108BFloat16EEESt5arrayIPcLm1EEEEviT0_T1_,comdat
.Lfunc_end104:
	.size	_ZN2at6native29vectorized_elementwise_kernelILi16ENS0_11FillFunctorIN3c108BFloat16EEESt5arrayIPcLm1EEEEviT0_T1_, .Lfunc_end104-_ZN2at6native29vectorized_elementwise_kernelILi16ENS0_11FillFunctorIN3c108BFloat16EEESt5arrayIPcLm1EEEEviT0_T1_
                                        ; -- End function
	.section	.AMDGPU.csdata,"",@progbits
; Kernel info:
; codeLenInByte = 928
; NumSgprs: 18
; NumVgprs: 8
; ScratchSize: 0
; MemoryBound: 0
; FloatMode: 240
; IeeeMode: 1
; LDSByteSize: 0 bytes/workgroup (compile time only)
; SGPRBlocks: 2
; VGPRBlocks: 0
; NumSGPRsForWavesPerEU: 18
; NumVGPRsForWavesPerEU: 8
; Occupancy: 16
; WaveLimiterHint : 0
; COMPUTE_PGM_RSRC2:SCRATCH_EN: 0
; COMPUTE_PGM_RSRC2:USER_SGPR: 15
; COMPUTE_PGM_RSRC2:TRAP_HANDLER: 0
; COMPUTE_PGM_RSRC2:TGID_X_EN: 1
; COMPUTE_PGM_RSRC2:TGID_Y_EN: 0
; COMPUTE_PGM_RSRC2:TGID_Z_EN: 0
; COMPUTE_PGM_RSRC2:TIDIG_COMP_CNT: 0
	.section	.text._ZN2at6native29vectorized_elementwise_kernelILi8ENS0_11FillFunctorIN3c108BFloat16EEESt5arrayIPcLm1EEEEviT0_T1_,"axG",@progbits,_ZN2at6native29vectorized_elementwise_kernelILi8ENS0_11FillFunctorIN3c108BFloat16EEESt5arrayIPcLm1EEEEviT0_T1_,comdat
	.protected	_ZN2at6native29vectorized_elementwise_kernelILi8ENS0_11FillFunctorIN3c108BFloat16EEESt5arrayIPcLm1EEEEviT0_T1_ ; -- Begin function _ZN2at6native29vectorized_elementwise_kernelILi8ENS0_11FillFunctorIN3c108BFloat16EEESt5arrayIPcLm1EEEEviT0_T1_
	.globl	_ZN2at6native29vectorized_elementwise_kernelILi8ENS0_11FillFunctorIN3c108BFloat16EEESt5arrayIPcLm1EEEEviT0_T1_
	.p2align	8
	.type	_ZN2at6native29vectorized_elementwise_kernelILi8ENS0_11FillFunctorIN3c108BFloat16EEESt5arrayIPcLm1EEEEviT0_T1_,@function
_ZN2at6native29vectorized_elementwise_kernelILi8ENS0_11FillFunctorIN3c108BFloat16EEESt5arrayIPcLm1EEEEviT0_T1_: ; @_ZN2at6native29vectorized_elementwise_kernelILi8ENS0_11FillFunctorIN3c108BFloat16EEESt5arrayIPcLm1EEEEviT0_T1_
; %bb.0:
	s_load_b128 s[0:3], s[0:1], 0x0
	s_lshl_b32 s4, s15, 11
	s_waitcnt lgkmcnt(0)
	s_sub_i32 s0, s0, s4
	s_delay_alu instid0(SALU_CYCLE_1)
	s_cmpk_gt_i32 s0, 0x7ff
	s_cbranch_scc0 .LBB105_4
; %bb.1:
	s_ashr_i32 s5, s4, 31
	s_delay_alu instid0(SALU_CYCLE_1) | instskip(SKIP_1) | instid1(SALU_CYCLE_1)
	s_lshl_b64 s[6:7], s[4:5], 1
	s_pack_ll_b32_b16 s5, s1, s1
	v_dual_mov_b32 v3, s5 :: v_dual_lshlrev_b32 v6, 4, v0
	s_add_u32 s8, s2, s6
	s_addc_u32 s9, s3, s7
	v_mov_b32_e32 v7, s1
	s_delay_alu instid0(VALU_DEP_2) | instskip(SKIP_3) | instid1(VALU_DEP_4)
	v_add_co_u32 v1, s5, s8, v6
	v_mov_b32_e32 v4, v3
	v_add_co_ci_u32_e64 v2, null, s9, 0, s5
	v_mov_b32_e32 v5, v3
	v_add_co_u32 v1, vcc_lo, v1, 14
	s_delay_alu instid0(VALU_DEP_3)
	v_add_co_ci_u32_e32 v2, vcc_lo, 0, v2, vcc_lo
	s_mov_b32 s5, -1
	s_clause 0x1
	global_store_b16 v6, v7, s[8:9] offset:12
	global_store_b96 v6, v[3:5], s[8:9]
	s_cbranch_execz .LBB105_5
; %bb.2:
	s_and_saveexec_b32 s0, s5
	s_cbranch_execz .LBB105_16
.LBB105_3:
	v_mov_b32_e32 v0, s1
	global_store_b16 v[1:2], v0, off
	s_nop 0
	s_sendmsg sendmsg(MSG_DEALLOC_VGPRS)
	s_endpgm
.LBB105_4:
	s_mov_b32 s5, 0
                                        ; implicit-def: $vgpr1_vgpr2
.LBB105_5:
	s_mov_b32 s6, exec_lo
	v_cmpx_gt_i32_e64 s0, v0
	s_cbranch_execz .LBB105_17
; %bb.6:
	v_or_b32_e32 v1, s4, v0
	v_dual_mov_b32 v2, 0 :: v_dual_mov_b32 v3, s1
	v_or_b32_e32 v0, 0x100, v0
	s_delay_alu instid0(VALU_DEP_2) | instskip(NEXT) | instid1(VALU_DEP_1)
	v_lshlrev_b64 v[1:2], 1, v[1:2]
	v_add_co_u32 v1, vcc_lo, s2, v1
	s_delay_alu instid0(VALU_DEP_2) | instskip(SKIP_2) | instid1(SALU_CYCLE_1)
	v_add_co_ci_u32_e32 v2, vcc_lo, s3, v2, vcc_lo
	global_store_b16 v[1:2], v3, off
	s_or_b32 exec_lo, exec_lo, s6
	s_mov_b32 s6, exec_lo
	v_cmpx_gt_i32_e64 s0, v0
	s_cbranch_execnz .LBB105_18
.LBB105_7:
	s_or_b32 exec_lo, exec_lo, s6
	s_delay_alu instid0(SALU_CYCLE_1)
	s_mov_b32 s6, exec_lo
	v_cmpx_gt_i32_e64 s0, v0
	s_cbranch_execz .LBB105_19
.LBB105_8:
	v_dual_mov_b32 v2, 0 :: v_dual_add_nc_u32 v1, s4, v0
	v_dual_mov_b32 v3, s1 :: v_dual_add_nc_u32 v0, 0x100, v0
	s_delay_alu instid0(VALU_DEP_2) | instskip(NEXT) | instid1(VALU_DEP_1)
	v_lshlrev_b64 v[1:2], 1, v[1:2]
	v_add_co_u32 v1, vcc_lo, s2, v1
	s_delay_alu instid0(VALU_DEP_2) | instskip(SKIP_2) | instid1(SALU_CYCLE_1)
	v_add_co_ci_u32_e32 v2, vcc_lo, s3, v2, vcc_lo
	global_store_b16 v[1:2], v3, off
	s_or_b32 exec_lo, exec_lo, s6
	s_mov_b32 s6, exec_lo
	v_cmpx_gt_i32_e64 s0, v0
	s_cbranch_execnz .LBB105_20
.LBB105_9:
	s_or_b32 exec_lo, exec_lo, s6
	s_delay_alu instid0(SALU_CYCLE_1)
	s_mov_b32 s6, exec_lo
	v_cmpx_gt_i32_e64 s0, v0
	s_cbranch_execz .LBB105_21
.LBB105_10:
	v_dual_mov_b32 v2, 0 :: v_dual_add_nc_u32 v1, s4, v0
	v_dual_mov_b32 v3, s1 :: v_dual_add_nc_u32 v0, 0x100, v0
	s_delay_alu instid0(VALU_DEP_2) | instskip(NEXT) | instid1(VALU_DEP_1)
	v_lshlrev_b64 v[1:2], 1, v[1:2]
	v_add_co_u32 v1, vcc_lo, s2, v1
	s_delay_alu instid0(VALU_DEP_2) | instskip(SKIP_2) | instid1(SALU_CYCLE_1)
	v_add_co_ci_u32_e32 v2, vcc_lo, s3, v2, vcc_lo
	global_store_b16 v[1:2], v3, off
	s_or_b32 exec_lo, exec_lo, s6
	s_mov_b32 s6, exec_lo
	v_cmpx_gt_i32_e64 s0, v0
	s_cbranch_execnz .LBB105_22
.LBB105_11:
	s_or_b32 exec_lo, exec_lo, s6
	s_delay_alu instid0(SALU_CYCLE_1)
	s_mov_b32 s6, exec_lo
	v_cmpx_gt_i32_e64 s0, v0
	s_cbranch_execz .LBB105_13
.LBB105_12:
	v_dual_mov_b32 v2, 0 :: v_dual_add_nc_u32 v1, s4, v0
	v_dual_mov_b32 v3, s1 :: v_dual_add_nc_u32 v0, 0x100, v0
	s_delay_alu instid0(VALU_DEP_2) | instskip(NEXT) | instid1(VALU_DEP_1)
	v_lshlrev_b64 v[1:2], 1, v[1:2]
	v_add_co_u32 v1, vcc_lo, s2, v1
	s_delay_alu instid0(VALU_DEP_2)
	v_add_co_ci_u32_e32 v2, vcc_lo, s3, v2, vcc_lo
	global_store_b16 v[1:2], v3, off
.LBB105_13:
	s_or_b32 exec_lo, exec_lo, s6
	v_cmp_gt_i32_e32 vcc_lo, s0, v0
                                        ; implicit-def: $vgpr1_vgpr2
	s_and_saveexec_b32 s0, vcc_lo
; %bb.14:
	v_dual_mov_b32 v1, 0 :: v_dual_add_nc_u32 v0, s4, v0
	s_or_b32 s5, s5, exec_lo
	s_delay_alu instid0(VALU_DEP_1) | instskip(NEXT) | instid1(VALU_DEP_1)
	v_lshlrev_b64 v[1:2], 1, v[0:1]
	v_add_co_u32 v1, vcc_lo, s2, v1
	s_delay_alu instid0(VALU_DEP_2)
	v_add_co_ci_u32_e32 v2, vcc_lo, s3, v2, vcc_lo
; %bb.15:
	s_or_b32 exec_lo, exec_lo, s0
	s_and_saveexec_b32 s0, s5
	s_cbranch_execnz .LBB105_3
.LBB105_16:
	s_nop 0
	s_sendmsg sendmsg(MSG_DEALLOC_VGPRS)
	s_endpgm
.LBB105_17:
	s_or_b32 exec_lo, exec_lo, s6
	s_delay_alu instid0(SALU_CYCLE_1)
	s_mov_b32 s6, exec_lo
	v_cmpx_gt_i32_e64 s0, v0
	s_cbranch_execz .LBB105_7
.LBB105_18:
	v_dual_mov_b32 v2, 0 :: v_dual_add_nc_u32 v1, s4, v0
	v_dual_mov_b32 v3, s1 :: v_dual_add_nc_u32 v0, 0x100, v0
	s_delay_alu instid0(VALU_DEP_2) | instskip(NEXT) | instid1(VALU_DEP_1)
	v_lshlrev_b64 v[1:2], 1, v[1:2]
	v_add_co_u32 v1, vcc_lo, s2, v1
	s_delay_alu instid0(VALU_DEP_2) | instskip(SKIP_2) | instid1(SALU_CYCLE_1)
	v_add_co_ci_u32_e32 v2, vcc_lo, s3, v2, vcc_lo
	global_store_b16 v[1:2], v3, off
	s_or_b32 exec_lo, exec_lo, s6
	s_mov_b32 s6, exec_lo
	v_cmpx_gt_i32_e64 s0, v0
	s_cbranch_execnz .LBB105_8
.LBB105_19:
	s_or_b32 exec_lo, exec_lo, s6
	s_delay_alu instid0(SALU_CYCLE_1)
	s_mov_b32 s6, exec_lo
	v_cmpx_gt_i32_e64 s0, v0
	s_cbranch_execz .LBB105_9
.LBB105_20:
	v_dual_mov_b32 v2, 0 :: v_dual_add_nc_u32 v1, s4, v0
	v_dual_mov_b32 v3, s1 :: v_dual_add_nc_u32 v0, 0x100, v0
	s_delay_alu instid0(VALU_DEP_2) | instskip(NEXT) | instid1(VALU_DEP_1)
	v_lshlrev_b64 v[1:2], 1, v[1:2]
	v_add_co_u32 v1, vcc_lo, s2, v1
	s_delay_alu instid0(VALU_DEP_2) | instskip(SKIP_2) | instid1(SALU_CYCLE_1)
	v_add_co_ci_u32_e32 v2, vcc_lo, s3, v2, vcc_lo
	global_store_b16 v[1:2], v3, off
	s_or_b32 exec_lo, exec_lo, s6
	s_mov_b32 s6, exec_lo
	v_cmpx_gt_i32_e64 s0, v0
	s_cbranch_execnz .LBB105_10
.LBB105_21:
	s_or_b32 exec_lo, exec_lo, s6
	s_delay_alu instid0(SALU_CYCLE_1)
	s_mov_b32 s6, exec_lo
	v_cmpx_gt_i32_e64 s0, v0
	s_cbranch_execz .LBB105_11
.LBB105_22:
	v_dual_mov_b32 v2, 0 :: v_dual_add_nc_u32 v1, s4, v0
	v_dual_mov_b32 v3, s1 :: v_dual_add_nc_u32 v0, 0x100, v0
	s_delay_alu instid0(VALU_DEP_2) | instskip(NEXT) | instid1(VALU_DEP_1)
	v_lshlrev_b64 v[1:2], 1, v[1:2]
	v_add_co_u32 v1, vcc_lo, s2, v1
	s_delay_alu instid0(VALU_DEP_2) | instskip(SKIP_2) | instid1(SALU_CYCLE_1)
	v_add_co_ci_u32_e32 v2, vcc_lo, s3, v2, vcc_lo
	global_store_b16 v[1:2], v3, off
	s_or_b32 exec_lo, exec_lo, s6
	s_mov_b32 s6, exec_lo
	v_cmpx_gt_i32_e64 s0, v0
	s_cbranch_execz .LBB105_13
	s_branch .LBB105_12
	.section	.rodata,"a",@progbits
	.p2align	6, 0x0
	.amdhsa_kernel _ZN2at6native29vectorized_elementwise_kernelILi8ENS0_11FillFunctorIN3c108BFloat16EEESt5arrayIPcLm1EEEEviT0_T1_
		.amdhsa_group_segment_fixed_size 0
		.amdhsa_private_segment_fixed_size 0
		.amdhsa_kernarg_size 16
		.amdhsa_user_sgpr_count 15
		.amdhsa_user_sgpr_dispatch_ptr 0
		.amdhsa_user_sgpr_queue_ptr 0
		.amdhsa_user_sgpr_kernarg_segment_ptr 1
		.amdhsa_user_sgpr_dispatch_id 0
		.amdhsa_user_sgpr_private_segment_size 0
		.amdhsa_wavefront_size32 1
		.amdhsa_uses_dynamic_stack 0
		.amdhsa_enable_private_segment 0
		.amdhsa_system_sgpr_workgroup_id_x 1
		.amdhsa_system_sgpr_workgroup_id_y 0
		.amdhsa_system_sgpr_workgroup_id_z 0
		.amdhsa_system_sgpr_workgroup_info 0
		.amdhsa_system_vgpr_workitem_id 0
		.amdhsa_next_free_vgpr 8
		.amdhsa_next_free_sgpr 16
		.amdhsa_reserve_vcc 1
		.amdhsa_float_round_mode_32 0
		.amdhsa_float_round_mode_16_64 0
		.amdhsa_float_denorm_mode_32 3
		.amdhsa_float_denorm_mode_16_64 3
		.amdhsa_dx10_clamp 1
		.amdhsa_ieee_mode 1
		.amdhsa_fp16_overflow 0
		.amdhsa_workgroup_processor_mode 1
		.amdhsa_memory_ordered 1
		.amdhsa_forward_progress 0
		.amdhsa_shared_vgpr_count 0
		.amdhsa_exception_fp_ieee_invalid_op 0
		.amdhsa_exception_fp_denorm_src 0
		.amdhsa_exception_fp_ieee_div_zero 0
		.amdhsa_exception_fp_ieee_overflow 0
		.amdhsa_exception_fp_ieee_underflow 0
		.amdhsa_exception_fp_ieee_inexact 0
		.amdhsa_exception_int_div_zero 0
	.end_amdhsa_kernel
	.section	.text._ZN2at6native29vectorized_elementwise_kernelILi8ENS0_11FillFunctorIN3c108BFloat16EEESt5arrayIPcLm1EEEEviT0_T1_,"axG",@progbits,_ZN2at6native29vectorized_elementwise_kernelILi8ENS0_11FillFunctorIN3c108BFloat16EEESt5arrayIPcLm1EEEEviT0_T1_,comdat
.Lfunc_end105:
	.size	_ZN2at6native29vectorized_elementwise_kernelILi8ENS0_11FillFunctorIN3c108BFloat16EEESt5arrayIPcLm1EEEEviT0_T1_, .Lfunc_end105-_ZN2at6native29vectorized_elementwise_kernelILi8ENS0_11FillFunctorIN3c108BFloat16EEESt5arrayIPcLm1EEEEviT0_T1_
                                        ; -- End function
	.section	.AMDGPU.csdata,"",@progbits
; Kernel info:
; codeLenInByte = 928
; NumSgprs: 18
; NumVgprs: 8
; ScratchSize: 0
; MemoryBound: 0
; FloatMode: 240
; IeeeMode: 1
; LDSByteSize: 0 bytes/workgroup (compile time only)
; SGPRBlocks: 2
; VGPRBlocks: 0
; NumSGPRsForWavesPerEU: 18
; NumVGPRsForWavesPerEU: 8
; Occupancy: 16
; WaveLimiterHint : 0
; COMPUTE_PGM_RSRC2:SCRATCH_EN: 0
; COMPUTE_PGM_RSRC2:USER_SGPR: 15
; COMPUTE_PGM_RSRC2:TRAP_HANDLER: 0
; COMPUTE_PGM_RSRC2:TGID_X_EN: 1
; COMPUTE_PGM_RSRC2:TGID_Y_EN: 0
; COMPUTE_PGM_RSRC2:TGID_Z_EN: 0
; COMPUTE_PGM_RSRC2:TIDIG_COMP_CNT: 0
	.section	.text._ZN2at6native29vectorized_elementwise_kernelILi4ENS0_11FillFunctorIN3c108BFloat16EEESt5arrayIPcLm1EEEEviT0_T1_,"axG",@progbits,_ZN2at6native29vectorized_elementwise_kernelILi4ENS0_11FillFunctorIN3c108BFloat16EEESt5arrayIPcLm1EEEEviT0_T1_,comdat
	.protected	_ZN2at6native29vectorized_elementwise_kernelILi4ENS0_11FillFunctorIN3c108BFloat16EEESt5arrayIPcLm1EEEEviT0_T1_ ; -- Begin function _ZN2at6native29vectorized_elementwise_kernelILi4ENS0_11FillFunctorIN3c108BFloat16EEESt5arrayIPcLm1EEEEviT0_T1_
	.globl	_ZN2at6native29vectorized_elementwise_kernelILi4ENS0_11FillFunctorIN3c108BFloat16EEESt5arrayIPcLm1EEEEviT0_T1_
	.p2align	8
	.type	_ZN2at6native29vectorized_elementwise_kernelILi4ENS0_11FillFunctorIN3c108BFloat16EEESt5arrayIPcLm1EEEEviT0_T1_,@function
_ZN2at6native29vectorized_elementwise_kernelILi4ENS0_11FillFunctorIN3c108BFloat16EEESt5arrayIPcLm1EEEEviT0_T1_: ; @_ZN2at6native29vectorized_elementwise_kernelILi4ENS0_11FillFunctorIN3c108BFloat16EEESt5arrayIPcLm1EEEEviT0_T1_
; %bb.0:
	s_load_b128 s[0:3], s[0:1], 0x0
	s_lshl_b32 s4, s15, 11
	s_mov_b32 s5, -1
	s_waitcnt lgkmcnt(0)
	s_sub_i32 s0, s0, s4
	s_delay_alu instid0(SALU_CYCLE_1)
	s_cmpk_gt_i32 s0, 0x7ff
	s_cbranch_scc0 .LBB106_2
; %bb.1:
	s_ashr_i32 s5, s4, 31
	s_delay_alu instid0(SALU_CYCLE_1) | instskip(NEXT) | instid1(SALU_CYCLE_1)
	s_lshl_b64 s[6:7], s[4:5], 1
	s_add_u32 s6, s2, s6
	s_addc_u32 s7, s3, s7
	s_and_b32 s5, 0xffff, s1
	s_delay_alu instid0(SALU_CYCLE_1)
	s_mul_i32 s8, s5, 0x10001
	s_mov_b32 s5, 0
	s_mov_b32 s9, s8
	v_mov_b32_e32 v1, s8
	v_dual_mov_b32 v2, s9 :: v_dual_lshlrev_b32 v3, 3, v0
	s_clause 0x1
	global_store_b64 v3, v[1:2], s[6:7]
	global_store_b64 v3, v[1:2], s[6:7] offset:2048
.LBB106_2:
	s_and_not1_b32 vcc_lo, exec_lo, s5
	s_cbranch_vccnz .LBB106_12
; %bb.3:
	s_mov_b32 s5, exec_lo
	v_cmpx_gt_i32_e64 s0, v0
	s_cbranch_execnz .LBB106_13
; %bb.4:
	s_or_b32 exec_lo, exec_lo, s5
	s_delay_alu instid0(SALU_CYCLE_1)
	s_mov_b32 s5, exec_lo
	v_cmpx_gt_i32_e64 s0, v0
	s_cbranch_execnz .LBB106_14
.LBB106_5:
	s_or_b32 exec_lo, exec_lo, s5
	s_delay_alu instid0(SALU_CYCLE_1)
	s_mov_b32 s5, exec_lo
	v_cmpx_gt_i32_e64 s0, v0
	s_cbranch_execnz .LBB106_15
.LBB106_6:
	s_or_b32 exec_lo, exec_lo, s5
	s_delay_alu instid0(SALU_CYCLE_1)
	s_mov_b32 s5, exec_lo
	v_cmpx_gt_i32_e64 s0, v0
	s_cbranch_execnz .LBB106_16
.LBB106_7:
	s_or_b32 exec_lo, exec_lo, s5
	s_delay_alu instid0(SALU_CYCLE_1)
	s_mov_b32 s5, exec_lo
	v_cmpx_gt_i32_e64 s0, v0
	s_cbranch_execnz .LBB106_17
.LBB106_8:
	s_or_b32 exec_lo, exec_lo, s5
	s_delay_alu instid0(SALU_CYCLE_1)
	s_mov_b32 s5, exec_lo
	v_cmpx_gt_i32_e64 s0, v0
	s_cbranch_execnz .LBB106_18
.LBB106_9:
	s_or_b32 exec_lo, exec_lo, s5
	s_delay_alu instid0(SALU_CYCLE_1)
	s_mov_b32 s5, exec_lo
	v_cmpx_gt_i32_e64 s0, v0
	s_cbranch_execnz .LBB106_19
.LBB106_10:
	s_or_b32 exec_lo, exec_lo, s5
	v_cmp_gt_i32_e32 vcc_lo, s0, v0
	s_and_saveexec_b32 s0, vcc_lo
	s_cbranch_execz .LBB106_12
.LBB106_11:
	v_dual_mov_b32 v1, 0 :: v_dual_add_nc_u32 v0, s4, v0
	v_mov_b32_e32 v2, s1
	s_delay_alu instid0(VALU_DEP_2) | instskip(NEXT) | instid1(VALU_DEP_1)
	v_lshlrev_b64 v[0:1], 1, v[0:1]
	v_add_co_u32 v0, vcc_lo, s2, v0
	s_delay_alu instid0(VALU_DEP_2)
	v_add_co_ci_u32_e32 v1, vcc_lo, s3, v1, vcc_lo
	global_store_b16 v[0:1], v2, off
.LBB106_12:
	s_nop 0
	s_sendmsg sendmsg(MSG_DEALLOC_VGPRS)
	s_endpgm
.LBB106_13:
	v_or_b32_e32 v1, s4, v0
	v_dual_mov_b32 v2, 0 :: v_dual_mov_b32 v3, s1
	v_or_b32_e32 v0, 0x100, v0
	s_delay_alu instid0(VALU_DEP_2) | instskip(NEXT) | instid1(VALU_DEP_1)
	v_lshlrev_b64 v[1:2], 1, v[1:2]
	v_add_co_u32 v1, vcc_lo, s2, v1
	s_delay_alu instid0(VALU_DEP_2) | instskip(SKIP_2) | instid1(SALU_CYCLE_1)
	v_add_co_ci_u32_e32 v2, vcc_lo, s3, v2, vcc_lo
	global_store_b16 v[1:2], v3, off
	s_or_b32 exec_lo, exec_lo, s5
	s_mov_b32 s5, exec_lo
	v_cmpx_gt_i32_e64 s0, v0
	s_cbranch_execz .LBB106_5
.LBB106_14:
	v_dual_mov_b32 v2, 0 :: v_dual_add_nc_u32 v1, s4, v0
	v_dual_mov_b32 v3, s1 :: v_dual_add_nc_u32 v0, 0x100, v0
	s_delay_alu instid0(VALU_DEP_2) | instskip(NEXT) | instid1(VALU_DEP_1)
	v_lshlrev_b64 v[1:2], 1, v[1:2]
	v_add_co_u32 v1, vcc_lo, s2, v1
	s_delay_alu instid0(VALU_DEP_2) | instskip(SKIP_2) | instid1(SALU_CYCLE_1)
	v_add_co_ci_u32_e32 v2, vcc_lo, s3, v2, vcc_lo
	global_store_b16 v[1:2], v3, off
	s_or_b32 exec_lo, exec_lo, s5
	s_mov_b32 s5, exec_lo
	v_cmpx_gt_i32_e64 s0, v0
	s_cbranch_execz .LBB106_6
.LBB106_15:
	v_dual_mov_b32 v2, 0 :: v_dual_add_nc_u32 v1, s4, v0
	v_dual_mov_b32 v3, s1 :: v_dual_add_nc_u32 v0, 0x100, v0
	s_delay_alu instid0(VALU_DEP_2) | instskip(NEXT) | instid1(VALU_DEP_1)
	v_lshlrev_b64 v[1:2], 1, v[1:2]
	v_add_co_u32 v1, vcc_lo, s2, v1
	s_delay_alu instid0(VALU_DEP_2) | instskip(SKIP_2) | instid1(SALU_CYCLE_1)
	v_add_co_ci_u32_e32 v2, vcc_lo, s3, v2, vcc_lo
	global_store_b16 v[1:2], v3, off
	s_or_b32 exec_lo, exec_lo, s5
	s_mov_b32 s5, exec_lo
	v_cmpx_gt_i32_e64 s0, v0
	s_cbranch_execz .LBB106_7
.LBB106_16:
	v_dual_mov_b32 v2, 0 :: v_dual_add_nc_u32 v1, s4, v0
	v_dual_mov_b32 v3, s1 :: v_dual_add_nc_u32 v0, 0x100, v0
	s_delay_alu instid0(VALU_DEP_2) | instskip(NEXT) | instid1(VALU_DEP_1)
	v_lshlrev_b64 v[1:2], 1, v[1:2]
	v_add_co_u32 v1, vcc_lo, s2, v1
	s_delay_alu instid0(VALU_DEP_2) | instskip(SKIP_2) | instid1(SALU_CYCLE_1)
	v_add_co_ci_u32_e32 v2, vcc_lo, s3, v2, vcc_lo
	global_store_b16 v[1:2], v3, off
	s_or_b32 exec_lo, exec_lo, s5
	s_mov_b32 s5, exec_lo
	v_cmpx_gt_i32_e64 s0, v0
	s_cbranch_execz .LBB106_8
.LBB106_17:
	v_dual_mov_b32 v2, 0 :: v_dual_add_nc_u32 v1, s4, v0
	v_dual_mov_b32 v3, s1 :: v_dual_add_nc_u32 v0, 0x100, v0
	s_delay_alu instid0(VALU_DEP_2) | instskip(NEXT) | instid1(VALU_DEP_1)
	v_lshlrev_b64 v[1:2], 1, v[1:2]
	v_add_co_u32 v1, vcc_lo, s2, v1
	s_delay_alu instid0(VALU_DEP_2) | instskip(SKIP_2) | instid1(SALU_CYCLE_1)
	v_add_co_ci_u32_e32 v2, vcc_lo, s3, v2, vcc_lo
	global_store_b16 v[1:2], v3, off
	s_or_b32 exec_lo, exec_lo, s5
	s_mov_b32 s5, exec_lo
	v_cmpx_gt_i32_e64 s0, v0
	s_cbranch_execz .LBB106_9
.LBB106_18:
	v_dual_mov_b32 v2, 0 :: v_dual_add_nc_u32 v1, s4, v0
	v_dual_mov_b32 v3, s1 :: v_dual_add_nc_u32 v0, 0x100, v0
	s_delay_alu instid0(VALU_DEP_2) | instskip(NEXT) | instid1(VALU_DEP_1)
	v_lshlrev_b64 v[1:2], 1, v[1:2]
	v_add_co_u32 v1, vcc_lo, s2, v1
	s_delay_alu instid0(VALU_DEP_2) | instskip(SKIP_2) | instid1(SALU_CYCLE_1)
	v_add_co_ci_u32_e32 v2, vcc_lo, s3, v2, vcc_lo
	global_store_b16 v[1:2], v3, off
	s_or_b32 exec_lo, exec_lo, s5
	s_mov_b32 s5, exec_lo
	v_cmpx_gt_i32_e64 s0, v0
	s_cbranch_execz .LBB106_10
.LBB106_19:
	v_dual_mov_b32 v2, 0 :: v_dual_add_nc_u32 v1, s4, v0
	v_dual_mov_b32 v3, s1 :: v_dual_add_nc_u32 v0, 0x100, v0
	s_delay_alu instid0(VALU_DEP_2) | instskip(NEXT) | instid1(VALU_DEP_1)
	v_lshlrev_b64 v[1:2], 1, v[1:2]
	v_add_co_u32 v1, vcc_lo, s2, v1
	s_delay_alu instid0(VALU_DEP_2)
	v_add_co_ci_u32_e32 v2, vcc_lo, s3, v2, vcc_lo
	global_store_b16 v[1:2], v3, off
	s_or_b32 exec_lo, exec_lo, s5
	v_cmp_gt_i32_e32 vcc_lo, s0, v0
	s_and_saveexec_b32 s0, vcc_lo
	s_cbranch_execnz .LBB106_11
	s_branch .LBB106_12
	.section	.rodata,"a",@progbits
	.p2align	6, 0x0
	.amdhsa_kernel _ZN2at6native29vectorized_elementwise_kernelILi4ENS0_11FillFunctorIN3c108BFloat16EEESt5arrayIPcLm1EEEEviT0_T1_
		.amdhsa_group_segment_fixed_size 0
		.amdhsa_private_segment_fixed_size 0
		.amdhsa_kernarg_size 16
		.amdhsa_user_sgpr_count 15
		.amdhsa_user_sgpr_dispatch_ptr 0
		.amdhsa_user_sgpr_queue_ptr 0
		.amdhsa_user_sgpr_kernarg_segment_ptr 1
		.amdhsa_user_sgpr_dispatch_id 0
		.amdhsa_user_sgpr_private_segment_size 0
		.amdhsa_wavefront_size32 1
		.amdhsa_uses_dynamic_stack 0
		.amdhsa_enable_private_segment 0
		.amdhsa_system_sgpr_workgroup_id_x 1
		.amdhsa_system_sgpr_workgroup_id_y 0
		.amdhsa_system_sgpr_workgroup_id_z 0
		.amdhsa_system_sgpr_workgroup_info 0
		.amdhsa_system_vgpr_workitem_id 0
		.amdhsa_next_free_vgpr 4
		.amdhsa_next_free_sgpr 16
		.amdhsa_reserve_vcc 1
		.amdhsa_float_round_mode_32 0
		.amdhsa_float_round_mode_16_64 0
		.amdhsa_float_denorm_mode_32 3
		.amdhsa_float_denorm_mode_16_64 3
		.amdhsa_dx10_clamp 1
		.amdhsa_ieee_mode 1
		.amdhsa_fp16_overflow 0
		.amdhsa_workgroup_processor_mode 1
		.amdhsa_memory_ordered 1
		.amdhsa_forward_progress 0
		.amdhsa_shared_vgpr_count 0
		.amdhsa_exception_fp_ieee_invalid_op 0
		.amdhsa_exception_fp_denorm_src 0
		.amdhsa_exception_fp_ieee_div_zero 0
		.amdhsa_exception_fp_ieee_overflow 0
		.amdhsa_exception_fp_ieee_underflow 0
		.amdhsa_exception_fp_ieee_inexact 0
		.amdhsa_exception_int_div_zero 0
	.end_amdhsa_kernel
	.section	.text._ZN2at6native29vectorized_elementwise_kernelILi4ENS0_11FillFunctorIN3c108BFloat16EEESt5arrayIPcLm1EEEEviT0_T1_,"axG",@progbits,_ZN2at6native29vectorized_elementwise_kernelILi4ENS0_11FillFunctorIN3c108BFloat16EEESt5arrayIPcLm1EEEEviT0_T1_,comdat
.Lfunc_end106:
	.size	_ZN2at6native29vectorized_elementwise_kernelILi4ENS0_11FillFunctorIN3c108BFloat16EEESt5arrayIPcLm1EEEEviT0_T1_, .Lfunc_end106-_ZN2at6native29vectorized_elementwise_kernelILi4ENS0_11FillFunctorIN3c108BFloat16EEESt5arrayIPcLm1EEEEviT0_T1_
                                        ; -- End function
	.section	.AMDGPU.csdata,"",@progbits
; Kernel info:
; codeLenInByte = 892
; NumSgprs: 18
; NumVgprs: 4
; ScratchSize: 0
; MemoryBound: 0
; FloatMode: 240
; IeeeMode: 1
; LDSByteSize: 0 bytes/workgroup (compile time only)
; SGPRBlocks: 2
; VGPRBlocks: 0
; NumSGPRsForWavesPerEU: 18
; NumVGPRsForWavesPerEU: 4
; Occupancy: 16
; WaveLimiterHint : 1
; COMPUTE_PGM_RSRC2:SCRATCH_EN: 0
; COMPUTE_PGM_RSRC2:USER_SGPR: 15
; COMPUTE_PGM_RSRC2:TRAP_HANDLER: 0
; COMPUTE_PGM_RSRC2:TGID_X_EN: 1
; COMPUTE_PGM_RSRC2:TGID_Y_EN: 0
; COMPUTE_PGM_RSRC2:TGID_Z_EN: 0
; COMPUTE_PGM_RSRC2:TIDIG_COMP_CNT: 0
	.section	.text._ZN2at6native29vectorized_elementwise_kernelILi2ENS0_11FillFunctorIN3c108BFloat16EEESt5arrayIPcLm1EEEEviT0_T1_,"axG",@progbits,_ZN2at6native29vectorized_elementwise_kernelILi2ENS0_11FillFunctorIN3c108BFloat16EEESt5arrayIPcLm1EEEEviT0_T1_,comdat
	.protected	_ZN2at6native29vectorized_elementwise_kernelILi2ENS0_11FillFunctorIN3c108BFloat16EEESt5arrayIPcLm1EEEEviT0_T1_ ; -- Begin function _ZN2at6native29vectorized_elementwise_kernelILi2ENS0_11FillFunctorIN3c108BFloat16EEESt5arrayIPcLm1EEEEviT0_T1_
	.globl	_ZN2at6native29vectorized_elementwise_kernelILi2ENS0_11FillFunctorIN3c108BFloat16EEESt5arrayIPcLm1EEEEviT0_T1_
	.p2align	8
	.type	_ZN2at6native29vectorized_elementwise_kernelILi2ENS0_11FillFunctorIN3c108BFloat16EEESt5arrayIPcLm1EEEEviT0_T1_,@function
_ZN2at6native29vectorized_elementwise_kernelILi2ENS0_11FillFunctorIN3c108BFloat16EEESt5arrayIPcLm1EEEEviT0_T1_: ; @_ZN2at6native29vectorized_elementwise_kernelILi2ENS0_11FillFunctorIN3c108BFloat16EEESt5arrayIPcLm1EEEEviT0_T1_
; %bb.0:
	s_load_b128 s[0:3], s[0:1], 0x0
	s_lshl_b32 s4, s15, 11
	s_mov_b32 s5, -1
	s_waitcnt lgkmcnt(0)
	s_sub_i32 s0, s0, s4
	s_delay_alu instid0(SALU_CYCLE_1)
	s_cmpk_gt_i32 s0, 0x7ff
	s_cbranch_scc0 .LBB107_2
; %bb.1:
	s_ashr_i32 s5, s4, 31
	s_delay_alu instid0(SALU_CYCLE_1) | instskip(NEXT) | instid1(SALU_CYCLE_1)
	s_lshl_b64 s[6:7], s[4:5], 1
	s_add_u32 s6, s2, s6
	s_addc_u32 s7, s3, s7
	s_and_b32 s5, 0xffff, s1
	s_delay_alu instid0(SALU_CYCLE_1) | instskip(NEXT) | instid1(SALU_CYCLE_1)
	s_mul_i32 s5, s5, 0x10001
	v_dual_mov_b32 v2, s5 :: v_dual_lshlrev_b32 v1, 2, v0
	s_mov_b32 s5, 0
	s_clause 0x3
	global_store_b32 v1, v2, s[6:7]
	global_store_b32 v1, v2, s[6:7] offset:1024
	global_store_b32 v1, v2, s[6:7] offset:2048
	;; [unrolled: 1-line block ×3, first 2 shown]
.LBB107_2:
	s_and_not1_b32 vcc_lo, exec_lo, s5
	s_cbranch_vccnz .LBB107_12
; %bb.3:
	s_mov_b32 s5, exec_lo
	v_cmpx_gt_i32_e64 s0, v0
	s_cbranch_execnz .LBB107_13
; %bb.4:
	s_or_b32 exec_lo, exec_lo, s5
	s_delay_alu instid0(SALU_CYCLE_1)
	s_mov_b32 s5, exec_lo
	v_cmpx_gt_i32_e64 s0, v0
	s_cbranch_execnz .LBB107_14
.LBB107_5:
	s_or_b32 exec_lo, exec_lo, s5
	s_delay_alu instid0(SALU_CYCLE_1)
	s_mov_b32 s5, exec_lo
	v_cmpx_gt_i32_e64 s0, v0
	s_cbranch_execnz .LBB107_15
.LBB107_6:
	s_or_b32 exec_lo, exec_lo, s5
	s_delay_alu instid0(SALU_CYCLE_1)
	s_mov_b32 s5, exec_lo
	v_cmpx_gt_i32_e64 s0, v0
	s_cbranch_execnz .LBB107_16
.LBB107_7:
	s_or_b32 exec_lo, exec_lo, s5
	s_delay_alu instid0(SALU_CYCLE_1)
	s_mov_b32 s5, exec_lo
	v_cmpx_gt_i32_e64 s0, v0
	s_cbranch_execnz .LBB107_17
.LBB107_8:
	s_or_b32 exec_lo, exec_lo, s5
	s_delay_alu instid0(SALU_CYCLE_1)
	s_mov_b32 s5, exec_lo
	v_cmpx_gt_i32_e64 s0, v0
	s_cbranch_execnz .LBB107_18
.LBB107_9:
	s_or_b32 exec_lo, exec_lo, s5
	s_delay_alu instid0(SALU_CYCLE_1)
	s_mov_b32 s5, exec_lo
	v_cmpx_gt_i32_e64 s0, v0
	s_cbranch_execnz .LBB107_19
.LBB107_10:
	s_or_b32 exec_lo, exec_lo, s5
	v_cmp_gt_i32_e32 vcc_lo, s0, v0
	s_and_saveexec_b32 s0, vcc_lo
	s_cbranch_execz .LBB107_12
.LBB107_11:
	v_dual_mov_b32 v1, 0 :: v_dual_add_nc_u32 v0, s4, v0
	v_mov_b32_e32 v2, s1
	s_delay_alu instid0(VALU_DEP_2) | instskip(NEXT) | instid1(VALU_DEP_1)
	v_lshlrev_b64 v[0:1], 1, v[0:1]
	v_add_co_u32 v0, vcc_lo, s2, v0
	s_delay_alu instid0(VALU_DEP_2)
	v_add_co_ci_u32_e32 v1, vcc_lo, s3, v1, vcc_lo
	global_store_b16 v[0:1], v2, off
.LBB107_12:
	s_nop 0
	s_sendmsg sendmsg(MSG_DEALLOC_VGPRS)
	s_endpgm
.LBB107_13:
	v_or_b32_e32 v1, s4, v0
	v_dual_mov_b32 v2, 0 :: v_dual_mov_b32 v3, s1
	v_or_b32_e32 v0, 0x100, v0
	s_delay_alu instid0(VALU_DEP_2) | instskip(NEXT) | instid1(VALU_DEP_1)
	v_lshlrev_b64 v[1:2], 1, v[1:2]
	v_add_co_u32 v1, vcc_lo, s2, v1
	s_delay_alu instid0(VALU_DEP_2) | instskip(SKIP_2) | instid1(SALU_CYCLE_1)
	v_add_co_ci_u32_e32 v2, vcc_lo, s3, v2, vcc_lo
	global_store_b16 v[1:2], v3, off
	s_or_b32 exec_lo, exec_lo, s5
	s_mov_b32 s5, exec_lo
	v_cmpx_gt_i32_e64 s0, v0
	s_cbranch_execz .LBB107_5
.LBB107_14:
	v_dual_mov_b32 v2, 0 :: v_dual_add_nc_u32 v1, s4, v0
	v_dual_mov_b32 v3, s1 :: v_dual_add_nc_u32 v0, 0x100, v0
	s_delay_alu instid0(VALU_DEP_2) | instskip(NEXT) | instid1(VALU_DEP_1)
	v_lshlrev_b64 v[1:2], 1, v[1:2]
	v_add_co_u32 v1, vcc_lo, s2, v1
	s_delay_alu instid0(VALU_DEP_2) | instskip(SKIP_2) | instid1(SALU_CYCLE_1)
	v_add_co_ci_u32_e32 v2, vcc_lo, s3, v2, vcc_lo
	global_store_b16 v[1:2], v3, off
	s_or_b32 exec_lo, exec_lo, s5
	s_mov_b32 s5, exec_lo
	v_cmpx_gt_i32_e64 s0, v0
	s_cbranch_execz .LBB107_6
.LBB107_15:
	v_dual_mov_b32 v2, 0 :: v_dual_add_nc_u32 v1, s4, v0
	v_dual_mov_b32 v3, s1 :: v_dual_add_nc_u32 v0, 0x100, v0
	s_delay_alu instid0(VALU_DEP_2) | instskip(NEXT) | instid1(VALU_DEP_1)
	v_lshlrev_b64 v[1:2], 1, v[1:2]
	v_add_co_u32 v1, vcc_lo, s2, v1
	s_delay_alu instid0(VALU_DEP_2) | instskip(SKIP_2) | instid1(SALU_CYCLE_1)
	v_add_co_ci_u32_e32 v2, vcc_lo, s3, v2, vcc_lo
	global_store_b16 v[1:2], v3, off
	s_or_b32 exec_lo, exec_lo, s5
	s_mov_b32 s5, exec_lo
	v_cmpx_gt_i32_e64 s0, v0
	s_cbranch_execz .LBB107_7
.LBB107_16:
	v_dual_mov_b32 v2, 0 :: v_dual_add_nc_u32 v1, s4, v0
	v_dual_mov_b32 v3, s1 :: v_dual_add_nc_u32 v0, 0x100, v0
	s_delay_alu instid0(VALU_DEP_2) | instskip(NEXT) | instid1(VALU_DEP_1)
	v_lshlrev_b64 v[1:2], 1, v[1:2]
	v_add_co_u32 v1, vcc_lo, s2, v1
	s_delay_alu instid0(VALU_DEP_2) | instskip(SKIP_2) | instid1(SALU_CYCLE_1)
	v_add_co_ci_u32_e32 v2, vcc_lo, s3, v2, vcc_lo
	global_store_b16 v[1:2], v3, off
	s_or_b32 exec_lo, exec_lo, s5
	s_mov_b32 s5, exec_lo
	v_cmpx_gt_i32_e64 s0, v0
	s_cbranch_execz .LBB107_8
.LBB107_17:
	v_dual_mov_b32 v2, 0 :: v_dual_add_nc_u32 v1, s4, v0
	v_dual_mov_b32 v3, s1 :: v_dual_add_nc_u32 v0, 0x100, v0
	s_delay_alu instid0(VALU_DEP_2) | instskip(NEXT) | instid1(VALU_DEP_1)
	v_lshlrev_b64 v[1:2], 1, v[1:2]
	v_add_co_u32 v1, vcc_lo, s2, v1
	s_delay_alu instid0(VALU_DEP_2) | instskip(SKIP_2) | instid1(SALU_CYCLE_1)
	v_add_co_ci_u32_e32 v2, vcc_lo, s3, v2, vcc_lo
	global_store_b16 v[1:2], v3, off
	s_or_b32 exec_lo, exec_lo, s5
	s_mov_b32 s5, exec_lo
	v_cmpx_gt_i32_e64 s0, v0
	s_cbranch_execz .LBB107_9
.LBB107_18:
	v_dual_mov_b32 v2, 0 :: v_dual_add_nc_u32 v1, s4, v0
	v_dual_mov_b32 v3, s1 :: v_dual_add_nc_u32 v0, 0x100, v0
	s_delay_alu instid0(VALU_DEP_2) | instskip(NEXT) | instid1(VALU_DEP_1)
	v_lshlrev_b64 v[1:2], 1, v[1:2]
	v_add_co_u32 v1, vcc_lo, s2, v1
	s_delay_alu instid0(VALU_DEP_2) | instskip(SKIP_2) | instid1(SALU_CYCLE_1)
	v_add_co_ci_u32_e32 v2, vcc_lo, s3, v2, vcc_lo
	global_store_b16 v[1:2], v3, off
	s_or_b32 exec_lo, exec_lo, s5
	s_mov_b32 s5, exec_lo
	v_cmpx_gt_i32_e64 s0, v0
	s_cbranch_execz .LBB107_10
.LBB107_19:
	v_dual_mov_b32 v2, 0 :: v_dual_add_nc_u32 v1, s4, v0
	v_dual_mov_b32 v3, s1 :: v_dual_add_nc_u32 v0, 0x100, v0
	s_delay_alu instid0(VALU_DEP_2) | instskip(NEXT) | instid1(VALU_DEP_1)
	v_lshlrev_b64 v[1:2], 1, v[1:2]
	v_add_co_u32 v1, vcc_lo, s2, v1
	s_delay_alu instid0(VALU_DEP_2)
	v_add_co_ci_u32_e32 v2, vcc_lo, s3, v2, vcc_lo
	global_store_b16 v[1:2], v3, off
	s_or_b32 exec_lo, exec_lo, s5
	v_cmp_gt_i32_e32 vcc_lo, s0, v0
	s_and_saveexec_b32 s0, vcc_lo
	s_cbranch_execnz .LBB107_11
	s_branch .LBB107_12
	.section	.rodata,"a",@progbits
	.p2align	6, 0x0
	.amdhsa_kernel _ZN2at6native29vectorized_elementwise_kernelILi2ENS0_11FillFunctorIN3c108BFloat16EEESt5arrayIPcLm1EEEEviT0_T1_
		.amdhsa_group_segment_fixed_size 0
		.amdhsa_private_segment_fixed_size 0
		.amdhsa_kernarg_size 16
		.amdhsa_user_sgpr_count 15
		.amdhsa_user_sgpr_dispatch_ptr 0
		.amdhsa_user_sgpr_queue_ptr 0
		.amdhsa_user_sgpr_kernarg_segment_ptr 1
		.amdhsa_user_sgpr_dispatch_id 0
		.amdhsa_user_sgpr_private_segment_size 0
		.amdhsa_wavefront_size32 1
		.amdhsa_uses_dynamic_stack 0
		.amdhsa_enable_private_segment 0
		.amdhsa_system_sgpr_workgroup_id_x 1
		.amdhsa_system_sgpr_workgroup_id_y 0
		.amdhsa_system_sgpr_workgroup_id_z 0
		.amdhsa_system_sgpr_workgroup_info 0
		.amdhsa_system_vgpr_workitem_id 0
		.amdhsa_next_free_vgpr 4
		.amdhsa_next_free_sgpr 16
		.amdhsa_reserve_vcc 1
		.amdhsa_float_round_mode_32 0
		.amdhsa_float_round_mode_16_64 0
		.amdhsa_float_denorm_mode_32 3
		.amdhsa_float_denorm_mode_16_64 3
		.amdhsa_dx10_clamp 1
		.amdhsa_ieee_mode 1
		.amdhsa_fp16_overflow 0
		.amdhsa_workgroup_processor_mode 1
		.amdhsa_memory_ordered 1
		.amdhsa_forward_progress 0
		.amdhsa_shared_vgpr_count 0
		.amdhsa_exception_fp_ieee_invalid_op 0
		.amdhsa_exception_fp_denorm_src 0
		.amdhsa_exception_fp_ieee_div_zero 0
		.amdhsa_exception_fp_ieee_overflow 0
		.amdhsa_exception_fp_ieee_underflow 0
		.amdhsa_exception_fp_ieee_inexact 0
		.amdhsa_exception_int_div_zero 0
	.end_amdhsa_kernel
	.section	.text._ZN2at6native29vectorized_elementwise_kernelILi2ENS0_11FillFunctorIN3c108BFloat16EEESt5arrayIPcLm1EEEEviT0_T1_,"axG",@progbits,_ZN2at6native29vectorized_elementwise_kernelILi2ENS0_11FillFunctorIN3c108BFloat16EEESt5arrayIPcLm1EEEEviT0_T1_,comdat
.Lfunc_end107:
	.size	_ZN2at6native29vectorized_elementwise_kernelILi2ENS0_11FillFunctorIN3c108BFloat16EEESt5arrayIPcLm1EEEEviT0_T1_, .Lfunc_end107-_ZN2at6native29vectorized_elementwise_kernelILi2ENS0_11FillFunctorIN3c108BFloat16EEESt5arrayIPcLm1EEEEviT0_T1_
                                        ; -- End function
	.section	.AMDGPU.csdata,"",@progbits
; Kernel info:
; codeLenInByte = 900
; NumSgprs: 18
; NumVgprs: 4
; ScratchSize: 0
; MemoryBound: 0
; FloatMode: 240
; IeeeMode: 1
; LDSByteSize: 0 bytes/workgroup (compile time only)
; SGPRBlocks: 2
; VGPRBlocks: 0
; NumSGPRsForWavesPerEU: 18
; NumVGPRsForWavesPerEU: 4
; Occupancy: 16
; WaveLimiterHint : 1
; COMPUTE_PGM_RSRC2:SCRATCH_EN: 0
; COMPUTE_PGM_RSRC2:USER_SGPR: 15
; COMPUTE_PGM_RSRC2:TRAP_HANDLER: 0
; COMPUTE_PGM_RSRC2:TGID_X_EN: 1
; COMPUTE_PGM_RSRC2:TGID_Y_EN: 0
; COMPUTE_PGM_RSRC2:TGID_Z_EN: 0
; COMPUTE_PGM_RSRC2:TIDIG_COMP_CNT: 0
	.section	.text._ZN2at6native27unrolled_elementwise_kernelINS0_11FillFunctorIN3c108BFloat16EEESt5arrayIPcLm1EELi4E23TrivialOffsetCalculatorILi0EjES9_ILi1EjENS0_6memory15LoadWithoutCastENSC_16StoreWithoutCastEEEviT_T0_T2_T3_T4_T5_,"axG",@progbits,_ZN2at6native27unrolled_elementwise_kernelINS0_11FillFunctorIN3c108BFloat16EEESt5arrayIPcLm1EELi4E23TrivialOffsetCalculatorILi0EjES9_ILi1EjENS0_6memory15LoadWithoutCastENSC_16StoreWithoutCastEEEviT_T0_T2_T3_T4_T5_,comdat
	.protected	_ZN2at6native27unrolled_elementwise_kernelINS0_11FillFunctorIN3c108BFloat16EEESt5arrayIPcLm1EELi4E23TrivialOffsetCalculatorILi0EjES9_ILi1EjENS0_6memory15LoadWithoutCastENSC_16StoreWithoutCastEEEviT_T0_T2_T3_T4_T5_ ; -- Begin function _ZN2at6native27unrolled_elementwise_kernelINS0_11FillFunctorIN3c108BFloat16EEESt5arrayIPcLm1EELi4E23TrivialOffsetCalculatorILi0EjES9_ILi1EjENS0_6memory15LoadWithoutCastENSC_16StoreWithoutCastEEEviT_T0_T2_T3_T4_T5_
	.globl	_ZN2at6native27unrolled_elementwise_kernelINS0_11FillFunctorIN3c108BFloat16EEESt5arrayIPcLm1EELi4E23TrivialOffsetCalculatorILi0EjES9_ILi1EjENS0_6memory15LoadWithoutCastENSC_16StoreWithoutCastEEEviT_T0_T2_T3_T4_T5_
	.p2align	8
	.type	_ZN2at6native27unrolled_elementwise_kernelINS0_11FillFunctorIN3c108BFloat16EEESt5arrayIPcLm1EELi4E23TrivialOffsetCalculatorILi0EjES9_ILi1EjENS0_6memory15LoadWithoutCastENSC_16StoreWithoutCastEEEviT_T0_T2_T3_T4_T5_,@function
_ZN2at6native27unrolled_elementwise_kernelINS0_11FillFunctorIN3c108BFloat16EEESt5arrayIPcLm1EELi4E23TrivialOffsetCalculatorILi0EjES9_ILi1EjENS0_6memory15LoadWithoutCastENSC_16StoreWithoutCastEEEviT_T0_T2_T3_T4_T5_: ; @_ZN2at6native27unrolled_elementwise_kernelINS0_11FillFunctorIN3c108BFloat16EEESt5arrayIPcLm1EELi4E23TrivialOffsetCalculatorILi0EjES9_ILi1EjENS0_6memory15LoadWithoutCastENSC_16StoreWithoutCastEEEviT_T0_T2_T3_T4_T5_
; %bb.0:
	s_load_b128 s[0:3], s[0:1], 0x0
	s_lshl_b32 s4, s15, 10
	s_mov_b32 s5, exec_lo
	s_waitcnt lgkmcnt(0)
	s_sub_i32 s0, s0, s4
	s_delay_alu instid0(SALU_CYCLE_1)
	v_cmpx_gt_i32_e64 s0, v0
	s_cbranch_execnz .LBB108_5
; %bb.1:
	s_or_b32 exec_lo, exec_lo, s5
	s_delay_alu instid0(SALU_CYCLE_1)
	s_mov_b32 s5, exec_lo
	v_cmpx_gt_i32_e64 s0, v0
	s_cbranch_execnz .LBB108_6
.LBB108_2:
	s_or_b32 exec_lo, exec_lo, s5
	s_delay_alu instid0(SALU_CYCLE_1)
	s_mov_b32 s5, exec_lo
	v_cmpx_gt_i32_e64 s0, v0
	s_cbranch_execnz .LBB108_7
.LBB108_3:
	s_or_b32 exec_lo, exec_lo, s5
	v_cmp_gt_i32_e32 vcc_lo, s0, v0
	s_and_saveexec_b32 s0, vcc_lo
	s_cbranch_execnz .LBB108_8
.LBB108_4:
	s_nop 0
	s_sendmsg sendmsg(MSG_DEALLOC_VGPRS)
	s_endpgm
.LBB108_5:
	v_or_b32_e32 v1, s4, v0
	v_dual_mov_b32 v2, 0 :: v_dual_mov_b32 v3, s1
	v_or_b32_e32 v0, 0x100, v0
	s_delay_alu instid0(VALU_DEP_2) | instskip(NEXT) | instid1(VALU_DEP_1)
	v_lshlrev_b64 v[1:2], 1, v[1:2]
	v_add_co_u32 v1, vcc_lo, s2, v1
	s_delay_alu instid0(VALU_DEP_2) | instskip(SKIP_2) | instid1(SALU_CYCLE_1)
	v_add_co_ci_u32_e32 v2, vcc_lo, s3, v2, vcc_lo
	global_store_b16 v[1:2], v3, off
	s_or_b32 exec_lo, exec_lo, s5
	s_mov_b32 s5, exec_lo
	v_cmpx_gt_i32_e64 s0, v0
	s_cbranch_execz .LBB108_2
.LBB108_6:
	v_dual_mov_b32 v2, 0 :: v_dual_add_nc_u32 v1, s4, v0
	v_dual_mov_b32 v3, s1 :: v_dual_add_nc_u32 v0, 0x100, v0
	s_delay_alu instid0(VALU_DEP_2) | instskip(NEXT) | instid1(VALU_DEP_1)
	v_lshlrev_b64 v[1:2], 1, v[1:2]
	v_add_co_u32 v1, vcc_lo, s2, v1
	s_delay_alu instid0(VALU_DEP_2) | instskip(SKIP_2) | instid1(SALU_CYCLE_1)
	v_add_co_ci_u32_e32 v2, vcc_lo, s3, v2, vcc_lo
	global_store_b16 v[1:2], v3, off
	s_or_b32 exec_lo, exec_lo, s5
	s_mov_b32 s5, exec_lo
	v_cmpx_gt_i32_e64 s0, v0
	s_cbranch_execz .LBB108_3
.LBB108_7:
	v_dual_mov_b32 v2, 0 :: v_dual_add_nc_u32 v1, s4, v0
	v_dual_mov_b32 v3, s1 :: v_dual_add_nc_u32 v0, 0x100, v0
	s_delay_alu instid0(VALU_DEP_2) | instskip(NEXT) | instid1(VALU_DEP_1)
	v_lshlrev_b64 v[1:2], 1, v[1:2]
	v_add_co_u32 v1, vcc_lo, s2, v1
	s_delay_alu instid0(VALU_DEP_2)
	v_add_co_ci_u32_e32 v2, vcc_lo, s3, v2, vcc_lo
	global_store_b16 v[1:2], v3, off
	s_or_b32 exec_lo, exec_lo, s5
	v_cmp_gt_i32_e32 vcc_lo, s0, v0
	s_and_saveexec_b32 s0, vcc_lo
	s_cbranch_execz .LBB108_4
.LBB108_8:
	v_dual_mov_b32 v1, 0 :: v_dual_add_nc_u32 v0, s4, v0
	v_mov_b32_e32 v2, s1
	s_delay_alu instid0(VALU_DEP_2) | instskip(NEXT) | instid1(VALU_DEP_1)
	v_lshlrev_b64 v[0:1], 1, v[0:1]
	v_add_co_u32 v0, vcc_lo, s2, v0
	s_delay_alu instid0(VALU_DEP_2)
	v_add_co_ci_u32_e32 v1, vcc_lo, s3, v1, vcc_lo
	global_store_b16 v[0:1], v2, off
	s_nop 0
	s_sendmsg sendmsg(MSG_DEALLOC_VGPRS)
	s_endpgm
	.section	.rodata,"a",@progbits
	.p2align	6, 0x0
	.amdhsa_kernel _ZN2at6native27unrolled_elementwise_kernelINS0_11FillFunctorIN3c108BFloat16EEESt5arrayIPcLm1EELi4E23TrivialOffsetCalculatorILi0EjES9_ILi1EjENS0_6memory15LoadWithoutCastENSC_16StoreWithoutCastEEEviT_T0_T2_T3_T4_T5_
		.amdhsa_group_segment_fixed_size 0
		.amdhsa_private_segment_fixed_size 0
		.amdhsa_kernarg_size 20
		.amdhsa_user_sgpr_count 15
		.amdhsa_user_sgpr_dispatch_ptr 0
		.amdhsa_user_sgpr_queue_ptr 0
		.amdhsa_user_sgpr_kernarg_segment_ptr 1
		.amdhsa_user_sgpr_dispatch_id 0
		.amdhsa_user_sgpr_private_segment_size 0
		.amdhsa_wavefront_size32 1
		.amdhsa_uses_dynamic_stack 0
		.amdhsa_enable_private_segment 0
		.amdhsa_system_sgpr_workgroup_id_x 1
		.amdhsa_system_sgpr_workgroup_id_y 0
		.amdhsa_system_sgpr_workgroup_id_z 0
		.amdhsa_system_sgpr_workgroup_info 0
		.amdhsa_system_vgpr_workitem_id 0
		.amdhsa_next_free_vgpr 4
		.amdhsa_next_free_sgpr 16
		.amdhsa_reserve_vcc 1
		.amdhsa_float_round_mode_32 0
		.amdhsa_float_round_mode_16_64 0
		.amdhsa_float_denorm_mode_32 3
		.amdhsa_float_denorm_mode_16_64 3
		.amdhsa_dx10_clamp 1
		.amdhsa_ieee_mode 1
		.amdhsa_fp16_overflow 0
		.amdhsa_workgroup_processor_mode 1
		.amdhsa_memory_ordered 1
		.amdhsa_forward_progress 0
		.amdhsa_shared_vgpr_count 0
		.amdhsa_exception_fp_ieee_invalid_op 0
		.amdhsa_exception_fp_denorm_src 0
		.amdhsa_exception_fp_ieee_div_zero 0
		.amdhsa_exception_fp_ieee_overflow 0
		.amdhsa_exception_fp_ieee_underflow 0
		.amdhsa_exception_fp_ieee_inexact 0
		.amdhsa_exception_int_div_zero 0
	.end_amdhsa_kernel
	.section	.text._ZN2at6native27unrolled_elementwise_kernelINS0_11FillFunctorIN3c108BFloat16EEESt5arrayIPcLm1EELi4E23TrivialOffsetCalculatorILi0EjES9_ILi1EjENS0_6memory15LoadWithoutCastENSC_16StoreWithoutCastEEEviT_T0_T2_T3_T4_T5_,"axG",@progbits,_ZN2at6native27unrolled_elementwise_kernelINS0_11FillFunctorIN3c108BFloat16EEESt5arrayIPcLm1EELi4E23TrivialOffsetCalculatorILi0EjES9_ILi1EjENS0_6memory15LoadWithoutCastENSC_16StoreWithoutCastEEEviT_T0_T2_T3_T4_T5_,comdat
.Lfunc_end108:
	.size	_ZN2at6native27unrolled_elementwise_kernelINS0_11FillFunctorIN3c108BFloat16EEESt5arrayIPcLm1EELi4E23TrivialOffsetCalculatorILi0EjES9_ILi1EjENS0_6memory15LoadWithoutCastENSC_16StoreWithoutCastEEEviT_T0_T2_T3_T4_T5_, .Lfunc_end108-_ZN2at6native27unrolled_elementwise_kernelINS0_11FillFunctorIN3c108BFloat16EEESt5arrayIPcLm1EELi4E23TrivialOffsetCalculatorILi0EjES9_ILi1EjENS0_6memory15LoadWithoutCastENSC_16StoreWithoutCastEEEviT_T0_T2_T3_T4_T5_
                                        ; -- End function
	.section	.AMDGPU.csdata,"",@progbits
; Kernel info:
; codeLenInByte = 400
; NumSgprs: 18
; NumVgprs: 4
; ScratchSize: 0
; MemoryBound: 0
; FloatMode: 240
; IeeeMode: 1
; LDSByteSize: 0 bytes/workgroup (compile time only)
; SGPRBlocks: 2
; VGPRBlocks: 0
; NumSGPRsForWavesPerEU: 18
; NumVGPRsForWavesPerEU: 4
; Occupancy: 16
; WaveLimiterHint : 0
; COMPUTE_PGM_RSRC2:SCRATCH_EN: 0
; COMPUTE_PGM_RSRC2:USER_SGPR: 15
; COMPUTE_PGM_RSRC2:TRAP_HANDLER: 0
; COMPUTE_PGM_RSRC2:TGID_X_EN: 1
; COMPUTE_PGM_RSRC2:TGID_Y_EN: 0
; COMPUTE_PGM_RSRC2:TGID_Z_EN: 0
; COMPUTE_PGM_RSRC2:TIDIG_COMP_CNT: 0
	.section	.text._ZN2at6native32elementwise_kernel_manual_unrollILi128ELi8EZNS0_22gpu_kernel_impl_nocastINS0_11FillFunctorIN3c108BFloat16EEEEEvRNS_18TensorIteratorBaseERKT_EUlibE_EEviT1_,"axG",@progbits,_ZN2at6native32elementwise_kernel_manual_unrollILi128ELi8EZNS0_22gpu_kernel_impl_nocastINS0_11FillFunctorIN3c108BFloat16EEEEEvRNS_18TensorIteratorBaseERKT_EUlibE_EEviT1_,comdat
	.protected	_ZN2at6native32elementwise_kernel_manual_unrollILi128ELi8EZNS0_22gpu_kernel_impl_nocastINS0_11FillFunctorIN3c108BFloat16EEEEEvRNS_18TensorIteratorBaseERKT_EUlibE_EEviT1_ ; -- Begin function _ZN2at6native32elementwise_kernel_manual_unrollILi128ELi8EZNS0_22gpu_kernel_impl_nocastINS0_11FillFunctorIN3c108BFloat16EEEEEvRNS_18TensorIteratorBaseERKT_EUlibE_EEviT1_
	.globl	_ZN2at6native32elementwise_kernel_manual_unrollILi128ELi8EZNS0_22gpu_kernel_impl_nocastINS0_11FillFunctorIN3c108BFloat16EEEEEvRNS_18TensorIteratorBaseERKT_EUlibE_EEviT1_
	.p2align	8
	.type	_ZN2at6native32elementwise_kernel_manual_unrollILi128ELi8EZNS0_22gpu_kernel_impl_nocastINS0_11FillFunctorIN3c108BFloat16EEEEEvRNS_18TensorIteratorBaseERKT_EUlibE_EEviT1_,@function
_ZN2at6native32elementwise_kernel_manual_unrollILi128ELi8EZNS0_22gpu_kernel_impl_nocastINS0_11FillFunctorIN3c108BFloat16EEEEEvRNS_18TensorIteratorBaseERKT_EUlibE_EEviT1_: ; @_ZN2at6native32elementwise_kernel_manual_unrollILi128ELi8EZNS0_22gpu_kernel_impl_nocastINS0_11FillFunctorIN3c108BFloat16EEEEEvRNS_18TensorIteratorBaseERKT_EUlibE_EEviT1_
; %bb.0:
	s_clause 0x1
	s_load_b32 s18, s[0:1], 0x8
	s_load_b32 s24, s[0:1], 0x0
	v_lshl_or_b32 v6, s15, 10, v0
	s_or_b32 s0, s0, 8
	s_mov_b32 s2, exec_lo
	s_delay_alu instid0(VALU_DEP_1) | instskip(SKIP_2) | instid1(SALU_CYCLE_1)
	v_or_b32_e32 v8, 0x380, v6
	s_waitcnt lgkmcnt(0)
	s_add_i32 s19, s18, -1
	s_cmp_gt_u32 s19, 1
	s_cselect_b32 s20, -1, 0
	v_cmpx_le_i32_e64 s24, v8
	s_xor_b32 s21, exec_lo, s2
	s_cbranch_execz .LBB109_7
; %bb.1:
	s_clause 0x4
	s_load_b128 s[4:7], s[0:1], 0x4
	s_load_b64 s[10:11], s[0:1], 0x14
	s_load_b64 s[8:9], s[0:1], 0xc4
	;; [unrolled: 1-line block ×3, first 2 shown]
	s_load_b32 s22, s[0:1], 0x110
	s_cmp_lg_u32 s18, 0
	s_mov_b32 s27, exec_lo
	s_cselect_b32 s26, -1, 0
	s_add_u32 s12, s0, 0xc4
	s_addc_u32 s13, s1, 0
	s_min_u32 s25, s19, 15
	s_cmp_gt_u32 s18, 1
	s_cselect_b32 s23, -1, 0
	v_cmpx_gt_i32_e64 s24, v6
	s_cbranch_execz .LBB109_14
; %bb.2:
	s_and_not1_b32 vcc_lo, exec_lo, s20
	s_cbranch_vccnz .LBB109_21
; %bb.3:
	v_mov_b32_e32 v0, 0
	s_and_not1_b32 vcc_lo, exec_lo, s26
	s_cbranch_vccnz .LBB109_125
; %bb.4:
	s_add_i32 s29, s25, 1
	s_cmp_eq_u32 s19, 2
	s_mov_b32 s28, 0
	s_cbranch_scc1 .LBB109_121
; %bb.5:
	v_dual_mov_b32 v0, 0 :: v_dual_mov_b32 v1, v6
	s_and_b32 s28, s29, 28
	s_mov_b32 s30, 0
	s_mov_b64 s[14:15], s[0:1]
	s_mov_b64 s[16:17], s[12:13]
.LBB109_6:                              ; =>This Inner Loop Header: Depth=1
	s_clause 0x1
	s_load_b256 s[36:43], s[14:15], 0x4
	s_load_b128 s[44:47], s[14:15], 0x24
	s_load_b128 s[48:51], s[16:17], 0x0
	s_add_u32 s14, s14, 48
	s_addc_u32 s15, s15, 0
	s_add_i32 s30, s30, 4
	s_add_u32 s16, s16, 16
	s_addc_u32 s17, s17, 0
	s_cmp_lg_u32 s28, s30
	s_waitcnt lgkmcnt(0)
	v_mul_hi_u32 v2, s37, v1
	s_delay_alu instid0(VALU_DEP_1) | instskip(NEXT) | instid1(VALU_DEP_1)
	v_add_nc_u32_e32 v2, v1, v2
	v_lshrrev_b32_e32 v2, s38, v2
	s_delay_alu instid0(VALU_DEP_1) | instskip(SKIP_1) | instid1(VALU_DEP_2)
	v_mul_hi_u32 v3, s40, v2
	v_mul_lo_u32 v7, v2, s36
	v_add_nc_u32_e32 v3, v2, v3
	s_delay_alu instid0(VALU_DEP_2) | instskip(NEXT) | instid1(VALU_DEP_2)
	v_sub_nc_u32_e32 v7, v1, v7
	v_lshrrev_b32_e32 v3, s41, v3
	s_delay_alu instid0(VALU_DEP_2) | instskip(NEXT) | instid1(VALU_DEP_2)
	v_mul_lo_u32 v7, v7, s48
	v_mul_hi_u32 v4, s43, v3
	v_mul_lo_u32 v8, v3, s39
	s_delay_alu instid0(VALU_DEP_2) | instskip(NEXT) | instid1(VALU_DEP_2)
	v_add_nc_u32_e32 v4, v3, v4
	v_sub_nc_u32_e32 v2, v2, v8
	s_delay_alu instid0(VALU_DEP_2) | instskip(NEXT) | instid1(VALU_DEP_2)
	v_lshrrev_b32_e32 v4, s44, v4
	v_mul_lo_u32 v2, v2, s49
	s_delay_alu instid0(VALU_DEP_2) | instskip(NEXT) | instid1(VALU_DEP_2)
	v_mul_hi_u32 v5, s46, v4
	v_add3_u32 v0, v7, v0, v2
	s_delay_alu instid0(VALU_DEP_2) | instskip(NEXT) | instid1(VALU_DEP_1)
	v_add_nc_u32_e32 v5, v4, v5
	v_lshrrev_b32_e32 v1, s47, v5
	v_mul_lo_u32 v5, v4, s42
	s_delay_alu instid0(VALU_DEP_2) | instskip(NEXT) | instid1(VALU_DEP_2)
	v_mul_lo_u32 v9, v1, s45
	v_sub_nc_u32_e32 v3, v3, v5
	s_delay_alu instid0(VALU_DEP_2) | instskip(NEXT) | instid1(VALU_DEP_2)
	v_sub_nc_u32_e32 v4, v4, v9
	v_mul_lo_u32 v3, v3, s50
	s_delay_alu instid0(VALU_DEP_2) | instskip(NEXT) | instid1(VALU_DEP_1)
	v_mul_lo_u32 v4, v4, s51
	v_add3_u32 v0, v3, v0, v4
	s_cbranch_scc1 .LBB109_6
	s_branch .LBB109_122
.LBB109_7:
	s_and_not1_saveexec_b32 s2, s21
	s_cbranch_execz .LBB109_206
.LBB109_8:
	v_cndmask_b32_e64 v7, 0, 1, s20
	s_and_not1_b32 vcc_lo, exec_lo, s20
	s_cbranch_vccnz .LBB109_20
; %bb.9:
	v_mov_b32_e32 v0, 0
	s_cmp_eq_u32 s18, 0
	s_mov_b32 s6, 0
	s_cbranch_scc1 .LBB109_26
; %bb.10:
	s_min_u32 s7, s19, 15
	v_mov_b32_e32 v0, 0
	s_add_i32 s7, s7, 1
	s_cmp_eq_u32 s19, 2
	s_mov_b32 s8, 0
	s_cbranch_scc1 .LBB109_23
; %bb.11:
	v_dual_mov_b32 v0, 0 :: v_dual_mov_b32 v1, v6
	s_add_u32 s2, s0, 0xc4
	s_addc_u32 s3, s1, 0
	s_and_b32 s8, s7, 28
	s_mov_b32 s9, 0
	s_mov_b64 s[4:5], s[0:1]
.LBB109_12:                             ; =>This Inner Loop Header: Depth=1
	s_clause 0x1
	s_load_b256 s[20:27], s[4:5], 0x4
	s_load_b128 s[12:15], s[4:5], 0x24
	s_load_b128 s[28:31], s[2:3], 0x0
	s_add_u32 s4, s4, 48
	s_addc_u32 s5, s5, 0
	s_add_i32 s9, s9, 4
	s_add_u32 s2, s2, 16
	s_addc_u32 s3, s3, 0
	s_cmp_lg_u32 s8, s9
	s_waitcnt lgkmcnt(0)
	v_mul_hi_u32 v2, s21, v1
	s_delay_alu instid0(VALU_DEP_1) | instskip(NEXT) | instid1(VALU_DEP_1)
	v_add_nc_u32_e32 v2, v1, v2
	v_lshrrev_b32_e32 v2, s22, v2
	s_delay_alu instid0(VALU_DEP_1) | instskip(SKIP_1) | instid1(VALU_DEP_2)
	v_mul_hi_u32 v3, s24, v2
	v_mul_lo_u32 v9, v2, s20
	v_add_nc_u32_e32 v3, v2, v3
	s_delay_alu instid0(VALU_DEP_2) | instskip(NEXT) | instid1(VALU_DEP_2)
	v_sub_nc_u32_e32 v9, v1, v9
	v_lshrrev_b32_e32 v3, s25, v3
	s_delay_alu instid0(VALU_DEP_2) | instskip(NEXT) | instid1(VALU_DEP_2)
	v_mul_lo_u32 v9, v9, s28
	v_mul_hi_u32 v4, s27, v3
	v_mul_lo_u32 v10, v3, s23
	s_delay_alu instid0(VALU_DEP_2) | instskip(NEXT) | instid1(VALU_DEP_2)
	v_add_nc_u32_e32 v4, v3, v4
	v_sub_nc_u32_e32 v2, v2, v10
	s_delay_alu instid0(VALU_DEP_2) | instskip(NEXT) | instid1(VALU_DEP_2)
	v_lshrrev_b32_e32 v4, s12, v4
	v_mul_lo_u32 v2, v2, s29
	s_delay_alu instid0(VALU_DEP_2) | instskip(NEXT) | instid1(VALU_DEP_2)
	v_mul_hi_u32 v5, s14, v4
	v_add3_u32 v0, v9, v0, v2
	s_delay_alu instid0(VALU_DEP_2) | instskip(NEXT) | instid1(VALU_DEP_1)
	v_add_nc_u32_e32 v5, v4, v5
	v_lshrrev_b32_e32 v1, s15, v5
	v_mul_lo_u32 v5, v4, s26
	s_delay_alu instid0(VALU_DEP_2) | instskip(NEXT) | instid1(VALU_DEP_2)
	v_mul_lo_u32 v11, v1, s13
	v_sub_nc_u32_e32 v3, v3, v5
	s_delay_alu instid0(VALU_DEP_2) | instskip(NEXT) | instid1(VALU_DEP_2)
	v_sub_nc_u32_e32 v4, v4, v11
	v_mul_lo_u32 v3, v3, s30
	s_delay_alu instid0(VALU_DEP_2) | instskip(NEXT) | instid1(VALU_DEP_1)
	v_mul_lo_u32 v4, v4, s31
	v_add3_u32 v0, v3, v0, v4
	s_cbranch_scc1 .LBB109_12
; %bb.13:
	s_and_b32 s7, s7, 3
	s_delay_alu instid0(SALU_CYCLE_1)
	s_cmp_eq_u32 s7, 0
	s_cbranch_scc0 .LBB109_24
	s_branch .LBB109_26
.LBB109_14:
	s_or_b32 exec_lo, exec_lo, s27
	s_delay_alu instid0(SALU_CYCLE_1)
	s_mov_b32 s27, exec_lo
	v_cmpx_gt_i32_e64 s24, v6
	s_cbranch_execz .LBB109_129
.LBB109_15:
	s_and_not1_b32 vcc_lo, exec_lo, s20
	s_cbranch_vccnz .LBB109_22
; %bb.16:
	v_mov_b32_e32 v0, 0
	s_and_not1_b32 vcc_lo, exec_lo, s26
	s_cbranch_vccnz .LBB109_140
; %bb.17:
	s_add_i32 s29, s25, 1
	s_cmp_eq_u32 s19, 2
	s_mov_b32 s28, 0
	s_cbranch_scc1 .LBB109_136
; %bb.18:
	v_dual_mov_b32 v0, 0 :: v_dual_mov_b32 v1, v6
	s_and_b32 s28, s29, 28
	s_mov_b32 s30, 0
	s_mov_b64 s[14:15], s[0:1]
	s_mov_b64 s[16:17], s[12:13]
.LBB109_19:                             ; =>This Inner Loop Header: Depth=1
	s_clause 0x1
	s_load_b256 s[36:43], s[14:15], 0x4
	s_load_b128 s[44:47], s[14:15], 0x24
	s_load_b128 s[48:51], s[16:17], 0x0
	s_add_u32 s14, s14, 48
	s_addc_u32 s15, s15, 0
	s_add_i32 s30, s30, 4
	s_add_u32 s16, s16, 16
	s_addc_u32 s17, s17, 0
	s_cmp_eq_u32 s28, s30
	s_waitcnt lgkmcnt(0)
	v_mul_hi_u32 v2, s37, v1
	s_delay_alu instid0(VALU_DEP_1) | instskip(NEXT) | instid1(VALU_DEP_1)
	v_add_nc_u32_e32 v2, v1, v2
	v_lshrrev_b32_e32 v2, s38, v2
	s_delay_alu instid0(VALU_DEP_1) | instskip(SKIP_1) | instid1(VALU_DEP_2)
	v_mul_hi_u32 v3, s40, v2
	v_mul_lo_u32 v7, v2, s36
	v_add_nc_u32_e32 v3, v2, v3
	s_delay_alu instid0(VALU_DEP_2) | instskip(NEXT) | instid1(VALU_DEP_2)
	v_sub_nc_u32_e32 v7, v1, v7
	v_lshrrev_b32_e32 v3, s41, v3
	s_delay_alu instid0(VALU_DEP_2) | instskip(NEXT) | instid1(VALU_DEP_2)
	v_mul_lo_u32 v7, v7, s48
	v_mul_hi_u32 v4, s43, v3
	v_mul_lo_u32 v8, v3, s39
	s_delay_alu instid0(VALU_DEP_2) | instskip(NEXT) | instid1(VALU_DEP_2)
	v_add_nc_u32_e32 v4, v3, v4
	v_sub_nc_u32_e32 v2, v2, v8
	s_delay_alu instid0(VALU_DEP_2) | instskip(NEXT) | instid1(VALU_DEP_2)
	v_lshrrev_b32_e32 v4, s44, v4
	v_mul_lo_u32 v2, v2, s49
	s_delay_alu instid0(VALU_DEP_2) | instskip(NEXT) | instid1(VALU_DEP_2)
	v_mul_hi_u32 v5, s46, v4
	v_add3_u32 v0, v7, v0, v2
	s_delay_alu instid0(VALU_DEP_2) | instskip(NEXT) | instid1(VALU_DEP_1)
	v_add_nc_u32_e32 v5, v4, v5
	v_lshrrev_b32_e32 v1, s47, v5
	v_mul_lo_u32 v5, v4, s42
	s_delay_alu instid0(VALU_DEP_2) | instskip(NEXT) | instid1(VALU_DEP_2)
	v_mul_lo_u32 v9, v1, s45
	v_sub_nc_u32_e32 v3, v3, v5
	s_delay_alu instid0(VALU_DEP_2) | instskip(NEXT) | instid1(VALU_DEP_2)
	v_sub_nc_u32_e32 v4, v4, v9
	v_mul_lo_u32 v3, v3, s50
	s_delay_alu instid0(VALU_DEP_2) | instskip(NEXT) | instid1(VALU_DEP_1)
	v_mul_lo_u32 v4, v4, s51
	v_add3_u32 v0, v3, v0, v4
	s_cbranch_scc0 .LBB109_19
	s_branch .LBB109_137
.LBB109_20:
	s_mov_b32 s6, -1
                                        ; implicit-def: $vgpr0
	s_branch .LBB109_26
.LBB109_21:
                                        ; implicit-def: $vgpr0
	s_branch .LBB109_126
.LBB109_22:
                                        ; implicit-def: $vgpr0
	s_branch .LBB109_141
.LBB109_23:
	v_mov_b32_e32 v1, v6
	s_and_b32 s7, s7, 3
	s_delay_alu instid0(SALU_CYCLE_1)
	s_cmp_eq_u32 s7, 0
	s_cbranch_scc1 .LBB109_26
.LBB109_24:
	s_lshl_b32 s2, s8, 2
	s_mul_i32 s4, s8, 12
	s_add_u32 s2, s2, s0
	s_addc_u32 s3, 0, s1
	s_add_u32 s2, s2, 0xc4
	s_addc_u32 s3, s3, 0
	;; [unrolled: 2-line block ×3, first 2 shown]
	.p2align	6
.LBB109_25:                             ; =>This Inner Loop Header: Depth=1
	s_clause 0x1
	s_load_b64 s[8:9], s[4:5], 0x4
	s_load_b32 s10, s[4:5], 0xc
	s_add_u32 s4, s4, 12
	s_addc_u32 s5, s5, 0
	s_waitcnt lgkmcnt(0)
	v_mul_hi_u32 v2, s9, v1
	s_load_b32 s9, s[2:3], 0x0
	s_add_u32 s2, s2, 4
	s_addc_u32 s3, s3, 0
	s_add_i32 s7, s7, -1
	s_delay_alu instid0(SALU_CYCLE_1) | instskip(NEXT) | instid1(VALU_DEP_1)
	s_cmp_lg_u32 s7, 0
	v_add_nc_u32_e32 v2, v1, v2
	s_delay_alu instid0(VALU_DEP_1) | instskip(NEXT) | instid1(VALU_DEP_1)
	v_lshrrev_b32_e32 v4, s10, v2
	v_mul_lo_u32 v2, v4, s8
	s_delay_alu instid0(VALU_DEP_1) | instskip(SKIP_1) | instid1(VALU_DEP_1)
	v_sub_nc_u32_e32 v1, v1, v2
	s_waitcnt lgkmcnt(0)
	v_mad_u64_u32 v[2:3], null, v1, s9, v[0:1]
	s_delay_alu instid0(VALU_DEP_1)
	v_dual_mov_b32 v1, v4 :: v_dual_mov_b32 v0, v2
	s_cbranch_scc1 .LBB109_25
.LBB109_26:
	s_and_not1_b32 vcc_lo, exec_lo, s6
	s_cbranch_vccnz .LBB109_29
; %bb.27:
	s_clause 0x1
	s_load_b128 s[4:7], s[0:1], 0x4
	s_load_b32 s2, s[0:1], 0xc4
	s_cmp_lt_u32 s18, 2
	s_waitcnt lgkmcnt(0)
	v_mul_hi_u32 v0, s5, v6
	s_delay_alu instid0(VALU_DEP_1) | instskip(NEXT) | instid1(VALU_DEP_1)
	v_add_nc_u32_e32 v0, v6, v0
	v_lshrrev_b32_e32 v1, s6, v0
	s_delay_alu instid0(VALU_DEP_1) | instskip(NEXT) | instid1(VALU_DEP_1)
	v_mul_lo_u32 v0, v1, s4
	v_sub_nc_u32_e32 v0, v6, v0
	s_delay_alu instid0(VALU_DEP_1)
	v_mul_lo_u32 v0, v0, s2
	s_cbranch_scc1 .LBB109_29
; %bb.28:
	s_clause 0x1
	s_load_b128 s[4:7], s[0:1], 0x10
	s_load_b32 s2, s[0:1], 0xc8
	s_waitcnt lgkmcnt(0)
	v_mul_hi_u32 v2, s5, v1
	s_delay_alu instid0(VALU_DEP_1) | instskip(NEXT) | instid1(VALU_DEP_1)
	v_add_nc_u32_e32 v2, v1, v2
	v_lshrrev_b32_e32 v2, s6, v2
	s_delay_alu instid0(VALU_DEP_1) | instskip(NEXT) | instid1(VALU_DEP_1)
	v_mul_lo_u32 v2, v2, s4
	v_sub_nc_u32_e32 v3, v1, v2
	s_delay_alu instid0(VALU_DEP_1) | instskip(NEXT) | instid1(VALU_DEP_1)
	v_mad_u64_u32 v[1:2], null, v3, s2, v[0:1]
	v_mov_b32_e32 v0, v1
.LBB109_29:
	v_cmp_ne_u32_e32 vcc_lo, 1, v7
	v_add_nc_u32_e32 v2, 0x80, v6
	s_cbranch_vccnz .LBB109_35
; %bb.30:
	v_mov_b32_e32 v1, 0
	s_cmp_eq_u32 s18, 0
	s_mov_b32 s6, 0
	s_cbranch_scc1 .LBB109_39
; %bb.31:
	s_min_u32 s7, s19, 15
	v_mov_b32_e32 v1, 0
	s_add_i32 s7, s7, 1
	s_cmp_eq_u32 s19, 2
	s_mov_b32 s8, 0
	s_cbranch_scc1 .LBB109_36
; %bb.32:
	v_mov_b32_e32 v1, 0
	v_mov_b32_e32 v3, v2
	s_add_u32 s2, s0, 0xc4
	s_addc_u32 s3, s1, 0
	s_and_b32 s8, s7, 28
	s_mov_b32 s9, 0
	s_mov_b64 s[4:5], s[0:1]
.LBB109_33:                             ; =>This Inner Loop Header: Depth=1
	s_clause 0x1
	s_load_b256 s[20:27], s[4:5], 0x4
	s_load_b128 s[12:15], s[4:5], 0x24
	s_load_b128 s[28:31], s[2:3], 0x0
	s_add_u32 s4, s4, 48
	s_addc_u32 s5, s5, 0
	s_add_i32 s9, s9, 4
	s_add_u32 s2, s2, 16
	s_addc_u32 s3, s3, 0
	s_cmp_lg_u32 s8, s9
	s_waitcnt lgkmcnt(0)
	v_mul_hi_u32 v4, s21, v3
	s_delay_alu instid0(VALU_DEP_1) | instskip(NEXT) | instid1(VALU_DEP_1)
	v_add_nc_u32_e32 v4, v3, v4
	v_lshrrev_b32_e32 v4, s22, v4
	s_delay_alu instid0(VALU_DEP_1) | instskip(SKIP_1) | instid1(VALU_DEP_2)
	v_mul_hi_u32 v5, s24, v4
	v_mul_lo_u32 v11, v4, s20
	v_add_nc_u32_e32 v5, v4, v5
	s_delay_alu instid0(VALU_DEP_2) | instskip(NEXT) | instid1(VALU_DEP_2)
	v_sub_nc_u32_e32 v11, v3, v11
	v_lshrrev_b32_e32 v5, s25, v5
	s_delay_alu instid0(VALU_DEP_2) | instskip(NEXT) | instid1(VALU_DEP_2)
	v_mul_lo_u32 v11, v11, s28
	v_mul_hi_u32 v9, s27, v5
	v_mul_lo_u32 v12, v5, s23
	s_delay_alu instid0(VALU_DEP_2) | instskip(NEXT) | instid1(VALU_DEP_2)
	v_add_nc_u32_e32 v9, v5, v9
	v_sub_nc_u32_e32 v4, v4, v12
	s_delay_alu instid0(VALU_DEP_2) | instskip(NEXT) | instid1(VALU_DEP_2)
	v_lshrrev_b32_e32 v9, s12, v9
	v_mul_lo_u32 v4, v4, s29
	s_delay_alu instid0(VALU_DEP_2) | instskip(NEXT) | instid1(VALU_DEP_2)
	v_mul_hi_u32 v10, s14, v9
	v_add3_u32 v1, v11, v1, v4
	s_delay_alu instid0(VALU_DEP_2) | instskip(NEXT) | instid1(VALU_DEP_1)
	v_add_nc_u32_e32 v10, v9, v10
	v_lshrrev_b32_e32 v3, s15, v10
	v_mul_lo_u32 v10, v9, s26
	s_delay_alu instid0(VALU_DEP_2) | instskip(NEXT) | instid1(VALU_DEP_2)
	v_mul_lo_u32 v13, v3, s13
	v_sub_nc_u32_e32 v5, v5, v10
	s_delay_alu instid0(VALU_DEP_2) | instskip(NEXT) | instid1(VALU_DEP_2)
	v_sub_nc_u32_e32 v9, v9, v13
	v_mul_lo_u32 v5, v5, s30
	s_delay_alu instid0(VALU_DEP_2) | instskip(NEXT) | instid1(VALU_DEP_1)
	v_mul_lo_u32 v9, v9, s31
	v_add3_u32 v1, v5, v1, v9
	s_cbranch_scc1 .LBB109_33
; %bb.34:
	s_and_b32 s7, s7, 3
	s_delay_alu instid0(SALU_CYCLE_1)
	s_cmp_eq_u32 s7, 0
	s_cbranch_scc0 .LBB109_37
	s_branch .LBB109_39
.LBB109_35:
	s_mov_b32 s6, -1
                                        ; implicit-def: $vgpr1
	s_branch .LBB109_39
.LBB109_36:
	v_mov_b32_e32 v3, v2
	s_and_b32 s7, s7, 3
	s_delay_alu instid0(SALU_CYCLE_1)
	s_cmp_eq_u32 s7, 0
	s_cbranch_scc1 .LBB109_39
.LBB109_37:
	s_lshl_b32 s2, s8, 2
	s_mul_i32 s4, s8, 12
	s_add_u32 s2, s2, s0
	s_addc_u32 s3, 0, s1
	s_add_u32 s2, s2, 0xc4
	s_addc_u32 s3, s3, 0
	;; [unrolled: 2-line block ×3, first 2 shown]
	.p2align	6
.LBB109_38:                             ; =>This Inner Loop Header: Depth=1
	s_clause 0x1
	s_load_b64 s[8:9], s[4:5], 0x4
	s_load_b32 s10, s[4:5], 0xc
	s_add_u32 s4, s4, 12
	s_addc_u32 s5, s5, 0
	s_waitcnt lgkmcnt(0)
	v_mul_hi_u32 v4, s9, v3
	s_load_b32 s9, s[2:3], 0x0
	s_add_u32 s2, s2, 4
	s_addc_u32 s3, s3, 0
	s_add_i32 s7, s7, -1
	s_delay_alu instid0(SALU_CYCLE_1) | instskip(NEXT) | instid1(VALU_DEP_1)
	s_cmp_lg_u32 s7, 0
	v_add_nc_u32_e32 v4, v3, v4
	s_delay_alu instid0(VALU_DEP_1) | instskip(NEXT) | instid1(VALU_DEP_1)
	v_lshrrev_b32_e32 v9, s10, v4
	v_mul_lo_u32 v4, v9, s8
	s_delay_alu instid0(VALU_DEP_1) | instskip(SKIP_1) | instid1(VALU_DEP_1)
	v_sub_nc_u32_e32 v3, v3, v4
	s_waitcnt lgkmcnt(0)
	v_mad_u64_u32 v[4:5], null, v3, s9, v[1:2]
	v_mov_b32_e32 v3, v9
	s_delay_alu instid0(VALU_DEP_2)
	v_mov_b32_e32 v1, v4
	s_cbranch_scc1 .LBB109_38
.LBB109_39:
	s_and_not1_b32 vcc_lo, exec_lo, s6
	s_cbranch_vccnz .LBB109_42
; %bb.40:
	s_clause 0x1
	s_load_b128 s[4:7], s[0:1], 0x4
	s_load_b32 s2, s[0:1], 0xc4
	s_cmp_lt_u32 s18, 2
	s_waitcnt lgkmcnt(0)
	v_mul_hi_u32 v1, s5, v2
	s_delay_alu instid0(VALU_DEP_1) | instskip(NEXT) | instid1(VALU_DEP_1)
	v_add_nc_u32_e32 v1, v2, v1
	v_lshrrev_b32_e32 v3, s6, v1
	s_delay_alu instid0(VALU_DEP_1) | instskip(NEXT) | instid1(VALU_DEP_1)
	v_mul_lo_u32 v1, v3, s4
	v_sub_nc_u32_e32 v1, v2, v1
	s_delay_alu instid0(VALU_DEP_1)
	v_mul_lo_u32 v1, v1, s2
	s_cbranch_scc1 .LBB109_42
; %bb.41:
	s_clause 0x1
	s_load_b128 s[4:7], s[0:1], 0x10
	s_load_b32 s2, s[0:1], 0xc8
	s_waitcnt lgkmcnt(0)
	v_mul_hi_u32 v2, s5, v3
	s_delay_alu instid0(VALU_DEP_1) | instskip(NEXT) | instid1(VALU_DEP_1)
	v_add_nc_u32_e32 v2, v3, v2
	v_lshrrev_b32_e32 v2, s6, v2
	s_delay_alu instid0(VALU_DEP_1) | instskip(NEXT) | instid1(VALU_DEP_1)
	v_mul_lo_u32 v2, v2, s4
	v_sub_nc_u32_e32 v4, v3, v2
	s_delay_alu instid0(VALU_DEP_1) | instskip(NEXT) | instid1(VALU_DEP_1)
	v_mad_u64_u32 v[2:3], null, v4, s2, v[1:2]
	v_mov_b32_e32 v1, v2
.LBB109_42:
	v_cmp_ne_u32_e32 vcc_lo, 1, v7
	v_add_nc_u32_e32 v3, 0x100, v6
	s_cbranch_vccnz .LBB109_48
; %bb.43:
	v_mov_b32_e32 v2, 0
	s_cmp_eq_u32 s18, 0
	s_mov_b32 s6, 0
	s_cbranch_scc1 .LBB109_52
; %bb.44:
	s_min_u32 s7, s19, 15
	v_mov_b32_e32 v2, 0
	s_add_i32 s7, s7, 1
	s_cmp_eq_u32 s19, 2
	s_mov_b32 s8, 0
	s_cbranch_scc1 .LBB109_49
; %bb.45:
	v_mov_b32_e32 v2, 0
	v_mov_b32_e32 v4, v3
	s_add_u32 s2, s0, 0xc4
	s_addc_u32 s3, s1, 0
	s_and_b32 s8, s7, 28
	s_mov_b32 s9, 0
	s_mov_b64 s[4:5], s[0:1]
.LBB109_46:                             ; =>This Inner Loop Header: Depth=1
	s_clause 0x1
	s_load_b256 s[20:27], s[4:5], 0x4
	s_load_b128 s[12:15], s[4:5], 0x24
	s_load_b128 s[28:31], s[2:3], 0x0
	s_add_u32 s4, s4, 48
	s_addc_u32 s5, s5, 0
	s_add_i32 s9, s9, 4
	s_add_u32 s2, s2, 16
	s_addc_u32 s3, s3, 0
	s_cmp_lg_u32 s8, s9
	s_waitcnt lgkmcnt(0)
	v_mul_hi_u32 v5, s21, v4
	s_delay_alu instid0(VALU_DEP_1) | instskip(NEXT) | instid1(VALU_DEP_1)
	v_add_nc_u32_e32 v5, v4, v5
	v_lshrrev_b32_e32 v5, s22, v5
	s_delay_alu instid0(VALU_DEP_1) | instskip(SKIP_1) | instid1(VALU_DEP_2)
	v_mul_hi_u32 v9, s24, v5
	v_mul_lo_u32 v12, v5, s20
	v_add_nc_u32_e32 v9, v5, v9
	s_delay_alu instid0(VALU_DEP_2) | instskip(NEXT) | instid1(VALU_DEP_2)
	v_sub_nc_u32_e32 v12, v4, v12
	v_lshrrev_b32_e32 v9, s25, v9
	s_delay_alu instid0(VALU_DEP_2) | instskip(NEXT) | instid1(VALU_DEP_2)
	v_mul_lo_u32 v12, v12, s28
	v_mul_hi_u32 v10, s27, v9
	v_mul_lo_u32 v13, v9, s23
	s_delay_alu instid0(VALU_DEP_2) | instskip(NEXT) | instid1(VALU_DEP_2)
	v_add_nc_u32_e32 v10, v9, v10
	v_sub_nc_u32_e32 v5, v5, v13
	s_delay_alu instid0(VALU_DEP_2) | instskip(NEXT) | instid1(VALU_DEP_2)
	v_lshrrev_b32_e32 v10, s12, v10
	v_mul_lo_u32 v5, v5, s29
	s_delay_alu instid0(VALU_DEP_2) | instskip(NEXT) | instid1(VALU_DEP_2)
	v_mul_hi_u32 v11, s14, v10
	v_add3_u32 v2, v12, v2, v5
	s_delay_alu instid0(VALU_DEP_2) | instskip(NEXT) | instid1(VALU_DEP_1)
	v_add_nc_u32_e32 v11, v10, v11
	v_lshrrev_b32_e32 v4, s15, v11
	v_mul_lo_u32 v11, v10, s26
	s_delay_alu instid0(VALU_DEP_2) | instskip(NEXT) | instid1(VALU_DEP_2)
	v_mul_lo_u32 v14, v4, s13
	v_sub_nc_u32_e32 v9, v9, v11
	s_delay_alu instid0(VALU_DEP_2) | instskip(NEXT) | instid1(VALU_DEP_2)
	v_sub_nc_u32_e32 v10, v10, v14
	v_mul_lo_u32 v9, v9, s30
	s_delay_alu instid0(VALU_DEP_2) | instskip(NEXT) | instid1(VALU_DEP_1)
	v_mul_lo_u32 v10, v10, s31
	v_add3_u32 v2, v9, v2, v10
	s_cbranch_scc1 .LBB109_46
; %bb.47:
	s_and_b32 s7, s7, 3
	s_delay_alu instid0(SALU_CYCLE_1)
	s_cmp_eq_u32 s7, 0
	s_cbranch_scc0 .LBB109_50
	s_branch .LBB109_52
.LBB109_48:
	s_mov_b32 s6, -1
                                        ; implicit-def: $vgpr2
	s_branch .LBB109_52
.LBB109_49:
	v_mov_b32_e32 v4, v3
	s_and_b32 s7, s7, 3
	s_delay_alu instid0(SALU_CYCLE_1)
	s_cmp_eq_u32 s7, 0
	s_cbranch_scc1 .LBB109_52
.LBB109_50:
	s_lshl_b32 s2, s8, 2
	s_mul_i32 s4, s8, 12
	s_add_u32 s2, s2, s0
	s_addc_u32 s3, 0, s1
	s_add_u32 s2, s2, 0xc4
	s_addc_u32 s3, s3, 0
	;; [unrolled: 2-line block ×3, first 2 shown]
	.p2align	6
.LBB109_51:                             ; =>This Inner Loop Header: Depth=1
	s_clause 0x1
	s_load_b64 s[8:9], s[4:5], 0x4
	s_load_b32 s10, s[4:5], 0xc
	s_add_u32 s4, s4, 12
	s_addc_u32 s5, s5, 0
	s_waitcnt lgkmcnt(0)
	v_mul_hi_u32 v5, s9, v4
	s_load_b32 s9, s[2:3], 0x0
	s_add_u32 s2, s2, 4
	s_addc_u32 s3, s3, 0
	s_add_i32 s7, s7, -1
	s_delay_alu instid0(SALU_CYCLE_1) | instskip(NEXT) | instid1(VALU_DEP_1)
	s_cmp_lg_u32 s7, 0
	v_add_nc_u32_e32 v5, v4, v5
	s_delay_alu instid0(VALU_DEP_1) | instskip(NEXT) | instid1(VALU_DEP_1)
	v_lshrrev_b32_e32 v5, s10, v5
	v_mul_lo_u32 v9, v5, s8
	s_delay_alu instid0(VALU_DEP_1) | instskip(SKIP_1) | instid1(VALU_DEP_1)
	v_sub_nc_u32_e32 v4, v4, v9
	s_waitcnt lgkmcnt(0)
	v_mad_u64_u32 v[9:10], null, v4, s9, v[2:3]
	v_mov_b32_e32 v4, v5
	s_delay_alu instid0(VALU_DEP_2)
	v_mov_b32_e32 v2, v9
	s_cbranch_scc1 .LBB109_51
.LBB109_52:
	s_and_not1_b32 vcc_lo, exec_lo, s6
	s_cbranch_vccnz .LBB109_55
; %bb.53:
	s_clause 0x1
	s_load_b128 s[4:7], s[0:1], 0x4
	s_load_b32 s2, s[0:1], 0xc4
	s_cmp_lt_u32 s18, 2
	s_waitcnt lgkmcnt(0)
	v_mul_hi_u32 v2, s5, v3
	s_delay_alu instid0(VALU_DEP_1) | instskip(NEXT) | instid1(VALU_DEP_1)
	v_add_nc_u32_e32 v2, v3, v2
	v_lshrrev_b32_e32 v4, s6, v2
	s_delay_alu instid0(VALU_DEP_1) | instskip(NEXT) | instid1(VALU_DEP_1)
	v_mul_lo_u32 v2, v4, s4
	v_sub_nc_u32_e32 v2, v3, v2
	s_delay_alu instid0(VALU_DEP_1)
	v_mul_lo_u32 v2, v2, s2
	s_cbranch_scc1 .LBB109_55
; %bb.54:
	s_clause 0x1
	s_load_b128 s[4:7], s[0:1], 0x10
	s_load_b32 s2, s[0:1], 0xc8
	s_waitcnt lgkmcnt(0)
	v_mul_hi_u32 v3, s5, v4
	s_delay_alu instid0(VALU_DEP_1) | instskip(NEXT) | instid1(VALU_DEP_1)
	v_add_nc_u32_e32 v3, v4, v3
	v_lshrrev_b32_e32 v3, s6, v3
	s_delay_alu instid0(VALU_DEP_1) | instskip(NEXT) | instid1(VALU_DEP_1)
	v_mul_lo_u32 v3, v3, s4
	v_sub_nc_u32_e32 v5, v4, v3
	s_delay_alu instid0(VALU_DEP_1) | instskip(NEXT) | instid1(VALU_DEP_1)
	v_mad_u64_u32 v[3:4], null, v5, s2, v[2:3]
	v_mov_b32_e32 v2, v3
.LBB109_55:
	v_cmp_ne_u32_e32 vcc_lo, 1, v7
	v_add_nc_u32_e32 v4, 0x180, v6
	s_cbranch_vccnz .LBB109_61
; %bb.56:
	v_mov_b32_e32 v3, 0
	s_cmp_eq_u32 s18, 0
	s_mov_b32 s6, 0
	s_cbranch_scc1 .LBB109_65
; %bb.57:
	s_min_u32 s7, s19, 15
	v_mov_b32_e32 v3, 0
	s_add_i32 s7, s7, 1
	s_cmp_eq_u32 s19, 2
	s_mov_b32 s8, 0
	s_cbranch_scc1 .LBB109_62
; %bb.58:
	v_mov_b32_e32 v3, 0
	v_mov_b32_e32 v5, v4
	s_add_u32 s2, s0, 0xc4
	s_addc_u32 s3, s1, 0
	s_and_b32 s8, s7, 28
	s_mov_b32 s9, 0
	s_mov_b64 s[4:5], s[0:1]
.LBB109_59:                             ; =>This Inner Loop Header: Depth=1
	s_clause 0x1
	s_load_b256 s[20:27], s[4:5], 0x4
	s_load_b128 s[12:15], s[4:5], 0x24
	s_load_b128 s[28:31], s[2:3], 0x0
	s_add_u32 s4, s4, 48
	s_addc_u32 s5, s5, 0
	s_add_i32 s9, s9, 4
	s_add_u32 s2, s2, 16
	s_addc_u32 s3, s3, 0
	s_cmp_lg_u32 s8, s9
	s_waitcnt lgkmcnt(0)
	v_mul_hi_u32 v9, s21, v5
	s_delay_alu instid0(VALU_DEP_1) | instskip(NEXT) | instid1(VALU_DEP_1)
	v_add_nc_u32_e32 v9, v5, v9
	v_lshrrev_b32_e32 v9, s22, v9
	s_delay_alu instid0(VALU_DEP_1) | instskip(SKIP_1) | instid1(VALU_DEP_2)
	v_mul_hi_u32 v10, s24, v9
	v_mul_lo_u32 v13, v9, s20
	v_add_nc_u32_e32 v10, v9, v10
	s_delay_alu instid0(VALU_DEP_2) | instskip(NEXT) | instid1(VALU_DEP_2)
	v_sub_nc_u32_e32 v13, v5, v13
	v_lshrrev_b32_e32 v10, s25, v10
	s_delay_alu instid0(VALU_DEP_2) | instskip(NEXT) | instid1(VALU_DEP_2)
	v_mul_lo_u32 v13, v13, s28
	v_mul_hi_u32 v11, s27, v10
	v_mul_lo_u32 v14, v10, s23
	s_delay_alu instid0(VALU_DEP_2) | instskip(NEXT) | instid1(VALU_DEP_2)
	v_add_nc_u32_e32 v11, v10, v11
	v_sub_nc_u32_e32 v9, v9, v14
	s_delay_alu instid0(VALU_DEP_2) | instskip(NEXT) | instid1(VALU_DEP_2)
	v_lshrrev_b32_e32 v11, s12, v11
	v_mul_lo_u32 v9, v9, s29
	s_delay_alu instid0(VALU_DEP_2) | instskip(NEXT) | instid1(VALU_DEP_2)
	v_mul_hi_u32 v12, s14, v11
	v_add3_u32 v3, v13, v3, v9
	s_delay_alu instid0(VALU_DEP_2) | instskip(NEXT) | instid1(VALU_DEP_1)
	v_add_nc_u32_e32 v12, v11, v12
	v_lshrrev_b32_e32 v5, s15, v12
	v_mul_lo_u32 v12, v11, s26
	s_delay_alu instid0(VALU_DEP_2) | instskip(NEXT) | instid1(VALU_DEP_2)
	v_mul_lo_u32 v15, v5, s13
	v_sub_nc_u32_e32 v10, v10, v12
	s_delay_alu instid0(VALU_DEP_2) | instskip(NEXT) | instid1(VALU_DEP_2)
	v_sub_nc_u32_e32 v11, v11, v15
	v_mul_lo_u32 v10, v10, s30
	s_delay_alu instid0(VALU_DEP_2) | instskip(NEXT) | instid1(VALU_DEP_1)
	v_mul_lo_u32 v11, v11, s31
	v_add3_u32 v3, v10, v3, v11
	s_cbranch_scc1 .LBB109_59
; %bb.60:
	s_and_b32 s7, s7, 3
	s_delay_alu instid0(SALU_CYCLE_1)
	s_cmp_eq_u32 s7, 0
	s_cbranch_scc0 .LBB109_63
	s_branch .LBB109_65
.LBB109_61:
	s_mov_b32 s6, -1
                                        ; implicit-def: $vgpr3
	s_branch .LBB109_65
.LBB109_62:
	v_mov_b32_e32 v5, v4
	s_and_b32 s7, s7, 3
	s_delay_alu instid0(SALU_CYCLE_1)
	s_cmp_eq_u32 s7, 0
	s_cbranch_scc1 .LBB109_65
.LBB109_63:
	s_lshl_b32 s2, s8, 2
	s_mul_i32 s4, s8, 12
	s_add_u32 s2, s2, s0
	s_addc_u32 s3, 0, s1
	s_add_u32 s2, s2, 0xc4
	s_addc_u32 s3, s3, 0
	;; [unrolled: 2-line block ×3, first 2 shown]
	.p2align	6
.LBB109_64:                             ; =>This Inner Loop Header: Depth=1
	s_clause 0x1
	s_load_b64 s[8:9], s[4:5], 0x4
	s_load_b32 s10, s[4:5], 0xc
	s_add_u32 s4, s4, 12
	s_addc_u32 s5, s5, 0
	s_waitcnt lgkmcnt(0)
	v_mul_hi_u32 v9, s9, v5
	s_load_b32 s9, s[2:3], 0x0
	s_add_u32 s2, s2, 4
	s_addc_u32 s3, s3, 0
	s_add_i32 s7, s7, -1
	s_delay_alu instid0(SALU_CYCLE_1) | instskip(NEXT) | instid1(VALU_DEP_1)
	s_cmp_lg_u32 s7, 0
	v_add_nc_u32_e32 v9, v5, v9
	s_delay_alu instid0(VALU_DEP_1) | instskip(NEXT) | instid1(VALU_DEP_1)
	v_lshrrev_b32_e32 v11, s10, v9
	v_mul_lo_u32 v9, v11, s8
	s_delay_alu instid0(VALU_DEP_1) | instskip(SKIP_1) | instid1(VALU_DEP_1)
	v_sub_nc_u32_e32 v5, v5, v9
	s_waitcnt lgkmcnt(0)
	v_mad_u64_u32 v[9:10], null, v5, s9, v[3:4]
	v_mov_b32_e32 v5, v11
	s_delay_alu instid0(VALU_DEP_2)
	v_mov_b32_e32 v3, v9
	s_cbranch_scc1 .LBB109_64
.LBB109_65:
	s_and_not1_b32 vcc_lo, exec_lo, s6
	s_cbranch_vccnz .LBB109_68
; %bb.66:
	s_clause 0x1
	s_load_b128 s[4:7], s[0:1], 0x4
	s_load_b32 s2, s[0:1], 0xc4
	s_cmp_lt_u32 s18, 2
	s_waitcnt lgkmcnt(0)
	v_mul_hi_u32 v3, s5, v4
	s_delay_alu instid0(VALU_DEP_1) | instskip(NEXT) | instid1(VALU_DEP_1)
	v_add_nc_u32_e32 v3, v4, v3
	v_lshrrev_b32_e32 v5, s6, v3
	s_delay_alu instid0(VALU_DEP_1) | instskip(NEXT) | instid1(VALU_DEP_1)
	v_mul_lo_u32 v3, v5, s4
	v_sub_nc_u32_e32 v3, v4, v3
	s_delay_alu instid0(VALU_DEP_1)
	v_mul_lo_u32 v3, v3, s2
	s_cbranch_scc1 .LBB109_68
; %bb.67:
	s_clause 0x1
	s_load_b128 s[4:7], s[0:1], 0x10
	s_load_b32 s2, s[0:1], 0xc8
	s_waitcnt lgkmcnt(0)
	v_mul_hi_u32 v4, s5, v5
	s_delay_alu instid0(VALU_DEP_1) | instskip(NEXT) | instid1(VALU_DEP_1)
	v_add_nc_u32_e32 v4, v5, v4
	v_lshrrev_b32_e32 v4, s6, v4
	s_delay_alu instid0(VALU_DEP_1) | instskip(NEXT) | instid1(VALU_DEP_1)
	v_mul_lo_u32 v4, v4, s4
	v_sub_nc_u32_e32 v9, v5, v4
	s_delay_alu instid0(VALU_DEP_1) | instskip(NEXT) | instid1(VALU_DEP_1)
	v_mad_u64_u32 v[4:5], null, v9, s2, v[3:4]
	v_mov_b32_e32 v3, v4
.LBB109_68:
	v_cmp_ne_u32_e32 vcc_lo, 1, v7
	v_add_nc_u32_e32 v5, 0x200, v6
	s_cbranch_vccnz .LBB109_74
; %bb.69:
	v_mov_b32_e32 v4, 0
	s_cmp_eq_u32 s18, 0
	s_mov_b32 s6, 0
	s_cbranch_scc1 .LBB109_78
; %bb.70:
	s_min_u32 s7, s19, 15
	v_mov_b32_e32 v4, 0
	s_add_i32 s7, s7, 1
	s_cmp_eq_u32 s19, 2
	s_mov_b32 s8, 0
	s_cbranch_scc1 .LBB109_75
; %bb.71:
	v_dual_mov_b32 v4, 0 :: v_dual_mov_b32 v9, v5
	s_add_u32 s2, s0, 0xc4
	s_addc_u32 s3, s1, 0
	s_and_b32 s8, s7, 28
	s_mov_b32 s9, 0
	s_mov_b64 s[4:5], s[0:1]
.LBB109_72:                             ; =>This Inner Loop Header: Depth=1
	s_clause 0x1
	s_load_b256 s[20:27], s[4:5], 0x4
	s_load_b128 s[12:15], s[4:5], 0x24
	s_load_b128 s[28:31], s[2:3], 0x0
	s_add_u32 s4, s4, 48
	s_addc_u32 s5, s5, 0
	s_add_i32 s9, s9, 4
	s_add_u32 s2, s2, 16
	s_addc_u32 s3, s3, 0
	s_cmp_lg_u32 s8, s9
	s_waitcnt lgkmcnt(0)
	v_mul_hi_u32 v10, s21, v9
	s_delay_alu instid0(VALU_DEP_1) | instskip(NEXT) | instid1(VALU_DEP_1)
	v_add_nc_u32_e32 v10, v9, v10
	v_lshrrev_b32_e32 v10, s22, v10
	s_delay_alu instid0(VALU_DEP_1) | instskip(SKIP_1) | instid1(VALU_DEP_2)
	v_mul_hi_u32 v11, s24, v10
	v_mul_lo_u32 v14, v10, s20
	v_add_nc_u32_e32 v11, v10, v11
	s_delay_alu instid0(VALU_DEP_2) | instskip(NEXT) | instid1(VALU_DEP_2)
	v_sub_nc_u32_e32 v14, v9, v14
	v_lshrrev_b32_e32 v11, s25, v11
	s_delay_alu instid0(VALU_DEP_2) | instskip(NEXT) | instid1(VALU_DEP_2)
	v_mul_lo_u32 v14, v14, s28
	v_mul_hi_u32 v12, s27, v11
	v_mul_lo_u32 v15, v11, s23
	s_delay_alu instid0(VALU_DEP_2) | instskip(NEXT) | instid1(VALU_DEP_2)
	v_add_nc_u32_e32 v12, v11, v12
	v_sub_nc_u32_e32 v10, v10, v15
	s_delay_alu instid0(VALU_DEP_2) | instskip(NEXT) | instid1(VALU_DEP_2)
	v_lshrrev_b32_e32 v12, s12, v12
	v_mul_lo_u32 v10, v10, s29
	s_delay_alu instid0(VALU_DEP_2) | instskip(NEXT) | instid1(VALU_DEP_2)
	v_mul_hi_u32 v13, s14, v12
	v_add3_u32 v4, v14, v4, v10
	s_delay_alu instid0(VALU_DEP_2) | instskip(NEXT) | instid1(VALU_DEP_1)
	v_add_nc_u32_e32 v13, v12, v13
	v_lshrrev_b32_e32 v9, s15, v13
	v_mul_lo_u32 v13, v12, s26
	s_delay_alu instid0(VALU_DEP_2) | instskip(NEXT) | instid1(VALU_DEP_2)
	v_mul_lo_u32 v16, v9, s13
	v_sub_nc_u32_e32 v11, v11, v13
	s_delay_alu instid0(VALU_DEP_2) | instskip(NEXT) | instid1(VALU_DEP_2)
	v_sub_nc_u32_e32 v12, v12, v16
	v_mul_lo_u32 v11, v11, s30
	s_delay_alu instid0(VALU_DEP_2) | instskip(NEXT) | instid1(VALU_DEP_1)
	v_mul_lo_u32 v12, v12, s31
	v_add3_u32 v4, v11, v4, v12
	s_cbranch_scc1 .LBB109_72
; %bb.73:
	s_and_b32 s7, s7, 3
	s_delay_alu instid0(SALU_CYCLE_1)
	s_cmp_eq_u32 s7, 0
	s_cbranch_scc0 .LBB109_76
	s_branch .LBB109_78
.LBB109_74:
	s_mov_b32 s6, -1
                                        ; implicit-def: $vgpr4
	s_branch .LBB109_78
.LBB109_75:
	v_mov_b32_e32 v9, v5
	s_and_b32 s7, s7, 3
	s_delay_alu instid0(SALU_CYCLE_1)
	s_cmp_eq_u32 s7, 0
	s_cbranch_scc1 .LBB109_78
.LBB109_76:
	s_lshl_b32 s2, s8, 2
	s_mul_i32 s4, s8, 12
	s_add_u32 s2, s2, s0
	s_addc_u32 s3, 0, s1
	s_add_u32 s2, s2, 0xc4
	s_addc_u32 s3, s3, 0
	;; [unrolled: 2-line block ×3, first 2 shown]
	.p2align	6
.LBB109_77:                             ; =>This Inner Loop Header: Depth=1
	s_clause 0x1
	s_load_b64 s[8:9], s[4:5], 0x4
	s_load_b32 s10, s[4:5], 0xc
	s_add_u32 s4, s4, 12
	s_addc_u32 s5, s5, 0
	s_waitcnt lgkmcnt(0)
	v_mul_hi_u32 v10, s9, v9
	s_load_b32 s9, s[2:3], 0x0
	s_add_u32 s2, s2, 4
	s_addc_u32 s3, s3, 0
	s_add_i32 s7, s7, -1
	s_delay_alu instid0(SALU_CYCLE_1) | instskip(NEXT) | instid1(VALU_DEP_1)
	s_cmp_lg_u32 s7, 0
	v_add_nc_u32_e32 v10, v9, v10
	s_delay_alu instid0(VALU_DEP_1) | instskip(NEXT) | instid1(VALU_DEP_1)
	v_lshrrev_b32_e32 v12, s10, v10
	v_mul_lo_u32 v10, v12, s8
	s_delay_alu instid0(VALU_DEP_1) | instskip(SKIP_1) | instid1(VALU_DEP_1)
	v_sub_nc_u32_e32 v9, v9, v10
	s_waitcnt lgkmcnt(0)
	v_mad_u64_u32 v[10:11], null, v9, s9, v[4:5]
	s_delay_alu instid0(VALU_DEP_1)
	v_dual_mov_b32 v9, v12 :: v_dual_mov_b32 v4, v10
	s_cbranch_scc1 .LBB109_77
.LBB109_78:
	s_and_not1_b32 vcc_lo, exec_lo, s6
	s_cbranch_vccnz .LBB109_81
; %bb.79:
	s_clause 0x1
	s_load_b128 s[4:7], s[0:1], 0x4
	s_load_b32 s2, s[0:1], 0xc4
	s_cmp_lt_u32 s18, 2
	s_waitcnt lgkmcnt(0)
	v_mul_hi_u32 v4, s5, v5
	s_delay_alu instid0(VALU_DEP_1) | instskip(NEXT) | instid1(VALU_DEP_1)
	v_add_nc_u32_e32 v4, v5, v4
	v_lshrrev_b32_e32 v9, s6, v4
	s_delay_alu instid0(VALU_DEP_1) | instskip(NEXT) | instid1(VALU_DEP_1)
	v_mul_lo_u32 v4, v9, s4
	v_sub_nc_u32_e32 v4, v5, v4
	s_delay_alu instid0(VALU_DEP_1)
	v_mul_lo_u32 v4, v4, s2
	s_cbranch_scc1 .LBB109_81
; %bb.80:
	s_clause 0x1
	s_load_b128 s[4:7], s[0:1], 0x10
	s_load_b32 s2, s[0:1], 0xc8
	s_waitcnt lgkmcnt(0)
	v_mul_hi_u32 v5, s5, v9
	s_delay_alu instid0(VALU_DEP_1) | instskip(NEXT) | instid1(VALU_DEP_1)
	v_add_nc_u32_e32 v5, v9, v5
	v_lshrrev_b32_e32 v5, s6, v5
	s_delay_alu instid0(VALU_DEP_1) | instskip(NEXT) | instid1(VALU_DEP_1)
	v_mul_lo_u32 v5, v5, s4
	v_sub_nc_u32_e32 v5, v9, v5
	s_delay_alu instid0(VALU_DEP_1) | instskip(NEXT) | instid1(VALU_DEP_1)
	v_mad_u64_u32 v[9:10], null, v5, s2, v[4:5]
	v_mov_b32_e32 v4, v9
.LBB109_81:
	v_cmp_ne_u32_e32 vcc_lo, 1, v7
	v_add_nc_u32_e32 v9, 0x280, v6
	s_cbranch_vccnz .LBB109_87
; %bb.82:
	v_mov_b32_e32 v5, 0
	s_cmp_eq_u32 s18, 0
	s_mov_b32 s6, 0
	s_cbranch_scc1 .LBB109_91
; %bb.83:
	s_min_u32 s7, s19, 15
	v_mov_b32_e32 v5, 0
	s_add_i32 s7, s7, 1
	s_cmp_eq_u32 s19, 2
	s_mov_b32 s8, 0
	s_cbranch_scc1 .LBB109_88
; %bb.84:
	v_dual_mov_b32 v5, 0 :: v_dual_mov_b32 v10, v9
	s_add_u32 s2, s0, 0xc4
	s_addc_u32 s3, s1, 0
	s_and_b32 s8, s7, 28
	s_mov_b32 s9, 0
	s_mov_b64 s[4:5], s[0:1]
.LBB109_85:                             ; =>This Inner Loop Header: Depth=1
	s_clause 0x1
	s_load_b256 s[20:27], s[4:5], 0x4
	s_load_b128 s[12:15], s[4:5], 0x24
	s_load_b128 s[28:31], s[2:3], 0x0
	s_add_u32 s4, s4, 48
	s_addc_u32 s5, s5, 0
	s_add_i32 s9, s9, 4
	s_add_u32 s2, s2, 16
	s_addc_u32 s3, s3, 0
	s_cmp_lg_u32 s8, s9
	s_waitcnt lgkmcnt(0)
	v_mul_hi_u32 v11, s21, v10
	s_delay_alu instid0(VALU_DEP_1) | instskip(NEXT) | instid1(VALU_DEP_1)
	v_add_nc_u32_e32 v11, v10, v11
	v_lshrrev_b32_e32 v11, s22, v11
	s_delay_alu instid0(VALU_DEP_1) | instskip(SKIP_1) | instid1(VALU_DEP_2)
	v_mul_hi_u32 v12, s24, v11
	v_mul_lo_u32 v15, v11, s20
	v_add_nc_u32_e32 v12, v11, v12
	s_delay_alu instid0(VALU_DEP_2) | instskip(NEXT) | instid1(VALU_DEP_2)
	v_sub_nc_u32_e32 v15, v10, v15
	v_lshrrev_b32_e32 v12, s25, v12
	s_delay_alu instid0(VALU_DEP_2) | instskip(NEXT) | instid1(VALU_DEP_2)
	v_mul_lo_u32 v15, v15, s28
	v_mul_hi_u32 v13, s27, v12
	v_mul_lo_u32 v16, v12, s23
	s_delay_alu instid0(VALU_DEP_2) | instskip(NEXT) | instid1(VALU_DEP_2)
	v_add_nc_u32_e32 v13, v12, v13
	v_sub_nc_u32_e32 v11, v11, v16
	s_delay_alu instid0(VALU_DEP_2) | instskip(NEXT) | instid1(VALU_DEP_2)
	v_lshrrev_b32_e32 v13, s12, v13
	v_mul_lo_u32 v11, v11, s29
	s_delay_alu instid0(VALU_DEP_2) | instskip(NEXT) | instid1(VALU_DEP_2)
	v_mul_hi_u32 v14, s14, v13
	v_add3_u32 v5, v15, v5, v11
	s_delay_alu instid0(VALU_DEP_2) | instskip(NEXT) | instid1(VALU_DEP_1)
	v_add_nc_u32_e32 v14, v13, v14
	v_lshrrev_b32_e32 v10, s15, v14
	v_mul_lo_u32 v14, v13, s26
	s_delay_alu instid0(VALU_DEP_2) | instskip(NEXT) | instid1(VALU_DEP_2)
	v_mul_lo_u32 v17, v10, s13
	v_sub_nc_u32_e32 v12, v12, v14
	s_delay_alu instid0(VALU_DEP_2) | instskip(NEXT) | instid1(VALU_DEP_2)
	v_sub_nc_u32_e32 v13, v13, v17
	v_mul_lo_u32 v12, v12, s30
	s_delay_alu instid0(VALU_DEP_2) | instskip(NEXT) | instid1(VALU_DEP_1)
	v_mul_lo_u32 v13, v13, s31
	v_add3_u32 v5, v12, v5, v13
	s_cbranch_scc1 .LBB109_85
; %bb.86:
	s_and_b32 s7, s7, 3
	s_delay_alu instid0(SALU_CYCLE_1)
	s_cmp_eq_u32 s7, 0
	s_cbranch_scc0 .LBB109_89
	s_branch .LBB109_91
.LBB109_87:
	s_mov_b32 s6, -1
                                        ; implicit-def: $vgpr5
	s_branch .LBB109_91
.LBB109_88:
	v_mov_b32_e32 v10, v9
	s_and_b32 s7, s7, 3
	s_delay_alu instid0(SALU_CYCLE_1)
	s_cmp_eq_u32 s7, 0
	s_cbranch_scc1 .LBB109_91
.LBB109_89:
	s_lshl_b32 s2, s8, 2
	s_mul_i32 s4, s8, 12
	s_add_u32 s2, s2, s0
	s_addc_u32 s3, 0, s1
	s_add_u32 s2, s2, 0xc4
	s_addc_u32 s3, s3, 0
	;; [unrolled: 2-line block ×3, first 2 shown]
	.p2align	6
.LBB109_90:                             ; =>This Inner Loop Header: Depth=1
	s_clause 0x1
	s_load_b64 s[8:9], s[4:5], 0x4
	s_load_b32 s10, s[4:5], 0xc
	s_add_u32 s4, s4, 12
	s_addc_u32 s5, s5, 0
	s_waitcnt lgkmcnt(0)
	v_mul_hi_u32 v11, s9, v10
	s_load_b32 s9, s[2:3], 0x0
	s_add_u32 s2, s2, 4
	s_addc_u32 s3, s3, 0
	s_add_i32 s7, s7, -1
	s_delay_alu instid0(SALU_CYCLE_1) | instskip(NEXT) | instid1(VALU_DEP_1)
	s_cmp_lg_u32 s7, 0
	v_add_nc_u32_e32 v11, v10, v11
	s_delay_alu instid0(VALU_DEP_1) | instskip(NEXT) | instid1(VALU_DEP_1)
	v_lshrrev_b32_e32 v13, s10, v11
	v_mul_lo_u32 v11, v13, s8
	s_delay_alu instid0(VALU_DEP_1) | instskip(SKIP_1) | instid1(VALU_DEP_1)
	v_sub_nc_u32_e32 v10, v10, v11
	s_waitcnt lgkmcnt(0)
	v_mad_u64_u32 v[11:12], null, v10, s9, v[5:6]
	s_delay_alu instid0(VALU_DEP_1)
	v_dual_mov_b32 v10, v13 :: v_dual_mov_b32 v5, v11
	s_cbranch_scc1 .LBB109_90
.LBB109_91:
	s_and_not1_b32 vcc_lo, exec_lo, s6
	s_cbranch_vccnz .LBB109_94
; %bb.92:
	s_clause 0x1
	s_load_b128 s[4:7], s[0:1], 0x4
	s_load_b32 s2, s[0:1], 0xc4
	s_cmp_lt_u32 s18, 2
	s_waitcnt lgkmcnt(0)
	v_mul_hi_u32 v5, s5, v9
	s_delay_alu instid0(VALU_DEP_1) | instskip(NEXT) | instid1(VALU_DEP_1)
	v_add_nc_u32_e32 v5, v9, v5
	v_lshrrev_b32_e32 v10, s6, v5
	s_delay_alu instid0(VALU_DEP_1) | instskip(NEXT) | instid1(VALU_DEP_1)
	v_mul_lo_u32 v5, v10, s4
	v_sub_nc_u32_e32 v5, v9, v5
	s_delay_alu instid0(VALU_DEP_1)
	v_mul_lo_u32 v5, v5, s2
	s_cbranch_scc1 .LBB109_94
; %bb.93:
	s_clause 0x1
	s_load_b128 s[4:7], s[0:1], 0x10
	s_load_b32 s2, s[0:1], 0xc8
	s_waitcnt lgkmcnt(0)
	v_mul_hi_u32 v9, s5, v10
	s_delay_alu instid0(VALU_DEP_1) | instskip(NEXT) | instid1(VALU_DEP_1)
	v_add_nc_u32_e32 v9, v10, v9
	v_lshrrev_b32_e32 v9, s6, v9
	s_delay_alu instid0(VALU_DEP_1) | instskip(NEXT) | instid1(VALU_DEP_1)
	v_mul_lo_u32 v9, v9, s4
	v_sub_nc_u32_e32 v11, v10, v9
	s_delay_alu instid0(VALU_DEP_1) | instskip(NEXT) | instid1(VALU_DEP_1)
	v_mad_u64_u32 v[9:10], null, v11, s2, v[5:6]
	v_mov_b32_e32 v5, v9
.LBB109_94:
	v_cmp_ne_u32_e32 vcc_lo, 1, v7
	v_add_nc_u32_e32 v9, 0x300, v6
	s_cbranch_vccnz .LBB109_100
; %bb.95:
	v_mov_b32_e32 v6, 0
	s_cmp_eq_u32 s18, 0
	s_mov_b32 s6, 0
	s_cbranch_scc1 .LBB109_104
; %bb.96:
	s_min_u32 s7, s19, 15
	v_mov_b32_e32 v6, 0
	s_add_i32 s7, s7, 1
	s_cmp_eq_u32 s19, 2
	s_mov_b32 s8, 0
	s_cbranch_scc1 .LBB109_101
; %bb.97:
	v_mov_b32_e32 v6, 0
	v_mov_b32_e32 v10, v9
	s_add_u32 s2, s0, 0xc4
	s_addc_u32 s3, s1, 0
	s_and_b32 s8, s7, 28
	s_mov_b32 s9, 0
	s_mov_b64 s[4:5], s[0:1]
.LBB109_98:                             ; =>This Inner Loop Header: Depth=1
	s_clause 0x1
	s_load_b256 s[20:27], s[4:5], 0x4
	s_load_b128 s[12:15], s[4:5], 0x24
	s_load_b128 s[28:31], s[2:3], 0x0
	s_add_u32 s4, s4, 48
	s_addc_u32 s5, s5, 0
	s_add_i32 s9, s9, 4
	s_add_u32 s2, s2, 16
	s_addc_u32 s3, s3, 0
	s_cmp_lg_u32 s8, s9
	s_waitcnt lgkmcnt(0)
	v_mul_hi_u32 v11, s21, v10
	s_delay_alu instid0(VALU_DEP_1) | instskip(NEXT) | instid1(VALU_DEP_1)
	v_add_nc_u32_e32 v11, v10, v11
	v_lshrrev_b32_e32 v11, s22, v11
	s_delay_alu instid0(VALU_DEP_1) | instskip(SKIP_1) | instid1(VALU_DEP_2)
	v_mul_hi_u32 v12, s24, v11
	v_mul_lo_u32 v15, v11, s20
	v_add_nc_u32_e32 v12, v11, v12
	s_delay_alu instid0(VALU_DEP_2) | instskip(NEXT) | instid1(VALU_DEP_2)
	v_sub_nc_u32_e32 v15, v10, v15
	v_lshrrev_b32_e32 v12, s25, v12
	s_delay_alu instid0(VALU_DEP_2) | instskip(NEXT) | instid1(VALU_DEP_2)
	v_mul_lo_u32 v15, v15, s28
	v_mul_hi_u32 v13, s27, v12
	v_mul_lo_u32 v16, v12, s23
	s_delay_alu instid0(VALU_DEP_2) | instskip(NEXT) | instid1(VALU_DEP_2)
	v_add_nc_u32_e32 v13, v12, v13
	v_sub_nc_u32_e32 v11, v11, v16
	s_delay_alu instid0(VALU_DEP_2) | instskip(NEXT) | instid1(VALU_DEP_2)
	v_lshrrev_b32_e32 v13, s12, v13
	v_mul_lo_u32 v11, v11, s29
	s_delay_alu instid0(VALU_DEP_2) | instskip(NEXT) | instid1(VALU_DEP_2)
	v_mul_hi_u32 v14, s14, v13
	v_add3_u32 v6, v15, v6, v11
	s_delay_alu instid0(VALU_DEP_2) | instskip(NEXT) | instid1(VALU_DEP_1)
	v_add_nc_u32_e32 v14, v13, v14
	v_lshrrev_b32_e32 v10, s15, v14
	v_mul_lo_u32 v14, v13, s26
	s_delay_alu instid0(VALU_DEP_2) | instskip(NEXT) | instid1(VALU_DEP_2)
	v_mul_lo_u32 v17, v10, s13
	v_sub_nc_u32_e32 v12, v12, v14
	s_delay_alu instid0(VALU_DEP_2) | instskip(NEXT) | instid1(VALU_DEP_2)
	v_sub_nc_u32_e32 v13, v13, v17
	v_mul_lo_u32 v12, v12, s30
	s_delay_alu instid0(VALU_DEP_2) | instskip(NEXT) | instid1(VALU_DEP_1)
	v_mul_lo_u32 v13, v13, s31
	v_add3_u32 v6, v12, v6, v13
	s_cbranch_scc1 .LBB109_98
; %bb.99:
	s_and_b32 s7, s7, 3
	s_delay_alu instid0(SALU_CYCLE_1)
	s_cmp_eq_u32 s7, 0
	s_cbranch_scc0 .LBB109_102
	s_branch .LBB109_104
.LBB109_100:
	s_mov_b32 s6, -1
                                        ; implicit-def: $vgpr6
	s_branch .LBB109_104
.LBB109_101:
	v_mov_b32_e32 v10, v9
	s_and_b32 s7, s7, 3
	s_delay_alu instid0(SALU_CYCLE_1)
	s_cmp_eq_u32 s7, 0
	s_cbranch_scc1 .LBB109_104
.LBB109_102:
	s_lshl_b32 s2, s8, 2
	s_mul_i32 s4, s8, 12
	s_add_u32 s2, s2, s0
	s_addc_u32 s3, 0, s1
	s_add_u32 s2, s2, 0xc4
	s_addc_u32 s3, s3, 0
	;; [unrolled: 2-line block ×3, first 2 shown]
	.p2align	6
.LBB109_103:                            ; =>This Inner Loop Header: Depth=1
	s_clause 0x1
	s_load_b64 s[8:9], s[4:5], 0x4
	s_load_b32 s10, s[4:5], 0xc
	s_add_u32 s4, s4, 12
	s_addc_u32 s5, s5, 0
	s_waitcnt lgkmcnt(0)
	v_mul_hi_u32 v11, s9, v10
	s_load_b32 s9, s[2:3], 0x0
	s_add_u32 s2, s2, 4
	s_addc_u32 s3, s3, 0
	s_add_i32 s7, s7, -1
	s_delay_alu instid0(SALU_CYCLE_1) | instskip(NEXT) | instid1(VALU_DEP_1)
	s_cmp_lg_u32 s7, 0
	v_add_nc_u32_e32 v11, v10, v11
	s_delay_alu instid0(VALU_DEP_1) | instskip(NEXT) | instid1(VALU_DEP_1)
	v_lshrrev_b32_e32 v13, s10, v11
	v_mul_lo_u32 v11, v13, s8
	s_delay_alu instid0(VALU_DEP_1) | instskip(SKIP_1) | instid1(VALU_DEP_1)
	v_sub_nc_u32_e32 v10, v10, v11
	s_waitcnt lgkmcnt(0)
	v_mad_u64_u32 v[11:12], null, v10, s9, v[6:7]
	v_mov_b32_e32 v10, v13
	s_delay_alu instid0(VALU_DEP_2)
	v_mov_b32_e32 v6, v11
	s_cbranch_scc1 .LBB109_103
.LBB109_104:
	s_and_not1_b32 vcc_lo, exec_lo, s6
	s_cbranch_vccnz .LBB109_107
; %bb.105:
	s_clause 0x1
	s_load_b128 s[4:7], s[0:1], 0x4
	s_load_b32 s2, s[0:1], 0xc4
	s_cmp_lt_u32 s18, 2
	s_waitcnt lgkmcnt(0)
	v_mul_hi_u32 v6, s5, v9
	s_delay_alu instid0(VALU_DEP_1) | instskip(NEXT) | instid1(VALU_DEP_1)
	v_add_nc_u32_e32 v6, v9, v6
	v_lshrrev_b32_e32 v10, s6, v6
	s_delay_alu instid0(VALU_DEP_1) | instskip(NEXT) | instid1(VALU_DEP_1)
	v_mul_lo_u32 v6, v10, s4
	v_sub_nc_u32_e32 v6, v9, v6
	s_delay_alu instid0(VALU_DEP_1)
	v_mul_lo_u32 v6, v6, s2
	s_cbranch_scc1 .LBB109_107
; %bb.106:
	s_clause 0x1
	s_load_b128 s[4:7], s[0:1], 0x10
	s_load_b32 s2, s[0:1], 0xc8
	s_waitcnt lgkmcnt(0)
	v_mul_hi_u32 v9, s5, v10
	s_delay_alu instid0(VALU_DEP_1) | instskip(NEXT) | instid1(VALU_DEP_1)
	v_add_nc_u32_e32 v9, v10, v9
	v_lshrrev_b32_e32 v9, s6, v9
	s_delay_alu instid0(VALU_DEP_1) | instskip(NEXT) | instid1(VALU_DEP_1)
	v_mul_lo_u32 v9, v9, s4
	v_sub_nc_u32_e32 v11, v10, v9
	s_delay_alu instid0(VALU_DEP_1) | instskip(NEXT) | instid1(VALU_DEP_1)
	v_mad_u64_u32 v[9:10], null, v11, s2, v[6:7]
	v_mov_b32_e32 v6, v9
.LBB109_107:
	v_cmp_ne_u32_e32 vcc_lo, 1, v7
	s_cbranch_vccnz .LBB109_113
; %bb.108:
	v_mov_b32_e32 v7, 0
	s_cmp_eq_u32 s18, 0
	s_mov_b32 s6, 0
	s_cbranch_scc1 .LBB109_117
; %bb.109:
	s_min_u32 s7, s19, 15
	v_mov_b32_e32 v7, 0
	s_add_i32 s7, s7, 1
	s_cmp_eq_u32 s19, 2
	s_mov_b32 s8, 0
	s_cbranch_scc1 .LBB109_114
; %bb.110:
	v_mov_b32_e32 v7, 0
	v_mov_b32_e32 v9, v8
	s_add_u32 s2, s0, 0xc4
	s_addc_u32 s3, s1, 0
	s_and_b32 s8, s7, 28
	s_mov_b32 s9, 0
	s_mov_b64 s[4:5], s[0:1]
.LBB109_111:                            ; =>This Inner Loop Header: Depth=1
	s_clause 0x1
	s_load_b256 s[20:27], s[4:5], 0x4
	s_load_b128 s[12:15], s[4:5], 0x24
	s_load_b128 s[28:31], s[2:3], 0x0
	s_add_u32 s4, s4, 48
	s_addc_u32 s5, s5, 0
	s_add_i32 s9, s9, 4
	s_add_u32 s2, s2, 16
	s_addc_u32 s3, s3, 0
	s_cmp_lg_u32 s8, s9
	s_waitcnt lgkmcnt(0)
	v_mul_hi_u32 v10, s21, v9
	s_delay_alu instid0(VALU_DEP_1) | instskip(NEXT) | instid1(VALU_DEP_1)
	v_add_nc_u32_e32 v10, v9, v10
	v_lshrrev_b32_e32 v10, s22, v10
	s_delay_alu instid0(VALU_DEP_1) | instskip(SKIP_1) | instid1(VALU_DEP_2)
	v_mul_hi_u32 v11, s24, v10
	v_mul_lo_u32 v14, v10, s20
	v_add_nc_u32_e32 v11, v10, v11
	s_delay_alu instid0(VALU_DEP_2) | instskip(NEXT) | instid1(VALU_DEP_2)
	v_sub_nc_u32_e32 v14, v9, v14
	v_lshrrev_b32_e32 v11, s25, v11
	s_delay_alu instid0(VALU_DEP_2) | instskip(NEXT) | instid1(VALU_DEP_2)
	v_mul_lo_u32 v14, v14, s28
	v_mul_hi_u32 v12, s27, v11
	v_mul_lo_u32 v15, v11, s23
	s_delay_alu instid0(VALU_DEP_2) | instskip(NEXT) | instid1(VALU_DEP_2)
	v_add_nc_u32_e32 v12, v11, v12
	v_sub_nc_u32_e32 v10, v10, v15
	s_delay_alu instid0(VALU_DEP_2) | instskip(NEXT) | instid1(VALU_DEP_2)
	v_lshrrev_b32_e32 v12, s12, v12
	v_mul_lo_u32 v10, v10, s29
	s_delay_alu instid0(VALU_DEP_2) | instskip(NEXT) | instid1(VALU_DEP_2)
	v_mul_hi_u32 v13, s14, v12
	v_add3_u32 v7, v14, v7, v10
	s_delay_alu instid0(VALU_DEP_2) | instskip(NEXT) | instid1(VALU_DEP_1)
	v_add_nc_u32_e32 v13, v12, v13
	v_lshrrev_b32_e32 v9, s15, v13
	v_mul_lo_u32 v13, v12, s26
	s_delay_alu instid0(VALU_DEP_2) | instskip(NEXT) | instid1(VALU_DEP_2)
	v_mul_lo_u32 v16, v9, s13
	v_sub_nc_u32_e32 v11, v11, v13
	s_delay_alu instid0(VALU_DEP_2) | instskip(NEXT) | instid1(VALU_DEP_2)
	v_sub_nc_u32_e32 v12, v12, v16
	v_mul_lo_u32 v11, v11, s30
	s_delay_alu instid0(VALU_DEP_2) | instskip(NEXT) | instid1(VALU_DEP_1)
	v_mul_lo_u32 v12, v12, s31
	v_add3_u32 v7, v11, v7, v12
	s_cbranch_scc1 .LBB109_111
; %bb.112:
	s_and_b32 s7, s7, 3
	s_delay_alu instid0(SALU_CYCLE_1)
	s_cmp_eq_u32 s7, 0
	s_cbranch_scc0 .LBB109_115
	s_branch .LBB109_117
.LBB109_113:
	s_mov_b32 s6, -1
                                        ; implicit-def: $vgpr7
	s_branch .LBB109_117
.LBB109_114:
	v_mov_b32_e32 v9, v8
	s_and_b32 s7, s7, 3
	s_delay_alu instid0(SALU_CYCLE_1)
	s_cmp_eq_u32 s7, 0
	s_cbranch_scc1 .LBB109_117
.LBB109_115:
	s_lshl_b32 s2, s8, 2
	s_mul_i32 s4, s8, 12
	s_add_u32 s2, s2, s0
	s_addc_u32 s3, 0, s1
	s_add_u32 s2, s2, 0xc4
	s_addc_u32 s3, s3, 0
	;; [unrolled: 2-line block ×3, first 2 shown]
	.p2align	6
.LBB109_116:                            ; =>This Inner Loop Header: Depth=1
	s_clause 0x1
	s_load_b64 s[8:9], s[4:5], 0x4
	s_load_b32 s10, s[4:5], 0xc
	s_add_u32 s4, s4, 12
	s_addc_u32 s5, s5, 0
	s_waitcnt lgkmcnt(0)
	v_mul_hi_u32 v10, s9, v9
	s_load_b32 s9, s[2:3], 0x0
	s_add_u32 s2, s2, 4
	s_addc_u32 s3, s3, 0
	s_add_i32 s7, s7, -1
	s_delay_alu instid0(SALU_CYCLE_1) | instskip(NEXT) | instid1(VALU_DEP_1)
	s_cmp_lg_u32 s7, 0
	v_add_nc_u32_e32 v10, v9, v10
	s_delay_alu instid0(VALU_DEP_1) | instskip(NEXT) | instid1(VALU_DEP_1)
	v_lshrrev_b32_e32 v12, s10, v10
	v_mul_lo_u32 v10, v12, s8
	s_delay_alu instid0(VALU_DEP_1) | instskip(SKIP_1) | instid1(VALU_DEP_1)
	v_sub_nc_u32_e32 v9, v9, v10
	s_waitcnt lgkmcnt(0)
	v_mad_u64_u32 v[10:11], null, v9, s9, v[7:8]
	v_mov_b32_e32 v9, v12
	s_delay_alu instid0(VALU_DEP_2)
	v_mov_b32_e32 v7, v10
	s_cbranch_scc1 .LBB109_116
.LBB109_117:
	s_and_not1_b32 vcc_lo, exec_lo, s6
	s_cbranch_vccnz .LBB109_120
; %bb.118:
	s_clause 0x1
	s_load_b128 s[4:7], s[0:1], 0x4
	s_load_b32 s2, s[0:1], 0xc4
	s_cmp_lt_u32 s18, 2
	s_waitcnt lgkmcnt(0)
	v_mul_hi_u32 v7, s5, v8
	s_delay_alu instid0(VALU_DEP_1) | instskip(NEXT) | instid1(VALU_DEP_1)
	v_add_nc_u32_e32 v7, v8, v7
	v_lshrrev_b32_e32 v9, s6, v7
	s_delay_alu instid0(VALU_DEP_1) | instskip(NEXT) | instid1(VALU_DEP_1)
	v_mul_lo_u32 v7, v9, s4
	v_sub_nc_u32_e32 v7, v8, v7
	s_delay_alu instid0(VALU_DEP_1)
	v_mul_lo_u32 v7, v7, s2
	s_cbranch_scc1 .LBB109_120
; %bb.119:
	s_clause 0x1
	s_load_b128 s[4:7], s[0:1], 0x10
	s_load_b32 s2, s[0:1], 0xc8
	s_waitcnt lgkmcnt(0)
	v_mul_hi_u32 v8, s5, v9
	s_delay_alu instid0(VALU_DEP_1) | instskip(NEXT) | instid1(VALU_DEP_1)
	v_add_nc_u32_e32 v8, v9, v8
	v_lshrrev_b32_e32 v8, s6, v8
	s_delay_alu instid0(VALU_DEP_1) | instskip(NEXT) | instid1(VALU_DEP_1)
	v_mul_lo_u32 v8, v8, s4
	v_sub_nc_u32_e32 v10, v9, v8
	s_delay_alu instid0(VALU_DEP_1) | instskip(NEXT) | instid1(VALU_DEP_1)
	v_mad_u64_u32 v[8:9], null, v10, s2, v[7:8]
	v_mov_b32_e32 v7, v8
.LBB109_120:
	s_clause 0x1
	s_load_b32 s2, s[0:1], 0x110
	s_load_b64 s[0:1], s[0:1], 0x108
	s_waitcnt lgkmcnt(0)
	v_mov_b32_e32 v8, s2
	s_clause 0x7
	global_store_b16 v0, v8, s[0:1]
	global_store_b16 v1, v8, s[0:1]
	;; [unrolled: 1-line block ×8, first 2 shown]
	s_nop 0
	s_sendmsg sendmsg(MSG_DEALLOC_VGPRS)
	s_endpgm
.LBB109_121:
	v_mov_b32_e32 v1, v6
.LBB109_122:
	s_and_b32 s29, s29, 3
	s_delay_alu instid0(SALU_CYCLE_1)
	s_cmp_eq_u32 s29, 0
	s_cbranch_scc1 .LBB109_125
; %bb.123:
	s_lshl_b32 s14, s28, 2
	s_mul_i32 s16, s28, 12
	s_add_u32 s14, s14, s0
	s_addc_u32 s15, s1, 0
	s_add_u32 s14, s14, 0xc4
	s_addc_u32 s15, s15, 0
	;; [unrolled: 2-line block ×3, first 2 shown]
	.p2align	6
.LBB109_124:                            ; =>This Inner Loop Header: Depth=1
	s_clause 0x1
	s_load_b64 s[30:31], s[16:17], 0x4
	s_load_b32 s28, s[16:17], 0xc
	s_add_u32 s16, s16, 12
	s_addc_u32 s17, s17, 0
	s_waitcnt lgkmcnt(0)
	v_mul_hi_u32 v2, s31, v1
	s_load_b32 s31, s[14:15], 0x0
	s_add_u32 s14, s14, 4
	s_addc_u32 s15, s15, 0
	s_add_i32 s29, s29, -1
	s_delay_alu instid0(SALU_CYCLE_1) | instskip(NEXT) | instid1(VALU_DEP_1)
	s_cmp_lg_u32 s29, 0
	v_add_nc_u32_e32 v2, v1, v2
	s_delay_alu instid0(VALU_DEP_1) | instskip(NEXT) | instid1(VALU_DEP_1)
	v_lshrrev_b32_e32 v4, s28, v2
	v_mul_lo_u32 v2, v4, s30
	s_delay_alu instid0(VALU_DEP_1) | instskip(SKIP_1) | instid1(VALU_DEP_1)
	v_sub_nc_u32_e32 v1, v1, v2
	s_waitcnt lgkmcnt(0)
	v_mad_u64_u32 v[2:3], null, v1, s31, v[0:1]
	s_delay_alu instid0(VALU_DEP_1)
	v_dual_mov_b32 v1, v4 :: v_dual_mov_b32 v0, v2
	s_cbranch_scc1 .LBB109_124
.LBB109_125:
	s_cbranch_execnz .LBB109_128
.LBB109_126:
	s_waitcnt lgkmcnt(0)
	v_mul_hi_u32 v0, s5, v6
	s_and_not1_b32 vcc_lo, exec_lo, s23
	s_delay_alu instid0(VALU_DEP_1) | instskip(NEXT) | instid1(VALU_DEP_1)
	v_add_nc_u32_e32 v0, v6, v0
	v_lshrrev_b32_e32 v1, s6, v0
	s_delay_alu instid0(VALU_DEP_1) | instskip(NEXT) | instid1(VALU_DEP_1)
	v_mul_lo_u32 v0, v1, s4
	v_sub_nc_u32_e32 v0, v6, v0
	s_delay_alu instid0(VALU_DEP_1)
	v_mul_lo_u32 v0, v0, s8
	s_cbranch_vccnz .LBB109_128
; %bb.127:
	v_mul_hi_u32 v2, s10, v1
	s_delay_alu instid0(VALU_DEP_1) | instskip(NEXT) | instid1(VALU_DEP_1)
	v_add_nc_u32_e32 v2, v1, v2
	v_lshrrev_b32_e32 v2, s11, v2
	s_delay_alu instid0(VALU_DEP_1) | instskip(NEXT) | instid1(VALU_DEP_1)
	v_mul_lo_u32 v2, v2, s7
	v_sub_nc_u32_e32 v3, v1, v2
	s_delay_alu instid0(VALU_DEP_1) | instskip(NEXT) | instid1(VALU_DEP_1)
	v_mad_u64_u32 v[1:2], null, v3, s9, v[0:1]
	v_mov_b32_e32 v0, v1
.LBB109_128:
	s_waitcnt lgkmcnt(0)
	v_dual_mov_b32 v1, s22 :: v_dual_add_nc_u32 v6, 0x80, v6
	global_store_b16 v0, v1, s[2:3]
	s_or_b32 exec_lo, exec_lo, s27
	s_delay_alu instid0(SALU_CYCLE_1)
	s_mov_b32 s27, exec_lo
	v_cmpx_gt_i32_e64 s24, v6
	s_cbranch_execnz .LBB109_15
.LBB109_129:
	s_or_b32 exec_lo, exec_lo, s27
	s_delay_alu instid0(SALU_CYCLE_1)
	s_mov_b32 s27, exec_lo
	v_cmpx_gt_i32_e64 s24, v6
	s_cbranch_execz .LBB109_144
.LBB109_130:
	s_and_not1_b32 vcc_lo, exec_lo, s20
	s_cbranch_vccnz .LBB109_135
; %bb.131:
	v_mov_b32_e32 v0, 0
	s_and_not1_b32 vcc_lo, exec_lo, s26
	s_cbranch_vccnz .LBB109_155
; %bb.132:
	s_add_i32 s29, s25, 1
	s_cmp_eq_u32 s19, 2
	s_mov_b32 s28, 0
	s_cbranch_scc1 .LBB109_151
; %bb.133:
	v_dual_mov_b32 v0, 0 :: v_dual_mov_b32 v1, v6
	s_and_b32 s28, s29, 28
	s_mov_b32 s30, 0
	s_mov_b64 s[14:15], s[0:1]
	s_mov_b64 s[16:17], s[12:13]
.LBB109_134:                            ; =>This Inner Loop Header: Depth=1
	s_clause 0x1
	s_load_b256 s[36:43], s[14:15], 0x4
	s_load_b128 s[44:47], s[14:15], 0x24
	s_load_b128 s[48:51], s[16:17], 0x0
	s_add_u32 s14, s14, 48
	s_addc_u32 s15, s15, 0
	s_add_i32 s30, s30, 4
	s_add_u32 s16, s16, 16
	s_addc_u32 s17, s17, 0
	s_cmp_eq_u32 s28, s30
	s_waitcnt lgkmcnt(0)
	v_mul_hi_u32 v2, s37, v1
	s_delay_alu instid0(VALU_DEP_1) | instskip(NEXT) | instid1(VALU_DEP_1)
	v_add_nc_u32_e32 v2, v1, v2
	v_lshrrev_b32_e32 v2, s38, v2
	s_delay_alu instid0(VALU_DEP_1) | instskip(SKIP_1) | instid1(VALU_DEP_2)
	v_mul_hi_u32 v3, s40, v2
	v_mul_lo_u32 v7, v2, s36
	v_add_nc_u32_e32 v3, v2, v3
	s_delay_alu instid0(VALU_DEP_2) | instskip(NEXT) | instid1(VALU_DEP_2)
	v_sub_nc_u32_e32 v7, v1, v7
	v_lshrrev_b32_e32 v3, s41, v3
	s_delay_alu instid0(VALU_DEP_2) | instskip(NEXT) | instid1(VALU_DEP_2)
	v_mul_lo_u32 v7, v7, s48
	v_mul_hi_u32 v4, s43, v3
	v_mul_lo_u32 v8, v3, s39
	s_delay_alu instid0(VALU_DEP_2) | instskip(NEXT) | instid1(VALU_DEP_2)
	v_add_nc_u32_e32 v4, v3, v4
	v_sub_nc_u32_e32 v2, v2, v8
	s_delay_alu instid0(VALU_DEP_2) | instskip(NEXT) | instid1(VALU_DEP_2)
	v_lshrrev_b32_e32 v4, s44, v4
	v_mul_lo_u32 v2, v2, s49
	s_delay_alu instid0(VALU_DEP_2) | instskip(NEXT) | instid1(VALU_DEP_2)
	v_mul_hi_u32 v5, s46, v4
	v_add3_u32 v0, v7, v0, v2
	s_delay_alu instid0(VALU_DEP_2) | instskip(NEXT) | instid1(VALU_DEP_1)
	v_add_nc_u32_e32 v5, v4, v5
	v_lshrrev_b32_e32 v1, s47, v5
	v_mul_lo_u32 v5, v4, s42
	s_delay_alu instid0(VALU_DEP_2) | instskip(NEXT) | instid1(VALU_DEP_2)
	v_mul_lo_u32 v9, v1, s45
	v_sub_nc_u32_e32 v3, v3, v5
	s_delay_alu instid0(VALU_DEP_2) | instskip(NEXT) | instid1(VALU_DEP_2)
	v_sub_nc_u32_e32 v4, v4, v9
	v_mul_lo_u32 v3, v3, s50
	s_delay_alu instid0(VALU_DEP_2) | instskip(NEXT) | instid1(VALU_DEP_1)
	v_mul_lo_u32 v4, v4, s51
	v_add3_u32 v0, v3, v0, v4
	s_cbranch_scc0 .LBB109_134
	s_branch .LBB109_152
.LBB109_135:
                                        ; implicit-def: $vgpr0
	s_branch .LBB109_156
.LBB109_136:
	v_mov_b32_e32 v1, v6
.LBB109_137:
	s_and_b32 s29, s29, 3
	s_delay_alu instid0(SALU_CYCLE_1)
	s_cmp_eq_u32 s29, 0
	s_cbranch_scc1 .LBB109_140
; %bb.138:
	s_lshl_b32 s14, s28, 2
	s_mul_i32 s16, s28, 12
	s_add_u32 s14, s14, s0
	s_addc_u32 s15, s1, 0
	s_add_u32 s14, s14, 0xc4
	s_addc_u32 s15, s15, 0
	;; [unrolled: 2-line block ×3, first 2 shown]
	.p2align	6
.LBB109_139:                            ; =>This Inner Loop Header: Depth=1
	s_clause 0x1
	s_load_b64 s[30:31], s[16:17], 0x4
	s_load_b32 s28, s[16:17], 0xc
	s_add_u32 s16, s16, 12
	s_addc_u32 s17, s17, 0
	s_waitcnt lgkmcnt(0)
	v_mul_hi_u32 v2, s31, v1
	s_load_b32 s31, s[14:15], 0x0
	s_add_u32 s14, s14, 4
	s_addc_u32 s15, s15, 0
	s_add_i32 s29, s29, -1
	s_delay_alu instid0(SALU_CYCLE_1) | instskip(NEXT) | instid1(VALU_DEP_1)
	s_cmp_lg_u32 s29, 0
	v_add_nc_u32_e32 v2, v1, v2
	s_delay_alu instid0(VALU_DEP_1) | instskip(NEXT) | instid1(VALU_DEP_1)
	v_lshrrev_b32_e32 v4, s28, v2
	v_mul_lo_u32 v2, v4, s30
	s_delay_alu instid0(VALU_DEP_1) | instskip(SKIP_1) | instid1(VALU_DEP_1)
	v_sub_nc_u32_e32 v1, v1, v2
	s_waitcnt lgkmcnt(0)
	v_mad_u64_u32 v[2:3], null, v1, s31, v[0:1]
	s_delay_alu instid0(VALU_DEP_1)
	v_dual_mov_b32 v1, v4 :: v_dual_mov_b32 v0, v2
	s_cbranch_scc1 .LBB109_139
.LBB109_140:
	s_cbranch_execnz .LBB109_143
.LBB109_141:
	s_waitcnt lgkmcnt(0)
	v_mul_hi_u32 v0, s5, v6
	s_and_not1_b32 vcc_lo, exec_lo, s23
	s_delay_alu instid0(VALU_DEP_1) | instskip(NEXT) | instid1(VALU_DEP_1)
	v_add_nc_u32_e32 v0, v6, v0
	v_lshrrev_b32_e32 v1, s6, v0
	s_delay_alu instid0(VALU_DEP_1) | instskip(NEXT) | instid1(VALU_DEP_1)
	v_mul_lo_u32 v0, v1, s4
	v_sub_nc_u32_e32 v0, v6, v0
	s_delay_alu instid0(VALU_DEP_1)
	v_mul_lo_u32 v0, v0, s8
	s_cbranch_vccnz .LBB109_143
; %bb.142:
	v_mul_hi_u32 v2, s10, v1
	s_delay_alu instid0(VALU_DEP_1) | instskip(NEXT) | instid1(VALU_DEP_1)
	v_add_nc_u32_e32 v2, v1, v2
	v_lshrrev_b32_e32 v2, s11, v2
	s_delay_alu instid0(VALU_DEP_1) | instskip(NEXT) | instid1(VALU_DEP_1)
	v_mul_lo_u32 v2, v2, s7
	v_sub_nc_u32_e32 v3, v1, v2
	s_delay_alu instid0(VALU_DEP_1) | instskip(NEXT) | instid1(VALU_DEP_1)
	v_mad_u64_u32 v[1:2], null, v3, s9, v[0:1]
	v_mov_b32_e32 v0, v1
.LBB109_143:
	s_waitcnt lgkmcnt(0)
	v_dual_mov_b32 v1, s22 :: v_dual_add_nc_u32 v6, 0x80, v6
	global_store_b16 v0, v1, s[2:3]
	s_or_b32 exec_lo, exec_lo, s27
	s_delay_alu instid0(SALU_CYCLE_1)
	s_mov_b32 s27, exec_lo
	v_cmpx_gt_i32_e64 s24, v6
	s_cbranch_execnz .LBB109_130
.LBB109_144:
	s_or_b32 exec_lo, exec_lo, s27
	s_delay_alu instid0(SALU_CYCLE_1)
	s_mov_b32 s27, exec_lo
	v_cmpx_gt_i32_e64 s24, v6
	s_cbranch_execz .LBB109_159
.LBB109_145:
	s_and_not1_b32 vcc_lo, exec_lo, s20
	s_cbranch_vccnz .LBB109_150
; %bb.146:
	v_mov_b32_e32 v0, 0
	s_and_not1_b32 vcc_lo, exec_lo, s26
	s_cbranch_vccnz .LBB109_170
; %bb.147:
	s_add_i32 s29, s25, 1
	s_cmp_eq_u32 s19, 2
	s_mov_b32 s28, 0
	s_cbranch_scc1 .LBB109_166
; %bb.148:
	v_dual_mov_b32 v0, 0 :: v_dual_mov_b32 v1, v6
	s_and_b32 s28, s29, 28
	s_mov_b32 s30, 0
	s_mov_b64 s[14:15], s[0:1]
	s_mov_b64 s[16:17], s[12:13]
.LBB109_149:                            ; =>This Inner Loop Header: Depth=1
	s_clause 0x1
	s_load_b256 s[36:43], s[14:15], 0x4
	s_load_b128 s[44:47], s[14:15], 0x24
	s_load_b128 s[48:51], s[16:17], 0x0
	s_add_u32 s14, s14, 48
	s_addc_u32 s15, s15, 0
	s_add_i32 s30, s30, 4
	s_add_u32 s16, s16, 16
	s_addc_u32 s17, s17, 0
	s_cmp_eq_u32 s28, s30
	s_waitcnt lgkmcnt(0)
	v_mul_hi_u32 v2, s37, v1
	s_delay_alu instid0(VALU_DEP_1) | instskip(NEXT) | instid1(VALU_DEP_1)
	v_add_nc_u32_e32 v2, v1, v2
	v_lshrrev_b32_e32 v2, s38, v2
	s_delay_alu instid0(VALU_DEP_1) | instskip(SKIP_1) | instid1(VALU_DEP_2)
	v_mul_hi_u32 v3, s40, v2
	v_mul_lo_u32 v7, v2, s36
	v_add_nc_u32_e32 v3, v2, v3
	s_delay_alu instid0(VALU_DEP_2) | instskip(NEXT) | instid1(VALU_DEP_2)
	v_sub_nc_u32_e32 v7, v1, v7
	v_lshrrev_b32_e32 v3, s41, v3
	s_delay_alu instid0(VALU_DEP_2) | instskip(NEXT) | instid1(VALU_DEP_2)
	v_mul_lo_u32 v7, v7, s48
	v_mul_hi_u32 v4, s43, v3
	v_mul_lo_u32 v8, v3, s39
	s_delay_alu instid0(VALU_DEP_2) | instskip(NEXT) | instid1(VALU_DEP_2)
	v_add_nc_u32_e32 v4, v3, v4
	v_sub_nc_u32_e32 v2, v2, v8
	s_delay_alu instid0(VALU_DEP_2) | instskip(NEXT) | instid1(VALU_DEP_2)
	v_lshrrev_b32_e32 v4, s44, v4
	v_mul_lo_u32 v2, v2, s49
	s_delay_alu instid0(VALU_DEP_2) | instskip(NEXT) | instid1(VALU_DEP_2)
	v_mul_hi_u32 v5, s46, v4
	v_add3_u32 v0, v7, v0, v2
	s_delay_alu instid0(VALU_DEP_2) | instskip(NEXT) | instid1(VALU_DEP_1)
	v_add_nc_u32_e32 v5, v4, v5
	v_lshrrev_b32_e32 v1, s47, v5
	v_mul_lo_u32 v5, v4, s42
	s_delay_alu instid0(VALU_DEP_2) | instskip(NEXT) | instid1(VALU_DEP_2)
	v_mul_lo_u32 v9, v1, s45
	v_sub_nc_u32_e32 v3, v3, v5
	s_delay_alu instid0(VALU_DEP_2) | instskip(NEXT) | instid1(VALU_DEP_2)
	v_sub_nc_u32_e32 v4, v4, v9
	v_mul_lo_u32 v3, v3, s50
	s_delay_alu instid0(VALU_DEP_2) | instskip(NEXT) | instid1(VALU_DEP_1)
	v_mul_lo_u32 v4, v4, s51
	v_add3_u32 v0, v3, v0, v4
	s_cbranch_scc0 .LBB109_149
	s_branch .LBB109_167
.LBB109_150:
                                        ; implicit-def: $vgpr0
	s_branch .LBB109_171
.LBB109_151:
	v_mov_b32_e32 v1, v6
.LBB109_152:
	s_and_b32 s29, s29, 3
	s_delay_alu instid0(SALU_CYCLE_1)
	s_cmp_eq_u32 s29, 0
	s_cbranch_scc1 .LBB109_155
; %bb.153:
	s_lshl_b32 s14, s28, 2
	s_mul_i32 s16, s28, 12
	s_add_u32 s14, s14, s0
	s_addc_u32 s15, s1, 0
	s_add_u32 s14, s14, 0xc4
	s_addc_u32 s15, s15, 0
	;; [unrolled: 2-line block ×3, first 2 shown]
	.p2align	6
.LBB109_154:                            ; =>This Inner Loop Header: Depth=1
	s_clause 0x1
	s_load_b64 s[30:31], s[16:17], 0x4
	s_load_b32 s28, s[16:17], 0xc
	s_add_u32 s16, s16, 12
	s_addc_u32 s17, s17, 0
	s_waitcnt lgkmcnt(0)
	v_mul_hi_u32 v2, s31, v1
	s_load_b32 s31, s[14:15], 0x0
	s_add_u32 s14, s14, 4
	s_addc_u32 s15, s15, 0
	s_add_i32 s29, s29, -1
	s_delay_alu instid0(SALU_CYCLE_1) | instskip(NEXT) | instid1(VALU_DEP_1)
	s_cmp_lg_u32 s29, 0
	v_add_nc_u32_e32 v2, v1, v2
	s_delay_alu instid0(VALU_DEP_1) | instskip(NEXT) | instid1(VALU_DEP_1)
	v_lshrrev_b32_e32 v4, s28, v2
	v_mul_lo_u32 v2, v4, s30
	s_delay_alu instid0(VALU_DEP_1) | instskip(SKIP_1) | instid1(VALU_DEP_1)
	v_sub_nc_u32_e32 v1, v1, v2
	s_waitcnt lgkmcnt(0)
	v_mad_u64_u32 v[2:3], null, v1, s31, v[0:1]
	s_delay_alu instid0(VALU_DEP_1)
	v_dual_mov_b32 v1, v4 :: v_dual_mov_b32 v0, v2
	s_cbranch_scc1 .LBB109_154
.LBB109_155:
	s_cbranch_execnz .LBB109_158
.LBB109_156:
	s_waitcnt lgkmcnt(0)
	v_mul_hi_u32 v0, s5, v6
	s_and_not1_b32 vcc_lo, exec_lo, s23
	s_delay_alu instid0(VALU_DEP_1) | instskip(NEXT) | instid1(VALU_DEP_1)
	v_add_nc_u32_e32 v0, v6, v0
	v_lshrrev_b32_e32 v1, s6, v0
	s_delay_alu instid0(VALU_DEP_1) | instskip(NEXT) | instid1(VALU_DEP_1)
	v_mul_lo_u32 v0, v1, s4
	v_sub_nc_u32_e32 v0, v6, v0
	s_delay_alu instid0(VALU_DEP_1)
	v_mul_lo_u32 v0, v0, s8
	s_cbranch_vccnz .LBB109_158
; %bb.157:
	v_mul_hi_u32 v2, s10, v1
	s_delay_alu instid0(VALU_DEP_1) | instskip(NEXT) | instid1(VALU_DEP_1)
	v_add_nc_u32_e32 v2, v1, v2
	v_lshrrev_b32_e32 v2, s11, v2
	s_delay_alu instid0(VALU_DEP_1) | instskip(NEXT) | instid1(VALU_DEP_1)
	v_mul_lo_u32 v2, v2, s7
	v_sub_nc_u32_e32 v3, v1, v2
	s_delay_alu instid0(VALU_DEP_1) | instskip(NEXT) | instid1(VALU_DEP_1)
	v_mad_u64_u32 v[1:2], null, v3, s9, v[0:1]
	v_mov_b32_e32 v0, v1
.LBB109_158:
	s_waitcnt lgkmcnt(0)
	v_dual_mov_b32 v1, s22 :: v_dual_add_nc_u32 v6, 0x80, v6
	global_store_b16 v0, v1, s[2:3]
	s_or_b32 exec_lo, exec_lo, s27
	s_delay_alu instid0(SALU_CYCLE_1)
	s_mov_b32 s27, exec_lo
	v_cmpx_gt_i32_e64 s24, v6
	s_cbranch_execnz .LBB109_145
.LBB109_159:
	s_or_b32 exec_lo, exec_lo, s27
	s_delay_alu instid0(SALU_CYCLE_1)
	s_mov_b32 s27, exec_lo
	v_cmpx_gt_i32_e64 s24, v6
	s_cbranch_execz .LBB109_174
.LBB109_160:
	s_and_not1_b32 vcc_lo, exec_lo, s20
	s_cbranch_vccnz .LBB109_165
; %bb.161:
	v_mov_b32_e32 v0, 0
	s_and_not1_b32 vcc_lo, exec_lo, s26
	s_cbranch_vccnz .LBB109_185
; %bb.162:
	s_add_i32 s29, s25, 1
	s_cmp_eq_u32 s19, 2
	s_mov_b32 s28, 0
	s_cbranch_scc1 .LBB109_181
; %bb.163:
	v_dual_mov_b32 v0, 0 :: v_dual_mov_b32 v1, v6
	s_and_b32 s28, s29, 28
	s_mov_b32 s30, 0
	s_mov_b64 s[14:15], s[0:1]
	s_mov_b64 s[16:17], s[12:13]
.LBB109_164:                            ; =>This Inner Loop Header: Depth=1
	s_clause 0x1
	s_load_b256 s[36:43], s[14:15], 0x4
	s_load_b128 s[44:47], s[14:15], 0x24
	s_load_b128 s[48:51], s[16:17], 0x0
	s_add_u32 s14, s14, 48
	s_addc_u32 s15, s15, 0
	s_add_i32 s30, s30, 4
	s_add_u32 s16, s16, 16
	s_addc_u32 s17, s17, 0
	s_cmp_eq_u32 s28, s30
	s_waitcnt lgkmcnt(0)
	v_mul_hi_u32 v2, s37, v1
	s_delay_alu instid0(VALU_DEP_1) | instskip(NEXT) | instid1(VALU_DEP_1)
	v_add_nc_u32_e32 v2, v1, v2
	v_lshrrev_b32_e32 v2, s38, v2
	s_delay_alu instid0(VALU_DEP_1) | instskip(SKIP_1) | instid1(VALU_DEP_2)
	v_mul_hi_u32 v3, s40, v2
	v_mul_lo_u32 v7, v2, s36
	v_add_nc_u32_e32 v3, v2, v3
	s_delay_alu instid0(VALU_DEP_2) | instskip(NEXT) | instid1(VALU_DEP_2)
	v_sub_nc_u32_e32 v7, v1, v7
	v_lshrrev_b32_e32 v3, s41, v3
	s_delay_alu instid0(VALU_DEP_2) | instskip(NEXT) | instid1(VALU_DEP_2)
	v_mul_lo_u32 v7, v7, s48
	v_mul_hi_u32 v4, s43, v3
	v_mul_lo_u32 v8, v3, s39
	s_delay_alu instid0(VALU_DEP_2) | instskip(NEXT) | instid1(VALU_DEP_2)
	v_add_nc_u32_e32 v4, v3, v4
	v_sub_nc_u32_e32 v2, v2, v8
	s_delay_alu instid0(VALU_DEP_2) | instskip(NEXT) | instid1(VALU_DEP_2)
	v_lshrrev_b32_e32 v4, s44, v4
	v_mul_lo_u32 v2, v2, s49
	s_delay_alu instid0(VALU_DEP_2) | instskip(NEXT) | instid1(VALU_DEP_2)
	v_mul_hi_u32 v5, s46, v4
	v_add3_u32 v0, v7, v0, v2
	s_delay_alu instid0(VALU_DEP_2) | instskip(NEXT) | instid1(VALU_DEP_1)
	v_add_nc_u32_e32 v5, v4, v5
	v_lshrrev_b32_e32 v1, s47, v5
	v_mul_lo_u32 v5, v4, s42
	s_delay_alu instid0(VALU_DEP_2) | instskip(NEXT) | instid1(VALU_DEP_2)
	v_mul_lo_u32 v9, v1, s45
	v_sub_nc_u32_e32 v3, v3, v5
	s_delay_alu instid0(VALU_DEP_2) | instskip(NEXT) | instid1(VALU_DEP_2)
	v_sub_nc_u32_e32 v4, v4, v9
	v_mul_lo_u32 v3, v3, s50
	s_delay_alu instid0(VALU_DEP_2) | instskip(NEXT) | instid1(VALU_DEP_1)
	v_mul_lo_u32 v4, v4, s51
	v_add3_u32 v0, v3, v0, v4
	s_cbranch_scc0 .LBB109_164
	s_branch .LBB109_182
.LBB109_165:
                                        ; implicit-def: $vgpr0
	s_branch .LBB109_186
.LBB109_166:
	v_mov_b32_e32 v1, v6
.LBB109_167:
	s_and_b32 s29, s29, 3
	s_delay_alu instid0(SALU_CYCLE_1)
	s_cmp_eq_u32 s29, 0
	s_cbranch_scc1 .LBB109_170
; %bb.168:
	s_lshl_b32 s14, s28, 2
	s_mul_i32 s16, s28, 12
	s_add_u32 s14, s14, s0
	s_addc_u32 s15, s1, 0
	s_add_u32 s14, s14, 0xc4
	s_addc_u32 s15, s15, 0
	;; [unrolled: 2-line block ×3, first 2 shown]
	.p2align	6
.LBB109_169:                            ; =>This Inner Loop Header: Depth=1
	s_clause 0x1
	s_load_b64 s[30:31], s[16:17], 0x4
	s_load_b32 s28, s[16:17], 0xc
	s_add_u32 s16, s16, 12
	s_addc_u32 s17, s17, 0
	s_waitcnt lgkmcnt(0)
	v_mul_hi_u32 v2, s31, v1
	s_load_b32 s31, s[14:15], 0x0
	s_add_u32 s14, s14, 4
	s_addc_u32 s15, s15, 0
	s_add_i32 s29, s29, -1
	s_delay_alu instid0(SALU_CYCLE_1) | instskip(NEXT) | instid1(VALU_DEP_1)
	s_cmp_lg_u32 s29, 0
	v_add_nc_u32_e32 v2, v1, v2
	s_delay_alu instid0(VALU_DEP_1) | instskip(NEXT) | instid1(VALU_DEP_1)
	v_lshrrev_b32_e32 v4, s28, v2
	v_mul_lo_u32 v2, v4, s30
	s_delay_alu instid0(VALU_DEP_1) | instskip(SKIP_1) | instid1(VALU_DEP_1)
	v_sub_nc_u32_e32 v1, v1, v2
	s_waitcnt lgkmcnt(0)
	v_mad_u64_u32 v[2:3], null, v1, s31, v[0:1]
	s_delay_alu instid0(VALU_DEP_1)
	v_dual_mov_b32 v1, v4 :: v_dual_mov_b32 v0, v2
	s_cbranch_scc1 .LBB109_169
.LBB109_170:
	s_cbranch_execnz .LBB109_173
.LBB109_171:
	s_waitcnt lgkmcnt(0)
	v_mul_hi_u32 v0, s5, v6
	s_and_not1_b32 vcc_lo, exec_lo, s23
	s_delay_alu instid0(VALU_DEP_1) | instskip(NEXT) | instid1(VALU_DEP_1)
	v_add_nc_u32_e32 v0, v6, v0
	v_lshrrev_b32_e32 v1, s6, v0
	s_delay_alu instid0(VALU_DEP_1) | instskip(NEXT) | instid1(VALU_DEP_1)
	v_mul_lo_u32 v0, v1, s4
	v_sub_nc_u32_e32 v0, v6, v0
	s_delay_alu instid0(VALU_DEP_1)
	v_mul_lo_u32 v0, v0, s8
	s_cbranch_vccnz .LBB109_173
; %bb.172:
	v_mul_hi_u32 v2, s10, v1
	s_delay_alu instid0(VALU_DEP_1) | instskip(NEXT) | instid1(VALU_DEP_1)
	v_add_nc_u32_e32 v2, v1, v2
	v_lshrrev_b32_e32 v2, s11, v2
	s_delay_alu instid0(VALU_DEP_1) | instskip(NEXT) | instid1(VALU_DEP_1)
	v_mul_lo_u32 v2, v2, s7
	v_sub_nc_u32_e32 v3, v1, v2
	s_delay_alu instid0(VALU_DEP_1) | instskip(NEXT) | instid1(VALU_DEP_1)
	v_mad_u64_u32 v[1:2], null, v3, s9, v[0:1]
	v_mov_b32_e32 v0, v1
.LBB109_173:
	s_waitcnt lgkmcnt(0)
	v_dual_mov_b32 v1, s22 :: v_dual_add_nc_u32 v6, 0x80, v6
	global_store_b16 v0, v1, s[2:3]
	s_or_b32 exec_lo, exec_lo, s27
	s_delay_alu instid0(SALU_CYCLE_1)
	s_mov_b32 s27, exec_lo
	v_cmpx_gt_i32_e64 s24, v6
	s_cbranch_execnz .LBB109_160
.LBB109_174:
	s_or_b32 exec_lo, exec_lo, s27
	s_delay_alu instid0(SALU_CYCLE_1)
	s_mov_b32 s27, exec_lo
	v_cmpx_gt_i32_e64 s24, v6
	s_cbranch_execz .LBB109_189
.LBB109_175:
	s_and_not1_b32 vcc_lo, exec_lo, s20
	s_cbranch_vccnz .LBB109_180
; %bb.176:
	v_mov_b32_e32 v0, 0
	s_and_not1_b32 vcc_lo, exec_lo, s26
	s_cbranch_vccnz .LBB109_200
; %bb.177:
	s_add_i32 s29, s25, 1
	s_cmp_eq_u32 s19, 2
	s_mov_b32 s28, 0
	s_cbranch_scc1 .LBB109_196
; %bb.178:
	v_dual_mov_b32 v0, 0 :: v_dual_mov_b32 v1, v6
	s_and_b32 s28, s29, 28
	s_mov_b32 s30, 0
	s_mov_b64 s[14:15], s[0:1]
	s_mov_b64 s[16:17], s[12:13]
.LBB109_179:                            ; =>This Inner Loop Header: Depth=1
	s_clause 0x1
	s_load_b256 s[36:43], s[14:15], 0x4
	s_load_b128 s[44:47], s[14:15], 0x24
	s_load_b128 s[48:51], s[16:17], 0x0
	s_add_u32 s14, s14, 48
	s_addc_u32 s15, s15, 0
	s_add_i32 s30, s30, 4
	s_add_u32 s16, s16, 16
	s_addc_u32 s17, s17, 0
	s_cmp_eq_u32 s28, s30
	s_waitcnt lgkmcnt(0)
	v_mul_hi_u32 v2, s37, v1
	s_delay_alu instid0(VALU_DEP_1) | instskip(NEXT) | instid1(VALU_DEP_1)
	v_add_nc_u32_e32 v2, v1, v2
	v_lshrrev_b32_e32 v2, s38, v2
	s_delay_alu instid0(VALU_DEP_1) | instskip(SKIP_1) | instid1(VALU_DEP_2)
	v_mul_hi_u32 v3, s40, v2
	v_mul_lo_u32 v7, v2, s36
	v_add_nc_u32_e32 v3, v2, v3
	s_delay_alu instid0(VALU_DEP_2) | instskip(NEXT) | instid1(VALU_DEP_2)
	v_sub_nc_u32_e32 v7, v1, v7
	v_lshrrev_b32_e32 v3, s41, v3
	s_delay_alu instid0(VALU_DEP_2) | instskip(NEXT) | instid1(VALU_DEP_2)
	v_mul_lo_u32 v7, v7, s48
	v_mul_hi_u32 v4, s43, v3
	v_mul_lo_u32 v8, v3, s39
	s_delay_alu instid0(VALU_DEP_2) | instskip(NEXT) | instid1(VALU_DEP_2)
	v_add_nc_u32_e32 v4, v3, v4
	v_sub_nc_u32_e32 v2, v2, v8
	s_delay_alu instid0(VALU_DEP_2) | instskip(NEXT) | instid1(VALU_DEP_2)
	v_lshrrev_b32_e32 v4, s44, v4
	v_mul_lo_u32 v2, v2, s49
	s_delay_alu instid0(VALU_DEP_2) | instskip(NEXT) | instid1(VALU_DEP_2)
	v_mul_hi_u32 v5, s46, v4
	v_add3_u32 v0, v7, v0, v2
	s_delay_alu instid0(VALU_DEP_2) | instskip(NEXT) | instid1(VALU_DEP_1)
	v_add_nc_u32_e32 v5, v4, v5
	v_lshrrev_b32_e32 v1, s47, v5
	v_mul_lo_u32 v5, v4, s42
	s_delay_alu instid0(VALU_DEP_2) | instskip(NEXT) | instid1(VALU_DEP_2)
	v_mul_lo_u32 v9, v1, s45
	v_sub_nc_u32_e32 v3, v3, v5
	s_delay_alu instid0(VALU_DEP_2) | instskip(NEXT) | instid1(VALU_DEP_2)
	v_sub_nc_u32_e32 v4, v4, v9
	v_mul_lo_u32 v3, v3, s50
	s_delay_alu instid0(VALU_DEP_2) | instskip(NEXT) | instid1(VALU_DEP_1)
	v_mul_lo_u32 v4, v4, s51
	v_add3_u32 v0, v3, v0, v4
	s_cbranch_scc0 .LBB109_179
	s_branch .LBB109_197
.LBB109_180:
                                        ; implicit-def: $vgpr0
	s_branch .LBB109_201
.LBB109_181:
	v_mov_b32_e32 v1, v6
.LBB109_182:
	s_and_b32 s29, s29, 3
	s_delay_alu instid0(SALU_CYCLE_1)
	s_cmp_eq_u32 s29, 0
	s_cbranch_scc1 .LBB109_185
; %bb.183:
	s_lshl_b32 s14, s28, 2
	s_mul_i32 s16, s28, 12
	s_add_u32 s14, s14, s0
	s_addc_u32 s15, s1, 0
	s_add_u32 s14, s14, 0xc4
	s_addc_u32 s15, s15, 0
	;; [unrolled: 2-line block ×3, first 2 shown]
	.p2align	6
.LBB109_184:                            ; =>This Inner Loop Header: Depth=1
	s_clause 0x1
	s_load_b64 s[30:31], s[16:17], 0x4
	s_load_b32 s28, s[16:17], 0xc
	s_add_u32 s16, s16, 12
	s_addc_u32 s17, s17, 0
	s_waitcnt lgkmcnt(0)
	v_mul_hi_u32 v2, s31, v1
	s_load_b32 s31, s[14:15], 0x0
	s_add_u32 s14, s14, 4
	s_addc_u32 s15, s15, 0
	s_add_i32 s29, s29, -1
	s_delay_alu instid0(SALU_CYCLE_1) | instskip(NEXT) | instid1(VALU_DEP_1)
	s_cmp_lg_u32 s29, 0
	v_add_nc_u32_e32 v2, v1, v2
	s_delay_alu instid0(VALU_DEP_1) | instskip(NEXT) | instid1(VALU_DEP_1)
	v_lshrrev_b32_e32 v4, s28, v2
	v_mul_lo_u32 v2, v4, s30
	s_delay_alu instid0(VALU_DEP_1) | instskip(SKIP_1) | instid1(VALU_DEP_1)
	v_sub_nc_u32_e32 v1, v1, v2
	s_waitcnt lgkmcnt(0)
	v_mad_u64_u32 v[2:3], null, v1, s31, v[0:1]
	s_delay_alu instid0(VALU_DEP_1)
	v_dual_mov_b32 v1, v4 :: v_dual_mov_b32 v0, v2
	s_cbranch_scc1 .LBB109_184
.LBB109_185:
	s_cbranch_execnz .LBB109_188
.LBB109_186:
	s_waitcnt lgkmcnt(0)
	v_mul_hi_u32 v0, s5, v6
	s_and_not1_b32 vcc_lo, exec_lo, s23
	s_delay_alu instid0(VALU_DEP_1) | instskip(NEXT) | instid1(VALU_DEP_1)
	v_add_nc_u32_e32 v0, v6, v0
	v_lshrrev_b32_e32 v1, s6, v0
	s_delay_alu instid0(VALU_DEP_1) | instskip(NEXT) | instid1(VALU_DEP_1)
	v_mul_lo_u32 v0, v1, s4
	v_sub_nc_u32_e32 v0, v6, v0
	s_delay_alu instid0(VALU_DEP_1)
	v_mul_lo_u32 v0, v0, s8
	s_cbranch_vccnz .LBB109_188
; %bb.187:
	v_mul_hi_u32 v2, s10, v1
	s_delay_alu instid0(VALU_DEP_1) | instskip(NEXT) | instid1(VALU_DEP_1)
	v_add_nc_u32_e32 v2, v1, v2
	v_lshrrev_b32_e32 v2, s11, v2
	s_delay_alu instid0(VALU_DEP_1) | instskip(NEXT) | instid1(VALU_DEP_1)
	v_mul_lo_u32 v2, v2, s7
	v_sub_nc_u32_e32 v3, v1, v2
	s_delay_alu instid0(VALU_DEP_1) | instskip(NEXT) | instid1(VALU_DEP_1)
	v_mad_u64_u32 v[1:2], null, v3, s9, v[0:1]
	v_mov_b32_e32 v0, v1
.LBB109_188:
	s_waitcnt lgkmcnt(0)
	v_dual_mov_b32 v1, s22 :: v_dual_add_nc_u32 v6, 0x80, v6
	global_store_b16 v0, v1, s[2:3]
	s_or_b32 exec_lo, exec_lo, s27
	s_delay_alu instid0(SALU_CYCLE_1)
	s_mov_b32 s27, exec_lo
	v_cmpx_gt_i32_e64 s24, v6
	s_cbranch_execnz .LBB109_175
.LBB109_189:
	s_or_b32 exec_lo, exec_lo, s27
	s_delay_alu instid0(SALU_CYCLE_1)
	s_mov_b32 s27, exec_lo
	v_cmpx_gt_i32_e64 s24, v6
	s_cbranch_execz .LBB109_204
.LBB109_190:
	s_and_not1_b32 vcc_lo, exec_lo, s20
	s_cbranch_vccnz .LBB109_195
; %bb.191:
	v_mov_b32_e32 v0, 0
	s_and_not1_b32 vcc_lo, exec_lo, s26
	s_cbranch_vccnz .LBB109_211
; %bb.192:
	s_add_i32 s29, s25, 1
	s_cmp_eq_u32 s19, 2
	s_mov_b32 s28, 0
	s_cbranch_scc1 .LBB109_207
; %bb.193:
	v_dual_mov_b32 v0, 0 :: v_dual_mov_b32 v1, v6
	s_and_b32 s28, s29, 28
	s_mov_b32 s30, 0
	s_mov_b64 s[14:15], s[0:1]
	s_mov_b64 s[16:17], s[12:13]
.LBB109_194:                            ; =>This Inner Loop Header: Depth=1
	s_clause 0x1
	s_load_b256 s[36:43], s[14:15], 0x4
	s_load_b128 s[44:47], s[14:15], 0x24
	s_load_b128 s[48:51], s[16:17], 0x0
	s_add_u32 s14, s14, 48
	s_addc_u32 s15, s15, 0
	s_add_i32 s30, s30, 4
	s_add_u32 s16, s16, 16
	s_addc_u32 s17, s17, 0
	s_cmp_eq_u32 s28, s30
	s_waitcnt lgkmcnt(0)
	v_mul_hi_u32 v2, s37, v1
	s_delay_alu instid0(VALU_DEP_1) | instskip(NEXT) | instid1(VALU_DEP_1)
	v_add_nc_u32_e32 v2, v1, v2
	v_lshrrev_b32_e32 v2, s38, v2
	s_delay_alu instid0(VALU_DEP_1) | instskip(SKIP_1) | instid1(VALU_DEP_2)
	v_mul_hi_u32 v3, s40, v2
	v_mul_lo_u32 v7, v2, s36
	v_add_nc_u32_e32 v3, v2, v3
	s_delay_alu instid0(VALU_DEP_2) | instskip(NEXT) | instid1(VALU_DEP_2)
	v_sub_nc_u32_e32 v7, v1, v7
	v_lshrrev_b32_e32 v3, s41, v3
	s_delay_alu instid0(VALU_DEP_2) | instskip(NEXT) | instid1(VALU_DEP_2)
	v_mul_lo_u32 v7, v7, s48
	v_mul_hi_u32 v4, s43, v3
	v_mul_lo_u32 v8, v3, s39
	s_delay_alu instid0(VALU_DEP_2) | instskip(NEXT) | instid1(VALU_DEP_2)
	v_add_nc_u32_e32 v4, v3, v4
	v_sub_nc_u32_e32 v2, v2, v8
	s_delay_alu instid0(VALU_DEP_2) | instskip(NEXT) | instid1(VALU_DEP_2)
	v_lshrrev_b32_e32 v4, s44, v4
	v_mul_lo_u32 v2, v2, s49
	s_delay_alu instid0(VALU_DEP_2) | instskip(NEXT) | instid1(VALU_DEP_2)
	v_mul_hi_u32 v5, s46, v4
	v_add3_u32 v0, v7, v0, v2
	s_delay_alu instid0(VALU_DEP_2) | instskip(NEXT) | instid1(VALU_DEP_1)
	v_add_nc_u32_e32 v5, v4, v5
	v_lshrrev_b32_e32 v1, s47, v5
	v_mul_lo_u32 v5, v4, s42
	s_delay_alu instid0(VALU_DEP_2) | instskip(NEXT) | instid1(VALU_DEP_2)
	v_mul_lo_u32 v9, v1, s45
	v_sub_nc_u32_e32 v3, v3, v5
	s_delay_alu instid0(VALU_DEP_2) | instskip(NEXT) | instid1(VALU_DEP_2)
	v_sub_nc_u32_e32 v4, v4, v9
	v_mul_lo_u32 v3, v3, s50
	s_delay_alu instid0(VALU_DEP_2) | instskip(NEXT) | instid1(VALU_DEP_1)
	v_mul_lo_u32 v4, v4, s51
	v_add3_u32 v0, v3, v0, v4
	s_cbranch_scc0 .LBB109_194
	s_branch .LBB109_208
.LBB109_195:
                                        ; implicit-def: $vgpr0
	s_branch .LBB109_212
.LBB109_196:
	v_mov_b32_e32 v1, v6
.LBB109_197:
	s_and_b32 s29, s29, 3
	s_delay_alu instid0(SALU_CYCLE_1)
	s_cmp_eq_u32 s29, 0
	s_cbranch_scc1 .LBB109_200
; %bb.198:
	s_lshl_b32 s14, s28, 2
	s_mul_i32 s16, s28, 12
	s_add_u32 s14, s14, s0
	s_addc_u32 s15, s1, 0
	s_add_u32 s14, s14, 0xc4
	s_addc_u32 s15, s15, 0
	;; [unrolled: 2-line block ×3, first 2 shown]
	.p2align	6
.LBB109_199:                            ; =>This Inner Loop Header: Depth=1
	s_clause 0x1
	s_load_b64 s[30:31], s[16:17], 0x4
	s_load_b32 s28, s[16:17], 0xc
	s_add_u32 s16, s16, 12
	s_addc_u32 s17, s17, 0
	s_waitcnt lgkmcnt(0)
	v_mul_hi_u32 v2, s31, v1
	s_load_b32 s31, s[14:15], 0x0
	s_add_u32 s14, s14, 4
	s_addc_u32 s15, s15, 0
	s_add_i32 s29, s29, -1
	s_delay_alu instid0(SALU_CYCLE_1) | instskip(NEXT) | instid1(VALU_DEP_1)
	s_cmp_lg_u32 s29, 0
	v_add_nc_u32_e32 v2, v1, v2
	s_delay_alu instid0(VALU_DEP_1) | instskip(NEXT) | instid1(VALU_DEP_1)
	v_lshrrev_b32_e32 v4, s28, v2
	v_mul_lo_u32 v2, v4, s30
	s_delay_alu instid0(VALU_DEP_1) | instskip(SKIP_1) | instid1(VALU_DEP_1)
	v_sub_nc_u32_e32 v1, v1, v2
	s_waitcnt lgkmcnt(0)
	v_mad_u64_u32 v[2:3], null, v1, s31, v[0:1]
	s_delay_alu instid0(VALU_DEP_1)
	v_dual_mov_b32 v1, v4 :: v_dual_mov_b32 v0, v2
	s_cbranch_scc1 .LBB109_199
.LBB109_200:
	s_cbranch_execnz .LBB109_203
.LBB109_201:
	s_waitcnt lgkmcnt(0)
	v_mul_hi_u32 v0, s5, v6
	s_and_not1_b32 vcc_lo, exec_lo, s23
	s_delay_alu instid0(VALU_DEP_1) | instskip(NEXT) | instid1(VALU_DEP_1)
	v_add_nc_u32_e32 v0, v6, v0
	v_lshrrev_b32_e32 v1, s6, v0
	s_delay_alu instid0(VALU_DEP_1) | instskip(NEXT) | instid1(VALU_DEP_1)
	v_mul_lo_u32 v0, v1, s4
	v_sub_nc_u32_e32 v0, v6, v0
	s_delay_alu instid0(VALU_DEP_1)
	v_mul_lo_u32 v0, v0, s8
	s_cbranch_vccnz .LBB109_203
; %bb.202:
	v_mul_hi_u32 v2, s10, v1
	s_delay_alu instid0(VALU_DEP_1) | instskip(NEXT) | instid1(VALU_DEP_1)
	v_add_nc_u32_e32 v2, v1, v2
	v_lshrrev_b32_e32 v2, s11, v2
	s_delay_alu instid0(VALU_DEP_1) | instskip(NEXT) | instid1(VALU_DEP_1)
	v_mul_lo_u32 v2, v2, s7
	v_sub_nc_u32_e32 v3, v1, v2
	s_delay_alu instid0(VALU_DEP_1) | instskip(NEXT) | instid1(VALU_DEP_1)
	v_mad_u64_u32 v[1:2], null, v3, s9, v[0:1]
	v_mov_b32_e32 v0, v1
.LBB109_203:
	s_waitcnt lgkmcnt(0)
	v_dual_mov_b32 v1, s22 :: v_dual_add_nc_u32 v6, 0x80, v6
	global_store_b16 v0, v1, s[2:3]
	s_or_b32 exec_lo, exec_lo, s27
	s_delay_alu instid0(SALU_CYCLE_1)
	s_mov_b32 s27, exec_lo
	v_cmpx_gt_i32_e64 s24, v6
	s_cbranch_execnz .LBB109_190
.LBB109_204:
	s_or_b32 exec_lo, exec_lo, s27
	s_delay_alu instid0(SALU_CYCLE_1)
	s_mov_b32 s16, exec_lo
	v_cmpx_gt_i32_e64 s24, v6
	s_cbranch_execnz .LBB109_215
.LBB109_205:
	s_or_b32 exec_lo, exec_lo, s16
                                        ; implicit-def: $vgpr8
                                        ; implicit-def: $vgpr6
	s_waitcnt lgkmcnt(0)
	s_and_not1_saveexec_b32 s2, s21
	s_cbranch_execnz .LBB109_8
.LBB109_206:
	s_nop 0
	s_sendmsg sendmsg(MSG_DEALLOC_VGPRS)
	s_endpgm
.LBB109_207:
	v_mov_b32_e32 v1, v6
.LBB109_208:
	s_and_b32 s29, s29, 3
	s_delay_alu instid0(SALU_CYCLE_1)
	s_cmp_eq_u32 s29, 0
	s_cbranch_scc1 .LBB109_211
; %bb.209:
	s_lshl_b32 s14, s28, 2
	s_mul_i32 s16, s28, 12
	s_add_u32 s14, s14, s0
	s_addc_u32 s15, s1, 0
	s_add_u32 s14, s14, 0xc4
	s_addc_u32 s15, s15, 0
	s_add_u32 s16, s0, s16
	s_addc_u32 s17, s1, 0
	.p2align	6
.LBB109_210:                            ; =>This Inner Loop Header: Depth=1
	s_clause 0x1
	s_load_b64 s[30:31], s[16:17], 0x4
	s_load_b32 s28, s[16:17], 0xc
	s_add_u32 s16, s16, 12
	s_addc_u32 s17, s17, 0
	s_waitcnt lgkmcnt(0)
	v_mul_hi_u32 v2, s31, v1
	s_load_b32 s31, s[14:15], 0x0
	s_add_u32 s14, s14, 4
	s_addc_u32 s15, s15, 0
	s_add_i32 s29, s29, -1
	s_delay_alu instid0(SALU_CYCLE_1) | instskip(NEXT) | instid1(VALU_DEP_1)
	s_cmp_lg_u32 s29, 0
	v_add_nc_u32_e32 v2, v1, v2
	s_delay_alu instid0(VALU_DEP_1) | instskip(NEXT) | instid1(VALU_DEP_1)
	v_lshrrev_b32_e32 v4, s28, v2
	v_mul_lo_u32 v2, v4, s30
	s_delay_alu instid0(VALU_DEP_1) | instskip(SKIP_1) | instid1(VALU_DEP_1)
	v_sub_nc_u32_e32 v1, v1, v2
	s_waitcnt lgkmcnt(0)
	v_mad_u64_u32 v[2:3], null, v1, s31, v[0:1]
	s_delay_alu instid0(VALU_DEP_1)
	v_dual_mov_b32 v1, v4 :: v_dual_mov_b32 v0, v2
	s_cbranch_scc1 .LBB109_210
.LBB109_211:
	s_cbranch_execnz .LBB109_214
.LBB109_212:
	s_waitcnt lgkmcnt(0)
	v_mul_hi_u32 v0, s5, v6
	s_and_not1_b32 vcc_lo, exec_lo, s23
	s_delay_alu instid0(VALU_DEP_1) | instskip(NEXT) | instid1(VALU_DEP_1)
	v_add_nc_u32_e32 v0, v6, v0
	v_lshrrev_b32_e32 v1, s6, v0
	s_delay_alu instid0(VALU_DEP_1) | instskip(NEXT) | instid1(VALU_DEP_1)
	v_mul_lo_u32 v0, v1, s4
	v_sub_nc_u32_e32 v0, v6, v0
	s_delay_alu instid0(VALU_DEP_1)
	v_mul_lo_u32 v0, v0, s8
	s_cbranch_vccnz .LBB109_214
; %bb.213:
	v_mul_hi_u32 v2, s10, v1
	s_delay_alu instid0(VALU_DEP_1) | instskip(NEXT) | instid1(VALU_DEP_1)
	v_add_nc_u32_e32 v2, v1, v2
	v_lshrrev_b32_e32 v2, s11, v2
	s_delay_alu instid0(VALU_DEP_1) | instskip(NEXT) | instid1(VALU_DEP_1)
	v_mul_lo_u32 v2, v2, s7
	v_sub_nc_u32_e32 v3, v1, v2
	s_delay_alu instid0(VALU_DEP_1) | instskip(NEXT) | instid1(VALU_DEP_1)
	v_mad_u64_u32 v[1:2], null, v3, s9, v[0:1]
	v_mov_b32_e32 v0, v1
.LBB109_214:
	s_waitcnt lgkmcnt(0)
	v_dual_mov_b32 v1, s22 :: v_dual_add_nc_u32 v6, 0x80, v6
	global_store_b16 v0, v1, s[2:3]
	s_or_b32 exec_lo, exec_lo, s27
	s_delay_alu instid0(SALU_CYCLE_1)
	s_mov_b32 s16, exec_lo
	v_cmpx_gt_i32_e64 s24, v6
	s_cbranch_execz .LBB109_205
.LBB109_215:
	s_and_not1_b32 vcc_lo, exec_lo, s20
	s_cbranch_vccnz .LBB109_220
; %bb.216:
	v_mov_b32_e32 v0, 0
	s_and_not1_b32 vcc_lo, exec_lo, s26
	s_cbranch_vccnz .LBB109_225
; %bb.217:
	s_add_i32 s25, s25, 1
	s_cmp_eq_u32 s19, 2
	s_mov_b32 s17, 0
	s_cbranch_scc1 .LBB109_221
; %bb.218:
	v_dual_mov_b32 v0, 0 :: v_dual_mov_b32 v1, v6
	s_and_b32 s17, s25, 28
	s_mov_b32 s24, 0
	s_mov_b64 s[14:15], s[0:1]
.LBB109_219:                            ; =>This Inner Loop Header: Depth=1
	s_clause 0x1
	s_load_b256 s[36:43], s[14:15], 0x4
	s_load_b128 s[28:31], s[14:15], 0x24
	s_load_b128 s[44:47], s[12:13], 0x0
	s_add_u32 s14, s14, 48
	s_addc_u32 s15, s15, 0
	s_add_i32 s24, s24, 4
	s_add_u32 s12, s12, 16
	s_addc_u32 s13, s13, 0
	s_cmp_eq_u32 s17, s24
	s_waitcnt lgkmcnt(0)
	v_mul_hi_u32 v2, s37, v1
	s_delay_alu instid0(VALU_DEP_1) | instskip(NEXT) | instid1(VALU_DEP_1)
	v_add_nc_u32_e32 v2, v1, v2
	v_lshrrev_b32_e32 v2, s38, v2
	s_delay_alu instid0(VALU_DEP_1) | instskip(SKIP_1) | instid1(VALU_DEP_2)
	v_mul_hi_u32 v3, s40, v2
	v_mul_lo_u32 v7, v2, s36
	v_add_nc_u32_e32 v3, v2, v3
	s_delay_alu instid0(VALU_DEP_2) | instskip(NEXT) | instid1(VALU_DEP_2)
	v_sub_nc_u32_e32 v7, v1, v7
	v_lshrrev_b32_e32 v3, s41, v3
	s_delay_alu instid0(VALU_DEP_2) | instskip(NEXT) | instid1(VALU_DEP_2)
	v_mul_lo_u32 v7, v7, s44
	v_mul_hi_u32 v4, s43, v3
	v_mul_lo_u32 v8, v3, s39
	s_delay_alu instid0(VALU_DEP_2) | instskip(NEXT) | instid1(VALU_DEP_2)
	v_add_nc_u32_e32 v4, v3, v4
	v_sub_nc_u32_e32 v2, v2, v8
	s_delay_alu instid0(VALU_DEP_2) | instskip(NEXT) | instid1(VALU_DEP_2)
	v_lshrrev_b32_e32 v4, s28, v4
	v_mul_lo_u32 v2, v2, s45
	s_delay_alu instid0(VALU_DEP_2) | instskip(NEXT) | instid1(VALU_DEP_2)
	v_mul_hi_u32 v5, s30, v4
	v_add3_u32 v0, v7, v0, v2
	s_delay_alu instid0(VALU_DEP_2) | instskip(NEXT) | instid1(VALU_DEP_1)
	v_add_nc_u32_e32 v5, v4, v5
	v_lshrrev_b32_e32 v1, s31, v5
	v_mul_lo_u32 v5, v4, s42
	s_delay_alu instid0(VALU_DEP_2) | instskip(NEXT) | instid1(VALU_DEP_2)
	v_mul_lo_u32 v9, v1, s29
	v_sub_nc_u32_e32 v3, v3, v5
	s_delay_alu instid0(VALU_DEP_2) | instskip(NEXT) | instid1(VALU_DEP_2)
	v_sub_nc_u32_e32 v4, v4, v9
	v_mul_lo_u32 v3, v3, s46
	s_delay_alu instid0(VALU_DEP_2) | instskip(NEXT) | instid1(VALU_DEP_1)
	v_mul_lo_u32 v4, v4, s47
	v_add3_u32 v0, v3, v0, v4
	s_cbranch_scc0 .LBB109_219
	s_branch .LBB109_222
.LBB109_220:
                                        ; implicit-def: $vgpr0
	s_branch .LBB109_226
.LBB109_221:
	v_mov_b32_e32 v1, v6
.LBB109_222:
	s_and_b32 s24, s25, 3
	s_delay_alu instid0(SALU_CYCLE_1)
	s_cmp_eq_u32 s24, 0
	s_cbranch_scc1 .LBB109_225
; %bb.223:
	s_lshl_b32 s12, s17, 2
	s_mul_i32 s14, s17, 12
	s_add_u32 s12, s12, s0
	s_addc_u32 s13, s1, 0
	s_add_u32 s12, s12, 0xc4
	s_addc_u32 s13, s13, 0
	;; [unrolled: 2-line block ×3, first 2 shown]
	.p2align	6
.LBB109_224:                            ; =>This Inner Loop Header: Depth=1
	s_clause 0x1
	s_load_b64 s[26:27], s[14:15], 0x4
	s_load_b32 s17, s[14:15], 0xc
	s_load_b32 s25, s[12:13], 0x0
	s_add_u32 s14, s14, 12
	s_addc_u32 s15, s15, 0
	s_add_u32 s12, s12, 4
	s_addc_u32 s13, s13, 0
	s_add_i32 s24, s24, -1
	s_delay_alu instid0(SALU_CYCLE_1) | instskip(SKIP_2) | instid1(VALU_DEP_1)
	s_cmp_lg_u32 s24, 0
	s_waitcnt lgkmcnt(0)
	v_mul_hi_u32 v2, s27, v1
	v_add_nc_u32_e32 v2, v1, v2
	s_delay_alu instid0(VALU_DEP_1) | instskip(NEXT) | instid1(VALU_DEP_1)
	v_lshrrev_b32_e32 v4, s17, v2
	v_mul_lo_u32 v2, v4, s26
	s_delay_alu instid0(VALU_DEP_1) | instskip(NEXT) | instid1(VALU_DEP_1)
	v_sub_nc_u32_e32 v1, v1, v2
	v_mad_u64_u32 v[2:3], null, v1, s25, v[0:1]
	s_delay_alu instid0(VALU_DEP_1)
	v_dual_mov_b32 v1, v4 :: v_dual_mov_b32 v0, v2
	s_cbranch_scc1 .LBB109_224
.LBB109_225:
	s_cbranch_execnz .LBB109_228
.LBB109_226:
	s_waitcnt lgkmcnt(0)
	v_mul_hi_u32 v0, s5, v6
	s_and_not1_b32 vcc_lo, exec_lo, s23
	s_delay_alu instid0(VALU_DEP_1) | instskip(NEXT) | instid1(VALU_DEP_1)
	v_add_nc_u32_e32 v0, v6, v0
	v_lshrrev_b32_e32 v1, s6, v0
	s_delay_alu instid0(VALU_DEP_1) | instskip(NEXT) | instid1(VALU_DEP_1)
	v_mul_lo_u32 v0, v1, s4
	v_sub_nc_u32_e32 v0, v6, v0
	s_delay_alu instid0(VALU_DEP_1)
	v_mul_lo_u32 v0, v0, s8
	s_cbranch_vccnz .LBB109_228
; %bb.227:
	v_mul_hi_u32 v2, s10, v1
	s_delay_alu instid0(VALU_DEP_1) | instskip(NEXT) | instid1(VALU_DEP_1)
	v_add_nc_u32_e32 v2, v1, v2
	v_lshrrev_b32_e32 v2, s11, v2
	s_delay_alu instid0(VALU_DEP_1) | instskip(NEXT) | instid1(VALU_DEP_1)
	v_mul_lo_u32 v2, v2, s7
	v_sub_nc_u32_e32 v3, v1, v2
	s_delay_alu instid0(VALU_DEP_1) | instskip(NEXT) | instid1(VALU_DEP_1)
	v_mad_u64_u32 v[1:2], null, v3, s9, v[0:1]
	v_mov_b32_e32 v0, v1
.LBB109_228:
	s_waitcnt lgkmcnt(0)
	v_mov_b32_e32 v1, s22
	global_store_b16 v0, v1, s[2:3]
	s_or_b32 exec_lo, exec_lo, s16
                                        ; implicit-def: $vgpr8
                                        ; implicit-def: $vgpr6
	s_and_not1_saveexec_b32 s2, s21
	s_cbranch_execz .LBB109_206
	s_branch .LBB109_8
	.section	.rodata,"a",@progbits
	.p2align	6, 0x0
	.amdhsa_kernel _ZN2at6native32elementwise_kernel_manual_unrollILi128ELi8EZNS0_22gpu_kernel_impl_nocastINS0_11FillFunctorIN3c108BFloat16EEEEEvRNS_18TensorIteratorBaseERKT_EUlibE_EEviT1_
		.amdhsa_group_segment_fixed_size 0
		.amdhsa_private_segment_fixed_size 0
		.amdhsa_kernarg_size 288
		.amdhsa_user_sgpr_count 15
		.amdhsa_user_sgpr_dispatch_ptr 0
		.amdhsa_user_sgpr_queue_ptr 0
		.amdhsa_user_sgpr_kernarg_segment_ptr 1
		.amdhsa_user_sgpr_dispatch_id 0
		.amdhsa_user_sgpr_private_segment_size 0
		.amdhsa_wavefront_size32 1
		.amdhsa_uses_dynamic_stack 0
		.amdhsa_enable_private_segment 0
		.amdhsa_system_sgpr_workgroup_id_x 1
		.amdhsa_system_sgpr_workgroup_id_y 0
		.amdhsa_system_sgpr_workgroup_id_z 0
		.amdhsa_system_sgpr_workgroup_info 0
		.amdhsa_system_vgpr_workitem_id 0
		.amdhsa_next_free_vgpr 18
		.amdhsa_next_free_sgpr 52
		.amdhsa_reserve_vcc 1
		.amdhsa_float_round_mode_32 0
		.amdhsa_float_round_mode_16_64 0
		.amdhsa_float_denorm_mode_32 3
		.amdhsa_float_denorm_mode_16_64 3
		.amdhsa_dx10_clamp 1
		.amdhsa_ieee_mode 1
		.amdhsa_fp16_overflow 0
		.amdhsa_workgroup_processor_mode 1
		.amdhsa_memory_ordered 1
		.amdhsa_forward_progress 0
		.amdhsa_shared_vgpr_count 0
		.amdhsa_exception_fp_ieee_invalid_op 0
		.amdhsa_exception_fp_denorm_src 0
		.amdhsa_exception_fp_ieee_div_zero 0
		.amdhsa_exception_fp_ieee_overflow 0
		.amdhsa_exception_fp_ieee_underflow 0
		.amdhsa_exception_fp_ieee_inexact 0
		.amdhsa_exception_int_div_zero 0
	.end_amdhsa_kernel
	.section	.text._ZN2at6native32elementwise_kernel_manual_unrollILi128ELi8EZNS0_22gpu_kernel_impl_nocastINS0_11FillFunctorIN3c108BFloat16EEEEEvRNS_18TensorIteratorBaseERKT_EUlibE_EEviT1_,"axG",@progbits,_ZN2at6native32elementwise_kernel_manual_unrollILi128ELi8EZNS0_22gpu_kernel_impl_nocastINS0_11FillFunctorIN3c108BFloat16EEEEEvRNS_18TensorIteratorBaseERKT_EUlibE_EEviT1_,comdat
.Lfunc_end109:
	.size	_ZN2at6native32elementwise_kernel_manual_unrollILi128ELi8EZNS0_22gpu_kernel_impl_nocastINS0_11FillFunctorIN3c108BFloat16EEEEEvRNS_18TensorIteratorBaseERKT_EUlibE_EEviT1_, .Lfunc_end109-_ZN2at6native32elementwise_kernel_manual_unrollILi128ELi8EZNS0_22gpu_kernel_impl_nocastINS0_11FillFunctorIN3c108BFloat16EEEEEvRNS_18TensorIteratorBaseERKT_EUlibE_EEviT1_
                                        ; -- End function
	.section	.AMDGPU.csdata,"",@progbits
; Kernel info:
; codeLenInByte = 11652
; NumSgprs: 54
; NumVgprs: 18
; ScratchSize: 0
; MemoryBound: 0
; FloatMode: 240
; IeeeMode: 1
; LDSByteSize: 0 bytes/workgroup (compile time only)
; SGPRBlocks: 6
; VGPRBlocks: 2
; NumSGPRsForWavesPerEU: 54
; NumVGPRsForWavesPerEU: 18
; Occupancy: 16
; WaveLimiterHint : 1
; COMPUTE_PGM_RSRC2:SCRATCH_EN: 0
; COMPUTE_PGM_RSRC2:USER_SGPR: 15
; COMPUTE_PGM_RSRC2:TRAP_HANDLER: 0
; COMPUTE_PGM_RSRC2:TGID_X_EN: 1
; COMPUTE_PGM_RSRC2:TGID_Y_EN: 0
; COMPUTE_PGM_RSRC2:TGID_Z_EN: 0
; COMPUTE_PGM_RSRC2:TIDIG_COMP_CNT: 0
	.section	.text._ZN2at6native32elementwise_kernel_manual_unrollILi128ELi4EZNS0_15gpu_kernel_implINS0_11FillFunctorIN3c108BFloat16EEEEEvRNS_18TensorIteratorBaseERKT_EUlibE_EEviT1_,"axG",@progbits,_ZN2at6native32elementwise_kernel_manual_unrollILi128ELi4EZNS0_15gpu_kernel_implINS0_11FillFunctorIN3c108BFloat16EEEEEvRNS_18TensorIteratorBaseERKT_EUlibE_EEviT1_,comdat
	.protected	_ZN2at6native32elementwise_kernel_manual_unrollILi128ELi4EZNS0_15gpu_kernel_implINS0_11FillFunctorIN3c108BFloat16EEEEEvRNS_18TensorIteratorBaseERKT_EUlibE_EEviT1_ ; -- Begin function _ZN2at6native32elementwise_kernel_manual_unrollILi128ELi4EZNS0_15gpu_kernel_implINS0_11FillFunctorIN3c108BFloat16EEEEEvRNS_18TensorIteratorBaseERKT_EUlibE_EEviT1_
	.globl	_ZN2at6native32elementwise_kernel_manual_unrollILi128ELi4EZNS0_15gpu_kernel_implINS0_11FillFunctorIN3c108BFloat16EEEEEvRNS_18TensorIteratorBaseERKT_EUlibE_EEviT1_
	.p2align	8
	.type	_ZN2at6native32elementwise_kernel_manual_unrollILi128ELi4EZNS0_15gpu_kernel_implINS0_11FillFunctorIN3c108BFloat16EEEEEvRNS_18TensorIteratorBaseERKT_EUlibE_EEviT1_,@function
_ZN2at6native32elementwise_kernel_manual_unrollILi128ELi4EZNS0_15gpu_kernel_implINS0_11FillFunctorIN3c108BFloat16EEEEEvRNS_18TensorIteratorBaseERKT_EUlibE_EEviT1_: ; @_ZN2at6native32elementwise_kernel_manual_unrollILi128ELi4EZNS0_15gpu_kernel_implINS0_11FillFunctorIN3c108BFloat16EEEEEvRNS_18TensorIteratorBaseERKT_EUlibE_EEviT1_
; %bb.0:
	s_clause 0x1
	s_load_b32 s33, s[0:1], 0x0
	s_load_b128 s[4:7], s[0:1], 0x8
	v_lshl_or_b32 v15, s15, 9, v0
	s_mov_b32 s3, 0
	s_mov_b32 s1, 0
	s_mov_b32 s0, exec_lo
	s_delay_alu instid0(VALU_DEP_1) | instskip(SKIP_2) | instid1(VALU_DEP_1)
	v_or_b32_e32 v0, 0x180, v15
	s_waitcnt lgkmcnt(0)
	s_lshr_b32 s8, s7, 16
	v_cmpx_le_i32_e64 s33, v0
	s_xor_b32 s2, exec_lo, s0
	s_cbranch_execz .LBB110_151
; %bb.1:
	s_and_b32 s31, 0xffff, s7
	s_lshl_b32 s1, s7, 16
	s_lshr_b32 s0, s31, 7
	s_bfe_u32 s9, s31, 0x80007
	s_or_b32 s10, s0, s1
	s_cmpk_eq_i32 s9, 0xff
	v_add_f32_e64 v0, 0x46000000, |s1|
	s_cselect_b32 s30, -1, 0
	s_bitcmp1_b32 s31, 6
	v_trunc_f32_e32 v2, s1
	s_cselect_b32 s9, -1, 0
	s_and_b32 s10, s10, 0x3f00ff
	v_readfirstlane_b32 s25, v0
	s_cmp_lg_u32 s10, 0
	v_mul_f32_e32 v0, 0x2f800000, v2
	s_cselect_b32 s10, -1, 0
	s_and_b32 s19, s1, 0x7fffffff
	s_and_b32 s15, s9, s10
	s_cmp_lt_u32 s19, 0x43800000
	v_floor_f32_e32 v0, v0
	s_cselect_b32 s28, -1, 0
	s_cmp_gt_u32 s19, 0x3bffffff
	v_add_f32_e64 v1, 0x42800000, |s1|
	s_cselect_b32 s26, -1, 0
	s_bfe_u32 s9, s31, 0x10004
	s_and_b32 s10, s25, 0xff
	s_or_b32 s17, s1, s9
	v_cvt_u32_f32_e32 v7, v0
	s_add_i32 s9, s17, 0x487ffff
	v_fmamk_f32 v0, v0, 0xcf800000, v2
	s_lshr_b32 s27, s9, 20
	s_cmp_lg_u32 s10, 0
	v_readfirstlane_b32 s14, v1
	s_cselect_b32 s29, -1, 0
	s_lshr_b32 s9, s31, 8
	v_cvt_u32_f32_e32 v6, v0
	s_and_b32 s9, s9, 0x80
	s_cmp_gt_u32 s19, 0x477fffff
	v_cvt_f64_f32_e32 v[0:1], s1
	s_cselect_b32 s10, -1, 0
	s_cmp_lt_u32 s19, 0x47800000
	v_cndmask_b32_e64 v3, 0, 1, s15
	s_cselect_b32 s18, -1, 0
	s_cmp_gt_u32 s19, 0x37ffffff
	v_mul_f32_e64 v4, 0x2f800000, |v2|
	s_cselect_b32 s13, -1, 0
	s_bfe_u32 s11, s31, 0x10005
	s_and_b32 s12, s14, 0xff
	s_or_b32 s22, s1, s11
	v_add_nc_u32_e32 v16, s0, v3
	s_add_i32 s11, s22, 0x88fffff
	v_floor_f32_e32 v3, v4
	s_lshr_b32 s16, s11, 21
	s_cmp_lg_u32 s12, 0
	v_add_f32_e64 v4, 0x46800000, |s1|
	s_cselect_b32 s21, -1, 0
	s_cmp_gt_u32 s19, 0x43efffff
	v_add_f32_e64 v5, 0x43000000, |s1|
	s_cselect_b32 s11, -1, 0
	s_cmp_lt_u32 s19, 0x3c800000
	v_fma_f32 v8, 0xcf800000, v3, |v2|
	s_cselect_b32 s12, -1, 0
	s_add_i32 s17, s17, 0x407ffff
	v_readfirstlane_b32 s24, v4
	s_and_b32 s15, s17, 0xff00000
	s_lshr_b32 s17, s17, 20
	s_cmp_lg_u32 s15, 0x7f00000
	v_cvt_u32_f32_e32 v4, v8
	s_cselect_b32 s20, s17, 0x7e
	s_cmp_lt_u32 s19, 0x38800000
	v_ashrrev_i32_e32 v2, 31, v2
	s_cselect_b32 s15, -1, 0
	s_add_i32 s22, s22, 0x80fffff
	v_cvt_u32_f32_e32 v3, v3
	s_lshr_b32 s17, s22, 21
	s_cmp_gt_u32 s19, 0x7f800000
	v_readfirstlane_b32 s19, v5
	v_and_b32_e64 v5, 0x7fff, s7
	v_xor_b32_e32 v4, v4, v2
	v_cvt_f16_f32_e32 v11, s1
	v_xor_b32_e32 v3, v3, v2
	s_movk_i32 s0, 0x7f
	v_cmp_ne_u16_e32 vcc_lo, 0, v5
	v_cvt_u32_f32_e32 v14, s1
	v_and_b32_e32 v12, 0xffff, v11
	v_cvt_i32_f32_e32 v10, s1
	s_cselect_b32 s23, s0, 0x7e
	v_cndmask_b32_e64 v13, 0, 1, vcc_lo
	v_sub_co_u32 v4, vcc_lo, v4, v2
	v_sub_co_ci_u32_e32 v5, vcc_lo, v3, v2, vcc_lo
	s_movk_i32 s0, 0x7c
	s_mov_b32 s36, 0
	s_cselect_b32 s22, 0x7f, s0
	s_mov_b32 s0, -1
	s_mov_b32 s34, 0
	s_mov_b32 s35, exec_lo
	v_cmpx_gt_i32_e64 s33, v15
	s_cbranch_execz .LBB110_100
; %bb.2:
	v_mul_lo_u32 v2, v15, s6
	v_and_b32_e64 v17, 0xff, s8
	s_delay_alu instid0(VALU_DEP_1) | instskip(NEXT) | instid1(VALU_DEP_3)
	v_cmp_gt_i16_e32 vcc_lo, 11, v17
	v_ashrrev_i32_e32 v3, 31, v2
	v_add_co_u32 v8, s0, s4, v2
	s_delay_alu instid0(VALU_DEP_1)
	v_add_co_ci_u32_e64 v9, s0, s5, v3, s0
	s_cbranch_vccnz .LBB110_9
; %bb.3:
	v_cmp_lt_i16_e32 vcc_lo, 25, v17
	s_cbranch_vccz .LBB110_12
; %bb.4:
	v_cmp_lt_i16_e32 vcc_lo, 28, v17
	s_cbranch_vccz .LBB110_13
	;; [unrolled: 3-line block ×4, first 2 shown]
; %bb.7:
	v_cmp_eq_u16_e32 vcc_lo, 46, v17
	s_mov_b32 s37, 0
	s_mov_b32 s0, -1
	s_cbranch_vccz .LBB110_16
; %bb.8:
	v_mov_b32_e32 v2, s31
	s_mov_b32 s34, -1
	s_mov_b32 s0, 0
	global_store_b32 v[8:9], v2, off
	s_branch .LBB110_16
.LBB110_9:
	s_mov_b32 s0, 0
	s_cbranch_execnz .LBB110_60
.LBB110_10:
	s_and_not1_b32 vcc_lo, exec_lo, s34
	s_cbranch_vccnz .LBB110_98
.LBB110_11:
	v_add_nc_u32_e32 v15, 0x80, v15
	s_mov_b32 s37, -1
	s_branch .LBB110_99
.LBB110_12:
	s_mov_b32 s0, 0
	s_cbranch_execnz .LBB110_38
	s_branch .LBB110_59
.LBB110_13:
	s_mov_b32 s37, -1
	s_mov_b32 s0, 0
	s_branch .LBB110_24
.LBB110_14:
	s_mov_b32 s37, -1
	s_mov_b32 s0, 0
	s_branch .LBB110_20
.LBB110_15:
	s_mov_b32 s37, -1
	s_mov_b32 s0, 0
.LBB110_16:
	s_and_b32 vcc_lo, exec_lo, s37
	s_cbranch_vccz .LBB110_19
; %bb.17:
	v_cmp_eq_u16_e32 vcc_lo, 44, v17
	s_mov_b32 s0, -1
	s_cbranch_vccz .LBB110_19
; %bb.18:
	v_cndmask_b32_e64 v2, v16, 0xff, s30
	s_mov_b32 s34, -1
	s_mov_b32 s0, 0
	s_mov_b32 s37, 0
	global_store_b8 v[8:9], v2, off
	s_branch .LBB110_20
.LBB110_19:
	s_mov_b32 s37, 0
.LBB110_20:
	s_delay_alu instid0(SALU_CYCLE_1)
	s_and_b32 vcc_lo, exec_lo, s37
	s_cbranch_vccz .LBB110_23
; %bb.21:
	v_cmp_eq_u16_e32 vcc_lo, 29, v17
	s_mov_b32 s0, -1
	s_cbranch_vccz .LBB110_23
; %bb.22:
	s_mov_b32 s34, -1
	s_mov_b32 s0, 0
	global_store_b64 v[8:9], v[6:7], off
.LBB110_23:
	s_mov_b32 s37, 0
.LBB110_24:
	s_delay_alu instid0(SALU_CYCLE_1)
	s_and_b32 vcc_lo, exec_lo, s37
	s_cbranch_vccz .LBB110_37
; %bb.25:
	v_cmp_gt_i16_e32 vcc_lo, 27, v17
	s_mov_b32 s34, -1
	s_cbranch_vccnz .LBB110_31
; %bb.26:
	v_cmp_lt_i16_e32 vcc_lo, 27, v17
	s_cbranch_vccz .LBB110_28
; %bb.27:
	s_mov_b32 s34, 0
	global_store_b32 v[8:9], v14, off
.LBB110_28:
	s_and_not1_b32 vcc_lo, exec_lo, s34
	s_cbranch_vccnz .LBB110_30
; %bb.29:
	global_store_b16 v[8:9], v14, off
.LBB110_30:
	s_mov_b32 s34, 0
.LBB110_31:
	s_delay_alu instid0(SALU_CYCLE_1)
	s_and_not1_b32 vcc_lo, exec_lo, s34
	s_cbranch_vccnz .LBB110_36
; %bb.32:
	s_and_not1_b32 vcc_lo, exec_lo, s28
	s_movk_i32 s34, 0x80
	s_cbranch_vccnz .LBB110_35
; %bb.33:
	s_or_b32 s34, s26, s29
	s_delay_alu instid0(SALU_CYCLE_1)
	s_and_not1_b32 vcc_lo, exec_lo, s34
	s_mov_b32 s34, 0
	s_cbranch_vccnz .LBB110_35
; %bb.34:
	s_and_b32 s34, s26, exec_lo
	s_cselect_b32 s34, s27, s25
	s_delay_alu instid0(SALU_CYCLE_1)
	s_or_b32 s34, s34, s9
.LBB110_35:
	s_delay_alu instid0(SALU_CYCLE_1)
	v_mov_b32_e32 v2, s34
	global_store_b8 v[8:9], v2, off
.LBB110_36:
	s_mov_b32 s34, -1
.LBB110_37:
	s_branch .LBB110_59
.LBB110_38:
	v_cmp_lt_i16_e32 vcc_lo, 22, v17
	s_mov_b32 s37, -1
	s_cbranch_vccz .LBB110_51
; %bb.39:
	v_cmp_gt_i16_e32 vcc_lo, 24, v17
	s_mov_b32 s34, -1
	s_cbranch_vccnz .LBB110_48
; %bb.40:
	v_cmp_lt_i16_e32 vcc_lo, 24, v17
	s_cbranch_vccz .LBB110_45
; %bb.41:
	s_and_not1_b32 vcc_lo, exec_lo, s18
	s_movk_i32 s34, 0x80
	s_cbranch_vccnz .LBB110_44
; %bb.42:
	s_or_b32 s34, s13, s21
	s_delay_alu instid0(SALU_CYCLE_1)
	s_and_not1_b32 vcc_lo, exec_lo, s34
	s_mov_b32 s34, 0
	s_cbranch_vccnz .LBB110_44
; %bb.43:
	s_and_b32 s34, s13, exec_lo
	s_cselect_b32 s34, s16, s14
	s_delay_alu instid0(SALU_CYCLE_1)
	s_or_b32 s34, s34, s9
.LBB110_44:
	s_delay_alu instid0(SALU_CYCLE_1)
	v_mov_b32_e32 v2, s34
	s_mov_b32 s34, 0
	global_store_b8 v[8:9], v2, off
.LBB110_45:
	s_and_b32 vcc_lo, exec_lo, s34
	s_cbranch_vccz .LBB110_47
; %bb.46:
	s_and_b32 s34, s12, exec_lo
	s_cselect_b32 s34, s24, s20
	s_and_b32 s37, s11, exec_lo
	s_cselect_b32 s34, s23, s34
	s_delay_alu instid0(SALU_CYCLE_1) | instskip(NEXT) | instid1(SALU_CYCLE_1)
	s_or_b32 s34, s34, s9
	v_mov_b32_e32 v2, s34
	global_store_b8 v[8:9], v2, off
.LBB110_47:
	s_mov_b32 s34, 0
.LBB110_48:
	s_delay_alu instid0(SALU_CYCLE_1)
	s_and_not1_b32 vcc_lo, exec_lo, s34
	s_cbranch_vccnz .LBB110_50
; %bb.49:
	s_and_b32 s34, s15, exec_lo
	s_cselect_b32 s34, s19, s17
	s_and_b32 s37, s10, exec_lo
	s_cselect_b32 s34, s22, s34
	s_delay_alu instid0(SALU_CYCLE_1) | instskip(NEXT) | instid1(SALU_CYCLE_1)
	s_or_b32 s34, s34, s9
	v_mov_b32_e32 v2, s34
	global_store_b8 v[8:9], v2, off
.LBB110_50:
	s_mov_b32 s37, 0
	s_mov_b32 s34, -1
.LBB110_51:
	s_and_not1_b32 vcc_lo, exec_lo, s37
	s_cbranch_vccnz .LBB110_59
; %bb.52:
	v_cmp_lt_i16_e32 vcc_lo, 14, v17
	s_mov_b32 s37, -1
	s_cbranch_vccz .LBB110_56
; %bb.53:
	v_cmp_eq_u16_e32 vcc_lo, 15, v17
	s_mov_b32 s0, -1
	s_cbranch_vccz .LBB110_55
; %bb.54:
	v_mov_b32_e32 v2, s7
	s_mov_b32 s34, -1
	s_mov_b32 s0, 0
	global_store_b16 v[8:9], v2, off
.LBB110_55:
	s_mov_b32 s37, 0
.LBB110_56:
	s_delay_alu instid0(SALU_CYCLE_1)
	s_and_b32 vcc_lo, exec_lo, s37
	s_cbranch_vccz .LBB110_59
; %bb.57:
	v_cmp_eq_u16_e32 vcc_lo, 11, v17
	s_mov_b32 s0, -1
	s_cbranch_vccz .LBB110_59
; %bb.58:
	s_mov_b32 s34, -1
	s_mov_b32 s0, 0
	global_store_b8 v[8:9], v13, off
.LBB110_59:
	s_branch .LBB110_10
.LBB110_60:
	v_cmp_gt_i16_e32 vcc_lo, 5, v17
	s_mov_b32 s34, -1
	s_cbranch_vccnz .LBB110_81
; %bb.61:
	v_cmp_gt_i16_e32 vcc_lo, 8, v17
	s_cbranch_vccnz .LBB110_71
; %bb.62:
	v_cmp_gt_i16_e32 vcc_lo, 9, v17
	s_cbranch_vccnz .LBB110_68
; %bb.63:
	v_cmp_lt_i16_e32 vcc_lo, 9, v17
	s_cbranch_vccz .LBB110_65
; %bb.64:
	v_mov_b32_e32 v2, 0
	s_mov_b32 s34, 0
	s_delay_alu instid0(VALU_DEP_1)
	v_mov_b32_e32 v3, v2
	global_store_b128 v[8:9], v[0:3], off
.LBB110_65:
	s_and_not1_b32 vcc_lo, exec_lo, s34
	s_cbranch_vccnz .LBB110_67
; %bb.66:
	v_dual_mov_b32 v2, s1 :: v_dual_mov_b32 v3, 0
	global_store_b64 v[8:9], v[2:3], off
.LBB110_67:
	s_mov_b32 s34, 0
.LBB110_68:
	s_delay_alu instid0(SALU_CYCLE_1)
	s_and_not1_b32 vcc_lo, exec_lo, s34
	s_cbranch_vccnz .LBB110_70
; %bb.69:
	global_store_b32 v[8:9], v12, off
.LBB110_70:
	s_mov_b32 s34, 0
.LBB110_71:
	s_delay_alu instid0(SALU_CYCLE_1)
	s_and_not1_b32 vcc_lo, exec_lo, s34
	s_cbranch_vccnz .LBB110_80
; %bb.72:
	v_cmp_gt_i16_e32 vcc_lo, 6, v17
	s_mov_b32 s34, -1
	s_cbranch_vccnz .LBB110_78
; %bb.73:
	v_cmp_lt_i16_e32 vcc_lo, 6, v17
	s_cbranch_vccz .LBB110_75
; %bb.74:
	s_mov_b32 s34, 0
	global_store_b64 v[8:9], v[0:1], off
.LBB110_75:
	s_and_not1_b32 vcc_lo, exec_lo, s34
	s_cbranch_vccnz .LBB110_77
; %bb.76:
	v_mov_b32_e32 v2, s1
	global_store_b32 v[8:9], v2, off
.LBB110_77:
	s_mov_b32 s34, 0
.LBB110_78:
	s_delay_alu instid0(SALU_CYCLE_1)
	s_and_not1_b32 vcc_lo, exec_lo, s34
	s_cbranch_vccnz .LBB110_80
; %bb.79:
	global_store_b16 v[8:9], v11, off
.LBB110_80:
	s_mov_b32 s34, 0
.LBB110_81:
	s_delay_alu instid0(SALU_CYCLE_1)
	s_and_not1_b32 vcc_lo, exec_lo, s34
	s_cbranch_vccnz .LBB110_97
; %bb.82:
	v_cmp_gt_i16_e32 vcc_lo, 2, v17
	s_mov_b32 s34, -1
	s_cbranch_vccnz .LBB110_92
; %bb.83:
	v_cmp_gt_i16_e32 vcc_lo, 3, v17
	s_cbranch_vccnz .LBB110_89
; %bb.84:
	v_cmp_lt_i16_e32 vcc_lo, 3, v17
	s_cbranch_vccz .LBB110_86
; %bb.85:
	s_mov_b32 s34, 0
	global_store_b64 v[8:9], v[4:5], off
.LBB110_86:
	s_and_not1_b32 vcc_lo, exec_lo, s34
	s_cbranch_vccnz .LBB110_88
; %bb.87:
	global_store_b32 v[8:9], v10, off
.LBB110_88:
	s_mov_b32 s34, 0
.LBB110_89:
	s_delay_alu instid0(SALU_CYCLE_1)
	s_and_not1_b32 vcc_lo, exec_lo, s34
	s_cbranch_vccnz .LBB110_91
; %bb.90:
	global_store_b16 v[8:9], v10, off
.LBB110_91:
	s_mov_b32 s34, 0
.LBB110_92:
	s_delay_alu instid0(SALU_CYCLE_1)
	s_and_not1_b32 vcc_lo, exec_lo, s34
	s_cbranch_vccnz .LBB110_97
; %bb.93:
	v_cmp_lt_i16_e32 vcc_lo, 0, v17
	s_mov_b32 s34, -1
	s_cbranch_vccz .LBB110_95
; %bb.94:
	s_mov_b32 s34, 0
	global_store_b8 v[8:9], v10, off
.LBB110_95:
	s_and_not1_b32 vcc_lo, exec_lo, s34
	s_cbranch_vccnz .LBB110_97
; %bb.96:
	global_store_b8 v[8:9], v4, off
.LBB110_97:
	s_branch .LBB110_11
.LBB110_98:
	s_mov_b32 s37, 0
                                        ; implicit-def: $vgpr15
.LBB110_99:
	s_and_b32 s34, s0, exec_lo
	s_or_not1_b32 s0, s37, exec_lo
.LBB110_100:
	s_or_b32 exec_lo, exec_lo, s35
	s_mov_b32 s37, 0
                                        ; implicit-def: $vgpr17
                                        ; implicit-def: $vgpr8_vgpr9
	s_and_saveexec_b32 s35, s0
	s_cbranch_execz .LBB110_109
; %bb.101:
	s_mov_b32 s39, -1
	s_mov_b32 s36, s34
	s_mov_b32 s37, exec_lo
	v_cmpx_gt_i32_e64 s33, v15
	s_cbranch_execz .LBB110_326
; %bb.102:
	v_mul_lo_u32 v2, v15, s6
	v_and_b32_e64 v17, 0xff, s8
	s_delay_alu instid0(VALU_DEP_1) | instskip(NEXT) | instid1(VALU_DEP_3)
	v_cmp_gt_i16_e32 vcc_lo, 11, v17
	v_ashrrev_i32_e32 v3, 31, v2
	v_add_co_u32 v8, s0, s4, v2
	s_delay_alu instid0(VALU_DEP_1)
	v_add_co_ci_u32_e64 v9, s0, s5, v3, s0
	s_cbranch_vccnz .LBB110_219
; %bb.103:
	v_cmp_lt_i16_e32 vcc_lo, 25, v17
	s_cbranch_vccz .LBB110_222
; %bb.104:
	v_cmp_lt_i16_e32 vcc_lo, 28, v17
	s_cbranch_vccz .LBB110_223
	;; [unrolled: 3-line block ×4, first 2 shown]
; %bb.107:
	v_cmp_eq_u16_e32 vcc_lo, 46, v17
	s_mov_b32 s38, 0
	s_mov_b32 s0, -1
	s_mov_b32 s36, 0
	s_cbranch_vccz .LBB110_241
; %bb.108:
	v_mov_b32_e32 v2, s31
	s_mov_b32 s36, -1
	s_mov_b32 s0, 0
	global_store_b32 v[8:9], v2, off
	s_branch .LBB110_241
.LBB110_109:
	s_or_b32 exec_lo, exec_lo, s35
	s_mov_b32 s0, 0
	s_and_saveexec_b32 s9, s34
	s_cbranch_execnz .LBB110_883
.LBB110_110:
	s_or_b32 exec_lo, exec_lo, s9
	s_and_saveexec_b32 s9, s36
	s_delay_alu instid0(SALU_CYCLE_1)
	s_xor_b32 s9, exec_lo, s9
	s_cbranch_execz .LBB110_112
.LBB110_111:
	global_store_b8 v[8:9], v13, off
.LBB110_112:
	s_or_b32 exec_lo, exec_lo, s9
	s_and_saveexec_b32 s9, s37
	s_delay_alu instid0(SALU_CYCLE_1)
	s_xor_b32 s9, exec_lo, s9
	s_cbranch_execz .LBB110_150
; %bb.113:
	v_cmp_gt_i16_e32 vcc_lo, 5, v17
	s_mov_b32 s10, -1
	s_cbranch_vccnz .LBB110_134
; %bb.114:
	v_cmp_gt_i16_e32 vcc_lo, 8, v17
	s_cbranch_vccnz .LBB110_124
; %bb.115:
	v_cmp_gt_i16_e32 vcc_lo, 9, v17
	s_cbranch_vccnz .LBB110_121
; %bb.116:
	v_cmp_lt_i16_e32 vcc_lo, 9, v17
	s_cbranch_vccz .LBB110_118
; %bb.117:
	v_mov_b32_e32 v2, 0
	s_mov_b32 s10, 0
	s_delay_alu instid0(VALU_DEP_1)
	v_mov_b32_e32 v3, v2
	global_store_b128 v[8:9], v[0:3], off
.LBB110_118:
	s_and_not1_b32 vcc_lo, exec_lo, s10
	s_cbranch_vccnz .LBB110_120
; %bb.119:
	v_dual_mov_b32 v2, s1 :: v_dual_mov_b32 v3, 0
	global_store_b64 v[8:9], v[2:3], off
.LBB110_120:
	s_mov_b32 s10, 0
.LBB110_121:
	s_delay_alu instid0(SALU_CYCLE_1)
	s_and_not1_b32 vcc_lo, exec_lo, s10
	s_cbranch_vccnz .LBB110_123
; %bb.122:
	global_store_b32 v[8:9], v12, off
.LBB110_123:
	s_mov_b32 s10, 0
.LBB110_124:
	s_delay_alu instid0(SALU_CYCLE_1)
	s_and_not1_b32 vcc_lo, exec_lo, s10
	s_cbranch_vccnz .LBB110_133
; %bb.125:
	v_cmp_gt_i16_e32 vcc_lo, 6, v17
	s_mov_b32 s10, -1
	s_cbranch_vccnz .LBB110_131
; %bb.126:
	v_cmp_lt_i16_e32 vcc_lo, 6, v17
	s_cbranch_vccz .LBB110_128
; %bb.127:
	s_mov_b32 s10, 0
	global_store_b64 v[8:9], v[0:1], off
.LBB110_128:
	s_and_not1_b32 vcc_lo, exec_lo, s10
	s_cbranch_vccnz .LBB110_130
; %bb.129:
	v_mov_b32_e32 v0, s1
	global_store_b32 v[8:9], v0, off
.LBB110_130:
	s_mov_b32 s10, 0
.LBB110_131:
	s_delay_alu instid0(SALU_CYCLE_1)
	s_and_not1_b32 vcc_lo, exec_lo, s10
	s_cbranch_vccnz .LBB110_133
; %bb.132:
	global_store_b16 v[8:9], v11, off
.LBB110_133:
	s_mov_b32 s10, 0
.LBB110_134:
	s_delay_alu instid0(SALU_CYCLE_1)
	s_and_not1_b32 vcc_lo, exec_lo, s10
	s_cbranch_vccnz .LBB110_150
; %bb.135:
	v_cmp_gt_i16_e32 vcc_lo, 2, v17
	s_mov_b32 s1, -1
	s_cbranch_vccnz .LBB110_145
; %bb.136:
	v_cmp_gt_i16_e32 vcc_lo, 3, v17
	s_cbranch_vccnz .LBB110_142
; %bb.137:
	v_cmp_lt_i16_e32 vcc_lo, 3, v17
	s_cbranch_vccz .LBB110_139
; %bb.138:
	s_mov_b32 s1, 0
	global_store_b64 v[8:9], v[4:5], off
.LBB110_139:
	s_and_not1_b32 vcc_lo, exec_lo, s1
	s_cbranch_vccnz .LBB110_141
; %bb.140:
	global_store_b32 v[8:9], v10, off
.LBB110_141:
	s_mov_b32 s1, 0
.LBB110_142:
	s_delay_alu instid0(SALU_CYCLE_1)
	s_and_not1_b32 vcc_lo, exec_lo, s1
	s_cbranch_vccnz .LBB110_144
; %bb.143:
	global_store_b16 v[8:9], v10, off
.LBB110_144:
	s_mov_b32 s1, 0
.LBB110_145:
	s_delay_alu instid0(SALU_CYCLE_1)
	s_and_not1_b32 vcc_lo, exec_lo, s1
	s_cbranch_vccnz .LBB110_150
; %bb.146:
	v_cmp_lt_i16_e32 vcc_lo, 0, v17
	s_mov_b32 s1, -1
	s_cbranch_vccz .LBB110_148
; %bb.147:
	s_mov_b32 s1, 0
	global_store_b8 v[8:9], v10, off
.LBB110_148:
	s_and_not1_b32 vcc_lo, exec_lo, s1
	s_cbranch_vccnz .LBB110_150
; %bb.149:
	global_store_b8 v[8:9], v4, off
.LBB110_150:
	s_or_b32 exec_lo, exec_lo, s9
	s_delay_alu instid0(SALU_CYCLE_1)
	s_and_b32 s1, s0, exec_lo
                                        ; implicit-def: $vgpr15
.LBB110_151:
	s_or_saveexec_b32 s2, s2
	s_mov_b32 s0, 0
                                        ; implicit-def: $vgpr2
                                        ; implicit-def: $vgpr0_vgpr1
	s_xor_b32 exec_lo, exec_lo, s2
	s_cbranch_execz .LBB110_681
; %bb.152:
	v_mul_lo_u32 v3, s6, v15
	v_and_b32_e64 v2, 0xff, s8
	s_delay_alu instid0(VALU_DEP_1) | instskip(NEXT) | instid1(VALU_DEP_3)
	v_cmp_gt_i16_e32 vcc_lo, 11, v2
	v_ashrrev_i32_e32 v1, 31, v3
	v_add_co_u32 v0, s0, s4, v3
	s_delay_alu instid0(VALU_DEP_1)
	v_add_co_ci_u32_e64 v1, s0, s5, v1, s0
	s_cbranch_vccnz .LBB110_180
; %bb.153:
	v_cmp_lt_i16_e32 vcc_lo, 25, v2
	s_mov_b32 s3, -1
	s_mov_b32 s8, 0
	s_mov_b32 s9, 0
	;; [unrolled: 1-line block ×3, first 2 shown]
	s_cbranch_vccz .LBB110_233
; %bb.154:
	v_cmp_lt_i16_e32 vcc_lo, 28, v2
	s_cbranch_vccz .LBB110_169
; %bb.155:
	v_cmp_lt_i16_e32 vcc_lo, 43, v2
	;; [unrolled: 3-line block ×3, first 2 shown]
	s_cbranch_vccz .LBB110_159
; %bb.157:
	v_cmp_eq_u16_e32 vcc_lo, 46, v2
	s_mov_b32 s0, -1
	s_mov_b32 s3, 0
	s_cbranch_vccz .LBB110_159
; %bb.158:
	s_and_b32 s0, 0xffff, s7
	s_mov_b32 s9, -1
	v_mov_b32_e32 v4, s0
	s_mov_b32 s0, 0
	global_store_b32 v[0:1], v4, off
.LBB110_159:
	s_and_b32 vcc_lo, exec_lo, s3
	s_cbranch_vccz .LBB110_164
; %bb.160:
	v_cmp_eq_u16_e32 vcc_lo, 44, v2
	s_mov_b32 s0, -1
	s_cbranch_vccz .LBB110_164
; %bb.161:
	s_and_b32 s3, 0xffff, s7
	v_mov_b32_e32 v4, 0xff
	s_bfe_u32 s0, s3, 0x80007
	s_delay_alu instid0(SALU_CYCLE_1)
	s_cmpk_eq_i32 s0, 0xff
	s_cbranch_scc1 .LBB110_163
; %bb.162:
	s_lshr_b32 s9, s3, 7
	s_lshl_b32 s10, s3, 16
	s_bitcmp1_b32 s3, 6
	s_cselect_b32 s3, -1, 0
	s_and_b32 s10, s10, 0x3f0000
	s_delay_alu instid0(SALU_CYCLE_1) | instskip(NEXT) | instid1(SALU_CYCLE_1)
	s_or_b32 s0, s0, s10
	s_cmp_lg_u32 s0, 0
	s_cselect_b32 s0, -1, 0
	s_delay_alu instid0(SALU_CYCLE_1) | instskip(NEXT) | instid1(SALU_CYCLE_1)
	s_and_b32 s0, s3, s0
	v_cndmask_b32_e64 v4, 0, 1, s0
	s_delay_alu instid0(VALU_DEP_1)
	v_add_nc_u32_e32 v4, s9, v4
.LBB110_163:
	s_mov_b32 s0, 0
	s_mov_b32 s9, -1
	global_store_b8 v[0:1], v4, off
.LBB110_164:
	s_mov_b32 s3, 0
.LBB110_165:
	s_delay_alu instid0(SALU_CYCLE_1)
	s_and_b32 vcc_lo, exec_lo, s3
	s_cbranch_vccz .LBB110_168
; %bb.166:
	v_cmp_eq_u16_e32 vcc_lo, 29, v2
	s_mov_b32 s0, -1
	s_cbranch_vccz .LBB110_168
; %bb.167:
	s_lshl_b32 s0, s7, 16
	s_mov_b32 s9, -1
	v_trunc_f32_e32 v4, s0
	s_mov_b32 s0, 0
	s_delay_alu instid0(VALU_DEP_1) | instskip(NEXT) | instid1(VALU_DEP_1)
	v_mul_f32_e32 v5, 0x2f800000, v4
	v_floor_f32_e32 v5, v5
	s_delay_alu instid0(VALU_DEP_1) | instskip(SKIP_1) | instid1(VALU_DEP_2)
	v_fmamk_f32 v4, v5, 0xcf800000, v4
	v_cvt_u32_f32_e32 v5, v5
	v_cvt_u32_f32_e32 v4, v4
	global_store_b64 v[0:1], v[4:5], off
.LBB110_168:
	s_mov_b32 s3, 0
.LBB110_169:
	s_delay_alu instid0(SALU_CYCLE_1)
	s_and_b32 vcc_lo, exec_lo, s3
	s_cbranch_vccz .LBB110_232
; %bb.170:
	v_cmp_gt_i16_e32 vcc_lo, 27, v2
	s_mov_b32 s3, -1
	s_cbranch_vccnz .LBB110_176
; %bb.171:
	v_cmp_lt_i16_e32 vcc_lo, 27, v2
	s_cbranch_vccz .LBB110_173
; %bb.172:
	s_lshl_b32 s3, s7, 16
	s_delay_alu instid0(SALU_CYCLE_1)
	v_cvt_u32_f32_e32 v4, s3
	s_mov_b32 s3, 0
	global_store_b32 v[0:1], v4, off
.LBB110_173:
	s_and_not1_b32 vcc_lo, exec_lo, s3
	s_cbranch_vccnz .LBB110_175
; %bb.174:
	s_lshl_b32 s3, s7, 16
	s_delay_alu instid0(SALU_CYCLE_1)
	v_cvt_u32_f32_e32 v4, s3
	global_store_b16 v[0:1], v4, off
.LBB110_175:
	s_mov_b32 s3, 0
.LBB110_176:
	s_delay_alu instid0(SALU_CYCLE_1)
	s_and_not1_b32 vcc_lo, exec_lo, s3
	s_cbranch_vccnz .LBB110_231
; %bb.177:
	s_lshl_b32 s9, s7, 16
	v_mov_b32_e32 v5, 0x80
	s_and_b32 s10, s9, 0x7fffffff
	s_delay_alu instid0(SALU_CYCLE_1)
	s_cmp_gt_u32 s10, 0x437fffff
	s_cbranch_scc1 .LBB110_230
; %bb.178:
	s_and_b32 s3, 0xffff, s7
	s_cmp_gt_u32 s10, 0x3bffffff
	s_cbranch_scc0 .LBB110_225
; %bb.179:
	s_bfe_u32 s10, s3, 0x10004
	s_mov_b32 s11, 0
	s_add_i32 s10, s9, s10
	s_delay_alu instid0(SALU_CYCLE_1) | instskip(NEXT) | instid1(SALU_CYCLE_1)
	s_add_i32 s10, s10, 0x487ffff
	s_lshr_b32 s12, s10, 20
	s_mov_b32 s10, -1
	s_branch .LBB110_226
.LBB110_180:
	s_mov_b32 s9, 0
	s_mov_b32 s3, s1
	s_cbranch_execz .LBB110_382
; %bb.181:
	v_cmp_gt_i16_e32 vcc_lo, 5, v2
	s_mov_b32 s0, -1
	s_cbranch_vccnz .LBB110_202
; %bb.182:
	v_cmp_gt_i16_e32 vcc_lo, 8, v2
	s_cbranch_vccnz .LBB110_192
; %bb.183:
	v_cmp_gt_i16_e32 vcc_lo, 9, v2
	s_cbranch_vccnz .LBB110_189
; %bb.184:
	v_cmp_lt_i16_e32 vcc_lo, 9, v2
	s_cbranch_vccz .LBB110_186
; %bb.185:
	s_lshl_b32 s0, s7, 16
	v_mov_b32_e32 v6, 0
	v_cvt_f64_f32_e32 v[4:5], s0
	s_mov_b32 s0, 0
	s_delay_alu instid0(VALU_DEP_2)
	v_mov_b32_e32 v7, v6
	global_store_b128 v[0:1], v[4:7], off
.LBB110_186:
	s_and_not1_b32 vcc_lo, exec_lo, s0
	s_cbranch_vccnz .LBB110_188
; %bb.187:
	s_lshl_b32 s0, s7, 16
	s_delay_alu instid0(SALU_CYCLE_1)
	v_dual_mov_b32 v5, 0 :: v_dual_mov_b32 v4, s0
	global_store_b64 v[0:1], v[4:5], off
.LBB110_188:
	s_mov_b32 s0, 0
.LBB110_189:
	s_delay_alu instid0(SALU_CYCLE_1)
	s_and_not1_b32 vcc_lo, exec_lo, s0
	s_cbranch_vccnz .LBB110_191
; %bb.190:
	s_lshl_b32 s0, s7, 16
	s_delay_alu instid0(SALU_CYCLE_1) | instskip(NEXT) | instid1(VALU_DEP_1)
	v_cvt_f16_f32_e32 v4, s0
	v_and_b32_e32 v4, 0xffff, v4
	global_store_b32 v[0:1], v4, off
.LBB110_191:
	s_mov_b32 s0, 0
.LBB110_192:
	s_delay_alu instid0(SALU_CYCLE_1)
	s_and_not1_b32 vcc_lo, exec_lo, s0
	s_cbranch_vccnz .LBB110_201
; %bb.193:
	v_cmp_gt_i16_e32 vcc_lo, 6, v2
	s_mov_b32 s0, -1
	s_cbranch_vccnz .LBB110_199
; %bb.194:
	v_cmp_lt_i16_e32 vcc_lo, 6, v2
	s_cbranch_vccz .LBB110_196
; %bb.195:
	s_lshl_b32 s0, s7, 16
	s_delay_alu instid0(SALU_CYCLE_1)
	v_cvt_f64_f32_e32 v[4:5], s0
	s_mov_b32 s0, 0
	global_store_b64 v[0:1], v[4:5], off
.LBB110_196:
	s_and_not1_b32 vcc_lo, exec_lo, s0
	s_cbranch_vccnz .LBB110_198
; %bb.197:
	s_lshl_b32 s0, s7, 16
	s_delay_alu instid0(SALU_CYCLE_1)
	v_mov_b32_e32 v4, s0
	global_store_b32 v[0:1], v4, off
.LBB110_198:
	s_mov_b32 s0, 0
.LBB110_199:
	s_delay_alu instid0(SALU_CYCLE_1)
	s_and_not1_b32 vcc_lo, exec_lo, s0
	s_cbranch_vccnz .LBB110_201
; %bb.200:
	s_lshl_b32 s0, s7, 16
	s_delay_alu instid0(SALU_CYCLE_1)
	v_cvt_f16_f32_e32 v4, s0
	global_store_b16 v[0:1], v4, off
.LBB110_201:
	s_mov_b32 s0, 0
.LBB110_202:
	s_delay_alu instid0(SALU_CYCLE_1)
	s_and_not1_b32 vcc_lo, exec_lo, s0
	s_cbranch_vccnz .LBB110_218
; %bb.203:
	v_cmp_gt_i16_e32 vcc_lo, 2, v2
	s_mov_b32 s0, -1
	s_cbranch_vccnz .LBB110_213
; %bb.204:
	v_cmp_gt_i16_e32 vcc_lo, 3, v2
	s_cbranch_vccnz .LBB110_210
; %bb.205:
	v_cmp_lt_i16_e32 vcc_lo, 3, v2
	s_cbranch_vccz .LBB110_207
; %bb.206:
	s_lshl_b32 s0, s7, 16
	s_delay_alu instid0(SALU_CYCLE_1) | instskip(SKIP_1) | instid1(VALU_DEP_1)
	v_trunc_f32_e32 v4, s0
	s_mov_b32 s0, 0
	v_mul_f32_e64 v5, 0x2f800000, |v4|
	v_ashrrev_i32_e32 v7, 31, v4
	s_delay_alu instid0(VALU_DEP_2) | instskip(NEXT) | instid1(VALU_DEP_1)
	v_floor_f32_e32 v5, v5
	v_fma_f32 v6, 0xcf800000, v5, |v4|
	v_cvt_u32_f32_e32 v5, v5
	s_delay_alu instid0(VALU_DEP_2) | instskip(NEXT) | instid1(VALU_DEP_2)
	v_cvt_u32_f32_e32 v4, v6
	v_xor_b32_e32 v5, v5, v7
	s_delay_alu instid0(VALU_DEP_2) | instskip(NEXT) | instid1(VALU_DEP_1)
	v_xor_b32_e32 v4, v4, v7
	v_sub_co_u32 v4, vcc_lo, v4, v7
	s_delay_alu instid0(VALU_DEP_3)
	v_sub_co_ci_u32_e32 v5, vcc_lo, v5, v7, vcc_lo
	global_store_b64 v[0:1], v[4:5], off
.LBB110_207:
	s_and_not1_b32 vcc_lo, exec_lo, s0
	s_cbranch_vccnz .LBB110_209
; %bb.208:
	s_lshl_b32 s0, s7, 16
	s_delay_alu instid0(SALU_CYCLE_1)
	v_cvt_i32_f32_e32 v4, s0
	global_store_b32 v[0:1], v4, off
.LBB110_209:
	s_mov_b32 s0, 0
.LBB110_210:
	s_delay_alu instid0(SALU_CYCLE_1)
	s_and_not1_b32 vcc_lo, exec_lo, s0
	s_cbranch_vccnz .LBB110_212
; %bb.211:
	s_lshl_b32 s0, s7, 16
	s_delay_alu instid0(SALU_CYCLE_1)
	v_cvt_i32_f32_e32 v4, s0
	global_store_b16 v[0:1], v4, off
.LBB110_212:
	s_mov_b32 s0, 0
.LBB110_213:
	s_delay_alu instid0(SALU_CYCLE_1)
	s_and_not1_b32 vcc_lo, exec_lo, s0
	s_cbranch_vccnz .LBB110_218
; %bb.214:
	v_cmp_lt_i16_e32 vcc_lo, 0, v2
	s_mov_b32 s0, -1
	s_cbranch_vccz .LBB110_216
; %bb.215:
	s_lshl_b32 s0, s7, 16
	s_delay_alu instid0(SALU_CYCLE_1)
	v_cvt_i32_f32_e32 v4, s0
	s_mov_b32 s0, 0
	global_store_b8 v[0:1], v4, off
.LBB110_216:
	s_and_not1_b32 vcc_lo, exec_lo, s0
	s_cbranch_vccnz .LBB110_218
; %bb.217:
	s_lshl_b32 s0, s7, 16
	s_delay_alu instid0(SALU_CYCLE_1) | instskip(NEXT) | instid1(VALU_DEP_1)
	v_trunc_f32_e32 v4, s0
	v_mul_f32_e64 v5, 0x2f800000, |v4|
	s_delay_alu instid0(VALU_DEP_1) | instskip(NEXT) | instid1(VALU_DEP_1)
	v_floor_f32_e32 v5, v5
	v_fma_f32 v5, 0xcf800000, v5, |v4|
	v_ashrrev_i32_e32 v4, 31, v4
	s_delay_alu instid0(VALU_DEP_2) | instskip(NEXT) | instid1(VALU_DEP_1)
	v_cvt_u32_f32_e32 v5, v5
	v_xor_b32_e32 v5, v5, v4
	s_delay_alu instid0(VALU_DEP_1)
	v_sub_nc_u32_e32 v4, v5, v4
	global_store_b8 v[0:1], v4, off
.LBB110_218:
	s_branch .LBB110_383
.LBB110_219:
	s_mov_b32 s36, 0
	s_mov_b32 s0, s34
	s_cbranch_execnz .LBB110_286
.LBB110_220:
	s_and_not1_b32 vcc_lo, exec_lo, s36
	s_cbranch_vccnz .LBB110_324
.LBB110_221:
	v_add_nc_u32_e32 v15, 0x80, v15
	s_mov_b32 s38, -1
	s_branch .LBB110_325
.LBB110_222:
	s_mov_b32 s38, -1
	s_mov_b32 s36, 0
	s_mov_b32 s0, s34
	s_branch .LBB110_263
.LBB110_223:
	s_mov_b32 s38, -1
	s_mov_b32 s36, 0
	s_mov_b32 s0, s34
	s_branch .LBB110_249
.LBB110_224:
	s_mov_b32 s38, -1
	s_mov_b32 s36, 0
	s_mov_b32 s0, s34
	s_branch .LBB110_245
.LBB110_225:
	s_mov_b32 s11, -1
	s_mov_b32 s10, 0
                                        ; implicit-def: $sgpr12
.LBB110_226:
	v_mov_b32_e32 v4, s12
	s_and_not1_b32 vcc_lo, exec_lo, s11
                                        ; implicit-def: $sgpr11
	s_cbranch_vccnz .LBB110_228
; %bb.227:
	v_add_f32_e64 v4, 0x46000000, |s9|
	s_mov_b32 s11, 0
	s_delay_alu instid0(VALU_DEP_1) | instskip(NEXT) | instid1(VALU_DEP_1)
	v_and_b32_e32 v4, 0xff, v4
	v_cmp_ne_u32_e64 s10, 0, v4
.LBB110_228:
	v_mov_b32_e32 v5, s11
	s_delay_alu instid0(VALU_DEP_2)
	s_and_not1_b32 vcc_lo, exec_lo, s10
	s_cbranch_vccnz .LBB110_230
; %bb.229:
	s_lshr_b32 s3, s3, 8
	s_delay_alu instid0(SALU_CYCLE_1) | instskip(NEXT) | instid1(SALU_CYCLE_1)
	s_and_b32 s3, s3, 0x80
	v_or_b32_e32 v5, s3, v4
.LBB110_230:
	global_store_b8 v[0:1], v5, off
.LBB110_231:
	s_mov_b32 s9, -1
.LBB110_232:
	s_mov_b32 s3, 0
.LBB110_233:
	s_delay_alu instid0(SALU_CYCLE_1)
	s_and_b32 vcc_lo, exec_lo, s3
	s_cbranch_vccz .LBB110_378
; %bb.234:
	v_cmp_lt_i16_e32 vcc_lo, 22, v2
	s_mov_b32 s3, -1
	s_cbranch_vccz .LBB110_371
; %bb.235:
	v_cmp_gt_i16_e32 vcc_lo, 24, v2
	s_cbranch_vccnz .LBB110_358
; %bb.236:
	v_cmp_lt_i16_e32 vcc_lo, 24, v2
	s_cbranch_vccz .LBB110_345
; %bb.237:
	s_lshl_b32 s8, s7, 16
	v_mov_b32_e32 v5, 0x80
	s_and_b32 s9, s8, 0x7fffffff
	s_delay_alu instid0(SALU_CYCLE_1)
	s_cmp_gt_u32 s9, 0x477fffff
	s_cbranch_scc1 .LBB110_344
; %bb.238:
	s_and_b32 s3, 0xffff, s7
	s_cmp_gt_u32 s9, 0x37ffffff
	s_cbranch_scc0 .LBB110_339
; %bb.239:
	s_bfe_u32 s9, s3, 0x10005
	s_mov_b32 s10, 0
	s_add_i32 s9, s8, s9
	s_delay_alu instid0(SALU_CYCLE_1) | instskip(NEXT) | instid1(SALU_CYCLE_1)
	s_add_i32 s9, s9, 0x88fffff
	s_lshr_b32 s11, s9, 21
	s_mov_b32 s9, -1
	s_branch .LBB110_340
.LBB110_240:
	s_mov_b32 s38, -1
	s_mov_b32 s36, 0
	s_mov_b32 s0, s34
.LBB110_241:
	s_and_b32 vcc_lo, exec_lo, s38
	s_cbranch_vccz .LBB110_244
; %bb.242:
	v_cmp_eq_u16_e32 vcc_lo, 44, v17
	s_mov_b32 s0, -1
	s_cbranch_vccz .LBB110_244
; %bb.243:
	v_cndmask_b32_e64 v2, v16, 0xff, s30
	s_mov_b32 s36, -1
	s_mov_b32 s0, 0
	global_store_b8 v[8:9], v2, off
.LBB110_244:
	s_mov_b32 s38, 0
.LBB110_245:
	s_delay_alu instid0(SALU_CYCLE_1)
	s_and_b32 vcc_lo, exec_lo, s38
	s_cbranch_vccz .LBB110_248
; %bb.246:
	v_cmp_eq_u16_e32 vcc_lo, 29, v17
	s_mov_b32 s0, -1
	s_cbranch_vccz .LBB110_248
; %bb.247:
	s_mov_b32 s36, -1
	s_mov_b32 s0, 0
	global_store_b64 v[8:9], v[6:7], off
.LBB110_248:
	s_mov_b32 s38, 0
.LBB110_249:
	s_delay_alu instid0(SALU_CYCLE_1)
	s_and_b32 vcc_lo, exec_lo, s38
	s_cbranch_vccz .LBB110_262
; %bb.250:
	v_cmp_gt_i16_e32 vcc_lo, 27, v17
	s_mov_b32 s36, -1
	s_cbranch_vccnz .LBB110_256
; %bb.251:
	v_cmp_lt_i16_e32 vcc_lo, 27, v17
	s_cbranch_vccz .LBB110_253
; %bb.252:
	s_mov_b32 s36, 0
	global_store_b32 v[8:9], v14, off
.LBB110_253:
	s_and_not1_b32 vcc_lo, exec_lo, s36
	s_cbranch_vccnz .LBB110_255
; %bb.254:
	global_store_b16 v[8:9], v14, off
.LBB110_255:
	s_mov_b32 s36, 0
.LBB110_256:
	s_delay_alu instid0(SALU_CYCLE_1)
	s_and_not1_b32 vcc_lo, exec_lo, s36
	s_cbranch_vccnz .LBB110_261
; %bb.257:
	s_and_not1_b32 vcc_lo, exec_lo, s28
	s_movk_i32 s36, 0x80
	s_cbranch_vccnz .LBB110_260
; %bb.258:
	s_or_b32 s36, s26, s29
	s_delay_alu instid0(SALU_CYCLE_1)
	s_and_not1_b32 vcc_lo, exec_lo, s36
	s_mov_b32 s36, 0
	s_cbranch_vccnz .LBB110_260
; %bb.259:
	s_and_b32 s36, s26, exec_lo
	s_cselect_b32 s36, s27, s25
	s_delay_alu instid0(SALU_CYCLE_1)
	s_or_b32 s36, s36, s9
.LBB110_260:
	s_delay_alu instid0(SALU_CYCLE_1)
	v_mov_b32_e32 v2, s36
	global_store_b8 v[8:9], v2, off
.LBB110_261:
	s_mov_b32 s36, -1
.LBB110_262:
	s_mov_b32 s38, 0
.LBB110_263:
	s_delay_alu instid0(SALU_CYCLE_1)
	s_and_b32 vcc_lo, exec_lo, s38
	s_cbranch_vccz .LBB110_285
; %bb.264:
	v_cmp_lt_i16_e32 vcc_lo, 22, v17
	s_mov_b32 s38, -1
	s_cbranch_vccz .LBB110_277
; %bb.265:
	v_cmp_gt_i16_e32 vcc_lo, 24, v17
	s_mov_b32 s36, -1
	s_cbranch_vccnz .LBB110_274
; %bb.266:
	v_cmp_lt_i16_e32 vcc_lo, 24, v17
	s_cbranch_vccz .LBB110_271
; %bb.267:
	s_and_not1_b32 vcc_lo, exec_lo, s18
	s_movk_i32 s36, 0x80
	s_cbranch_vccnz .LBB110_270
; %bb.268:
	s_or_b32 s36, s13, s21
	s_delay_alu instid0(SALU_CYCLE_1)
	s_and_not1_b32 vcc_lo, exec_lo, s36
	s_mov_b32 s36, 0
	s_cbranch_vccnz .LBB110_270
; %bb.269:
	s_and_b32 s36, s13, exec_lo
	s_cselect_b32 s36, s16, s14
	s_delay_alu instid0(SALU_CYCLE_1)
	s_or_b32 s36, s36, s9
.LBB110_270:
	s_delay_alu instid0(SALU_CYCLE_1)
	v_mov_b32_e32 v2, s36
	s_mov_b32 s36, 0
	global_store_b8 v[8:9], v2, off
.LBB110_271:
	s_and_b32 vcc_lo, exec_lo, s36
	s_cbranch_vccz .LBB110_273
; %bb.272:
	s_and_b32 s36, s12, exec_lo
	s_cselect_b32 s36, s24, s20
	s_and_b32 s38, s11, exec_lo
	s_cselect_b32 s36, s23, s36
	s_delay_alu instid0(SALU_CYCLE_1) | instskip(NEXT) | instid1(SALU_CYCLE_1)
	s_or_b32 s36, s36, s9
	v_mov_b32_e32 v2, s36
	global_store_b8 v[8:9], v2, off
.LBB110_273:
	s_mov_b32 s36, 0
.LBB110_274:
	s_delay_alu instid0(SALU_CYCLE_1)
	s_and_not1_b32 vcc_lo, exec_lo, s36
	s_cbranch_vccnz .LBB110_276
; %bb.275:
	s_and_b32 s36, s15, exec_lo
	s_cselect_b32 s36, s19, s17
	s_and_b32 s38, s10, exec_lo
	s_cselect_b32 s36, s22, s36
	s_delay_alu instid0(SALU_CYCLE_1) | instskip(NEXT) | instid1(SALU_CYCLE_1)
	s_or_b32 s36, s36, s9
	v_mov_b32_e32 v2, s36
	global_store_b8 v[8:9], v2, off
.LBB110_276:
	s_mov_b32 s38, 0
	s_mov_b32 s36, -1
.LBB110_277:
	s_and_not1_b32 vcc_lo, exec_lo, s38
	s_cbranch_vccnz .LBB110_285
; %bb.278:
	v_cmp_lt_i16_e32 vcc_lo, 14, v17
	s_mov_b32 s38, -1
	s_cbranch_vccz .LBB110_282
; %bb.279:
	v_cmp_eq_u16_e32 vcc_lo, 15, v17
	s_mov_b32 s0, -1
	s_cbranch_vccz .LBB110_281
; %bb.280:
	v_mov_b32_e32 v2, s7
	s_mov_b32 s36, -1
	s_mov_b32 s0, 0
	global_store_b16 v[8:9], v2, off
.LBB110_281:
	s_mov_b32 s38, 0
.LBB110_282:
	s_delay_alu instid0(SALU_CYCLE_1)
	s_and_b32 vcc_lo, exec_lo, s38
	s_cbranch_vccz .LBB110_285
; %bb.283:
	v_cmp_eq_u16_e32 vcc_lo, 11, v17
	s_mov_b32 s0, -1
	s_cbranch_vccz .LBB110_285
; %bb.284:
	s_mov_b32 s36, -1
	s_mov_b32 s0, 0
	global_store_b8 v[8:9], v13, off
.LBB110_285:
	s_branch .LBB110_220
.LBB110_286:
	v_cmp_gt_i16_e32 vcc_lo, 5, v17
	s_mov_b32 s36, -1
	s_cbranch_vccnz .LBB110_307
; %bb.287:
	v_cmp_gt_i16_e32 vcc_lo, 8, v17
	s_cbranch_vccnz .LBB110_297
; %bb.288:
	v_cmp_gt_i16_e32 vcc_lo, 9, v17
	s_cbranch_vccnz .LBB110_294
; %bb.289:
	v_cmp_lt_i16_e32 vcc_lo, 9, v17
	s_cbranch_vccz .LBB110_291
; %bb.290:
	v_mov_b32_e32 v2, 0
	s_mov_b32 s36, 0
	s_delay_alu instid0(VALU_DEP_1)
	v_mov_b32_e32 v3, v2
	global_store_b128 v[8:9], v[0:3], off
.LBB110_291:
	s_and_not1_b32 vcc_lo, exec_lo, s36
	s_cbranch_vccnz .LBB110_293
; %bb.292:
	v_dual_mov_b32 v2, s1 :: v_dual_mov_b32 v3, 0
	global_store_b64 v[8:9], v[2:3], off
.LBB110_293:
	s_mov_b32 s36, 0
.LBB110_294:
	s_delay_alu instid0(SALU_CYCLE_1)
	s_and_not1_b32 vcc_lo, exec_lo, s36
	s_cbranch_vccnz .LBB110_296
; %bb.295:
	global_store_b32 v[8:9], v12, off
.LBB110_296:
	s_mov_b32 s36, 0
.LBB110_297:
	s_delay_alu instid0(SALU_CYCLE_1)
	s_and_not1_b32 vcc_lo, exec_lo, s36
	s_cbranch_vccnz .LBB110_306
; %bb.298:
	v_cmp_gt_i16_e32 vcc_lo, 6, v17
	s_mov_b32 s36, -1
	s_cbranch_vccnz .LBB110_304
; %bb.299:
	v_cmp_lt_i16_e32 vcc_lo, 6, v17
	s_cbranch_vccz .LBB110_301
; %bb.300:
	s_mov_b32 s36, 0
	global_store_b64 v[8:9], v[0:1], off
.LBB110_301:
	s_and_not1_b32 vcc_lo, exec_lo, s36
	s_cbranch_vccnz .LBB110_303
; %bb.302:
	v_mov_b32_e32 v2, s1
	global_store_b32 v[8:9], v2, off
.LBB110_303:
	s_mov_b32 s36, 0
.LBB110_304:
	s_delay_alu instid0(SALU_CYCLE_1)
	s_and_not1_b32 vcc_lo, exec_lo, s36
	s_cbranch_vccnz .LBB110_306
; %bb.305:
	global_store_b16 v[8:9], v11, off
.LBB110_306:
	s_mov_b32 s36, 0
.LBB110_307:
	s_delay_alu instid0(SALU_CYCLE_1)
	s_and_not1_b32 vcc_lo, exec_lo, s36
	s_cbranch_vccnz .LBB110_323
; %bb.308:
	v_cmp_gt_i16_e32 vcc_lo, 2, v17
	s_mov_b32 s36, -1
	s_cbranch_vccnz .LBB110_318
; %bb.309:
	v_cmp_gt_i16_e32 vcc_lo, 3, v17
	s_cbranch_vccnz .LBB110_315
; %bb.310:
	v_cmp_lt_i16_e32 vcc_lo, 3, v17
	s_cbranch_vccz .LBB110_312
; %bb.311:
	s_mov_b32 s36, 0
	global_store_b64 v[8:9], v[4:5], off
.LBB110_312:
	s_and_not1_b32 vcc_lo, exec_lo, s36
	s_cbranch_vccnz .LBB110_314
; %bb.313:
	global_store_b32 v[8:9], v10, off
.LBB110_314:
	s_mov_b32 s36, 0
.LBB110_315:
	s_delay_alu instid0(SALU_CYCLE_1)
	s_and_not1_b32 vcc_lo, exec_lo, s36
	s_cbranch_vccnz .LBB110_317
; %bb.316:
	global_store_b16 v[8:9], v10, off
.LBB110_317:
	s_mov_b32 s36, 0
.LBB110_318:
	s_delay_alu instid0(SALU_CYCLE_1)
	s_and_not1_b32 vcc_lo, exec_lo, s36
	s_cbranch_vccnz .LBB110_323
; %bb.319:
	v_cmp_lt_i16_e32 vcc_lo, 0, v17
	s_mov_b32 s36, -1
	s_cbranch_vccz .LBB110_321
; %bb.320:
	s_mov_b32 s36, 0
	global_store_b8 v[8:9], v10, off
.LBB110_321:
	s_and_not1_b32 vcc_lo, exec_lo, s36
	s_cbranch_vccnz .LBB110_323
; %bb.322:
	global_store_b8 v[8:9], v4, off
.LBB110_323:
	s_branch .LBB110_221
.LBB110_324:
	s_mov_b32 s38, 0
                                        ; implicit-def: $vgpr15
.LBB110_325:
	s_and_not1_b32 s36, s34, exec_lo
	s_and_b32 s0, s0, exec_lo
	s_or_not1_b32 s39, s38, exec_lo
	s_or_b32 s36, s36, s0
.LBB110_326:
	s_or_b32 exec_lo, exec_lo, s37
	s_mov_b32 s0, 0
	s_mov_b32 s38, 0
                                        ; implicit-def: $vgpr17
                                        ; implicit-def: $vgpr8_vgpr9
	s_and_saveexec_b32 s37, s39
	s_cbranch_execz .LBB110_882
; %bb.327:
	s_mov_b32 s41, -1
	s_mov_b32 s39, s36
	s_mov_b32 s38, exec_lo
	v_cmpx_gt_i32_e64 s33, v15
	s_cbranch_execz .LBB110_558
; %bb.328:
	v_mul_lo_u32 v2, v15, s6
	v_and_b32_e64 v17, 0xff, s8
	s_delay_alu instid0(VALU_DEP_1) | instskip(NEXT) | instid1(VALU_DEP_3)
	v_cmp_gt_i16_e32 vcc_lo, 11, v17
	v_ashrrev_i32_e32 v3, 31, v2
	v_add_co_u32 v8, s0, s4, v2
	s_delay_alu instid0(VALU_DEP_1)
	v_add_co_ci_u32_e64 v9, s0, s5, v3, s0
	s_cbranch_vccnz .LBB110_335
; %bb.329:
	v_cmp_lt_i16_e32 vcc_lo, 25, v17
	s_cbranch_vccz .LBB110_336
; %bb.330:
	v_cmp_lt_i16_e32 vcc_lo, 28, v17
	s_cbranch_vccz .LBB110_337
	;; [unrolled: 3-line block ×4, first 2 shown]
; %bb.333:
	v_cmp_eq_u16_e32 vcc_lo, 46, v17
	s_mov_b32 s40, 0
	s_mov_b32 s0, -1
	s_mov_b32 s39, 0
	s_cbranch_vccz .LBB110_470
; %bb.334:
	v_mov_b32_e32 v2, s31
	s_mov_b32 s39, -1
	s_mov_b32 s0, 0
	global_store_b32 v[8:9], v2, off
	s_branch .LBB110_470
.LBB110_335:
	s_mov_b32 s40, -1
	s_mov_b32 s39, 0
	s_mov_b32 s0, s36
	s_branch .LBB110_515
.LBB110_336:
	s_mov_b32 s40, -1
	s_mov_b32 s39, 0
	s_mov_b32 s0, s36
	s_branch .LBB110_492
.LBB110_337:
	s_mov_b32 s40, -1
	s_mov_b32 s39, 0
	s_mov_b32 s0, s36
	s_branch .LBB110_478
.LBB110_338:
	s_mov_b32 s40, -1
	s_mov_b32 s39, 0
	s_mov_b32 s0, s36
	s_branch .LBB110_474
.LBB110_339:
	s_mov_b32 s10, -1
	s_mov_b32 s9, 0
                                        ; implicit-def: $sgpr11
.LBB110_340:
	v_mov_b32_e32 v4, s11
	s_and_not1_b32 vcc_lo, exec_lo, s10
                                        ; implicit-def: $sgpr10
	s_cbranch_vccnz .LBB110_342
; %bb.341:
	v_add_f32_e64 v4, 0x42800000, |s8|
	s_mov_b32 s10, 0
	s_delay_alu instid0(VALU_DEP_1) | instskip(NEXT) | instid1(VALU_DEP_1)
	v_and_b32_e32 v4, 0xff, v4
	v_cmp_ne_u32_e64 s9, 0, v4
.LBB110_342:
	v_mov_b32_e32 v5, s10
	s_delay_alu instid0(VALU_DEP_2)
	s_and_not1_b32 vcc_lo, exec_lo, s9
	s_cbranch_vccnz .LBB110_344
; %bb.343:
	s_lshr_b32 s3, s3, 8
	s_delay_alu instid0(SALU_CYCLE_1) | instskip(NEXT) | instid1(SALU_CYCLE_1)
	s_and_b32 s3, s3, 0x80
	v_or_b32_e32 v5, s3, v4
.LBB110_344:
	s_mov_b32 s3, 0
	global_store_b8 v[0:1], v5, off
.LBB110_345:
	s_and_b32 vcc_lo, exec_lo, s3
	s_cbranch_vccz .LBB110_357
; %bb.346:
	s_lshl_b32 s9, s7, 16
	s_and_b32 s3, 0xffff, s7
	s_and_b32 s8, s9, 0x7fffffff
	s_delay_alu instid0(SALU_CYCLE_1)
	s_cmp_lt_u32 s8, 0x43f00000
	s_cbranch_scc0 .LBB110_349
; %bb.347:
	s_cmp_gt_u32 s8, 0x3c7fffff
	s_cbranch_scc0 .LBB110_350
; %bb.348:
	s_bfe_u32 s10, s3, 0x10004
	s_delay_alu instid0(SALU_CYCLE_1) | instskip(NEXT) | instid1(SALU_CYCLE_1)
	s_add_i32 s10, s9, s10
	s_add_i32 s10, s10, 0x407ffff
	s_delay_alu instid0(SALU_CYCLE_1)
	s_and_b32 s11, s10, 0xff00000
	s_lshr_b32 s10, s10, 20
	s_cmp_lg_u32 s11, 0x7f00000
	s_cselect_b32 s11, s10, 0x7e
	s_mov_b32 s10, 0
	s_branch .LBB110_351
.LBB110_349:
	s_mov_b32 s9, -1
                                        ; implicit-def: $vgpr4
	s_branch .LBB110_354
.LBB110_350:
	s_mov_b32 s10, -1
                                        ; implicit-def: $sgpr11
.LBB110_351:
	v_mov_b32_e32 v4, s11
	s_and_not1_b32 vcc_lo, exec_lo, s10
	s_cbranch_vccnz .LBB110_353
; %bb.352:
	v_add_f32_e64 v4, 0x46800000, |s9|
.LBB110_353:
	s_mov_b32 s9, 0
.LBB110_354:
	s_delay_alu instid0(SALU_CYCLE_1)
	s_and_not1_b32 vcc_lo, exec_lo, s9
	s_cbranch_vccnz .LBB110_356
; %bb.355:
	s_cmp_gt_u32 s8, 0x7f800000
	s_movk_i32 s8, 0x7f
	s_delay_alu instid0(SALU_CYCLE_1) | instskip(NEXT) | instid1(SALU_CYCLE_1)
	s_cselect_b32 s8, s8, 0x7e
	v_mov_b32_e32 v4, s8
.LBB110_356:
	s_lshr_b32 s3, s3, 8
	s_delay_alu instid0(SALU_CYCLE_1)
	s_and_b32 s3, s3, 0x80
	s_delay_alu instid0(VALU_DEP_1) | instid1(SALU_CYCLE_1)
	v_or_b32_e32 v4, s3, v4
	global_store_b8 v[0:1], v4, off
.LBB110_357:
	s_mov_b32 s3, 0
.LBB110_358:
	s_delay_alu instid0(SALU_CYCLE_1)
	s_and_not1_b32 vcc_lo, exec_lo, s3
	s_cbranch_vccnz .LBB110_370
; %bb.359:
	s_lshl_b32 s9, s7, 16
	s_and_b32 s3, 0xffff, s7
	s_and_b32 s8, s9, 0x7fffffff
	s_delay_alu instid0(SALU_CYCLE_1)
	s_cmp_lt_u32 s8, 0x47800000
	s_cbranch_scc0 .LBB110_362
; %bb.360:
	s_cmp_gt_u32 s8, 0x387fffff
	s_cbranch_scc0 .LBB110_363
; %bb.361:
	s_bfe_u32 s10, s3, 0x10005
	s_delay_alu instid0(SALU_CYCLE_1) | instskip(NEXT) | instid1(SALU_CYCLE_1)
	s_add_i32 s10, s9, s10
	s_add_i32 s10, s10, 0x80fffff
	s_delay_alu instid0(SALU_CYCLE_1)
	s_lshr_b32 s11, s10, 21
	s_mov_b32 s10, 0
	s_branch .LBB110_364
.LBB110_362:
	s_mov_b32 s9, -1
                                        ; implicit-def: $vgpr4
	s_branch .LBB110_367
.LBB110_363:
	s_mov_b32 s10, -1
                                        ; implicit-def: $sgpr11
.LBB110_364:
	v_mov_b32_e32 v4, s11
	s_and_not1_b32 vcc_lo, exec_lo, s10
	s_cbranch_vccnz .LBB110_366
; %bb.365:
	v_add_f32_e64 v4, 0x43000000, |s9|
.LBB110_366:
	s_mov_b32 s9, 0
.LBB110_367:
	s_delay_alu instid0(SALU_CYCLE_1)
	s_and_not1_b32 vcc_lo, exec_lo, s9
	s_cbranch_vccnz .LBB110_369
; %bb.368:
	s_cmp_gt_u32 s8, 0x7f800000
	s_movk_i32 s8, 0x7f
	s_delay_alu instid0(SALU_CYCLE_1) | instskip(NEXT) | instid1(SALU_CYCLE_1)
	s_cselect_b32 s8, s8, 0x7c
	v_mov_b32_e32 v4, s8
.LBB110_369:
	s_lshr_b32 s3, s3, 8
	s_delay_alu instid0(SALU_CYCLE_1)
	s_and_b32 s3, s3, 0x80
	s_delay_alu instid0(VALU_DEP_1) | instid1(SALU_CYCLE_1)
	v_or_b32_e32 v4, s3, v4
	global_store_b8 v[0:1], v4, off
.LBB110_370:
	s_mov_b32 s3, 0
	s_mov_b32 s9, -1
.LBB110_371:
	s_and_not1_b32 vcc_lo, exec_lo, s3
	s_mov_b32 s8, 0
	s_cbranch_vccnz .LBB110_378
; %bb.372:
	v_cmp_lt_i16_e32 vcc_lo, 14, v2
	s_mov_b32 s3, -1
	s_cbranch_vccz .LBB110_376
; %bb.373:
	v_cmp_eq_u16_e32 vcc_lo, 15, v2
	s_mov_b32 s0, -1
	s_cbranch_vccz .LBB110_375
; %bb.374:
	v_mov_b32_e32 v4, s7
	s_mov_b32 s0, 0
	s_mov_b32 s9, -1
	global_store_b16 v[0:1], v4, off
.LBB110_375:
	s_mov_b32 s3, 0
.LBB110_376:
	s_delay_alu instid0(SALU_CYCLE_1)
	s_and_b32 vcc_lo, exec_lo, s3
	s_cbranch_vccz .LBB110_378
; %bb.377:
	v_cmp_ne_u16_e64 s0, 11, v2
	s_mov_b32 s8, -1
.LBB110_378:
	s_delay_alu instid0(VALU_DEP_1)
	s_and_b32 vcc_lo, exec_lo, s0
	s_mov_b32 s3, s1
	s_cbranch_vccnz .LBB110_450
; %bb.379:
	s_and_not1_b32 vcc_lo, exec_lo, s8
	s_cbranch_vccnz .LBB110_381
.LBB110_380:
	v_and_b32_e64 v4, 0x7fff, s7
	s_mov_b32 s9, -1
	s_delay_alu instid0(VALU_DEP_1)
	v_cmp_ne_u16_e32 vcc_lo, 0, v4
	v_cndmask_b32_e64 v4, 0, 1, vcc_lo
	global_store_b8 v[0:1], v4, off
.LBB110_381:
.LBB110_382:
	s_and_not1_b32 vcc_lo, exec_lo, s9
	s_cbranch_vccnz .LBB110_679
.LBB110_383:
	s_lshl_b32 s6, s6, 7
	v_cmp_gt_i16_e32 vcc_lo, 11, v2
	v_add_nc_u32_e32 v3, s6, v3
	s_delay_alu instid0(VALU_DEP_1) | instskip(SKIP_1) | instid1(VALU_DEP_1)
	v_ashrrev_i32_e32 v1, 31, v3
	v_add_co_u32 v0, s0, s4, v3
	v_add_co_ci_u32_e64 v1, s0, s5, v1, s0
	s_cbranch_vccnz .LBB110_411
; %bb.384:
	v_cmp_lt_i16_e32 vcc_lo, 25, v2
	s_mov_b32 s10, -1
	s_mov_b32 s8, 0
	s_mov_b32 s9, 0
	;; [unrolled: 1-line block ×3, first 2 shown]
	s_cbranch_vccz .LBB110_462
; %bb.385:
	v_cmp_lt_i16_e32 vcc_lo, 28, v2
	s_cbranch_vccz .LBB110_400
; %bb.386:
	v_cmp_lt_i16_e32 vcc_lo, 43, v2
	;; [unrolled: 3-line block ×3, first 2 shown]
	s_cbranch_vccz .LBB110_390
; %bb.388:
	v_cmp_eq_u16_e32 vcc_lo, 46, v2
	s_mov_b32 s0, -1
	s_mov_b32 s10, 0
	s_cbranch_vccz .LBB110_390
; %bb.389:
	s_and_b32 s0, 0xffff, s7
	s_mov_b32 s9, -1
	v_mov_b32_e32 v4, s0
	s_mov_b32 s0, 0
	global_store_b32 v[0:1], v4, off
.LBB110_390:
	s_and_b32 vcc_lo, exec_lo, s10
	s_cbranch_vccz .LBB110_395
; %bb.391:
	v_cmp_eq_u16_e32 vcc_lo, 44, v2
	s_mov_b32 s0, -1
	s_cbranch_vccz .LBB110_395
; %bb.392:
	s_and_b32 s9, 0xffff, s7
	v_mov_b32_e32 v4, 0xff
	s_bfe_u32 s0, s9, 0x80007
	s_delay_alu instid0(SALU_CYCLE_1)
	s_cmpk_eq_i32 s0, 0xff
	s_cbranch_scc1 .LBB110_394
; %bb.393:
	s_lshr_b32 s10, s9, 7
	s_lshl_b32 s11, s9, 16
	s_bitcmp1_b32 s9, 6
	s_cselect_b32 s9, -1, 0
	s_and_b32 s11, s11, 0x3f0000
	s_delay_alu instid0(SALU_CYCLE_1) | instskip(NEXT) | instid1(SALU_CYCLE_1)
	s_or_b32 s0, s0, s11
	s_cmp_lg_u32 s0, 0
	s_cselect_b32 s0, -1, 0
	s_delay_alu instid0(SALU_CYCLE_1) | instskip(NEXT) | instid1(SALU_CYCLE_1)
	s_and_b32 s0, s9, s0
	v_cndmask_b32_e64 v4, 0, 1, s0
	s_delay_alu instid0(VALU_DEP_1)
	v_add_nc_u32_e32 v4, s10, v4
.LBB110_394:
	s_mov_b32 s0, 0
	s_mov_b32 s9, -1
	global_store_b8 v[0:1], v4, off
.LBB110_395:
	s_mov_b32 s10, 0
.LBB110_396:
	s_delay_alu instid0(SALU_CYCLE_1)
	s_and_b32 vcc_lo, exec_lo, s10
	s_cbranch_vccz .LBB110_399
; %bb.397:
	v_cmp_eq_u16_e32 vcc_lo, 29, v2
	s_mov_b32 s0, -1
	s_cbranch_vccz .LBB110_399
; %bb.398:
	s_lshl_b32 s0, s7, 16
	s_mov_b32 s9, -1
	v_trunc_f32_e32 v4, s0
	s_mov_b32 s0, 0
	s_delay_alu instid0(VALU_DEP_1) | instskip(NEXT) | instid1(VALU_DEP_1)
	v_mul_f32_e32 v5, 0x2f800000, v4
	v_floor_f32_e32 v5, v5
	s_delay_alu instid0(VALU_DEP_1) | instskip(SKIP_1) | instid1(VALU_DEP_2)
	v_fmamk_f32 v4, v5, 0xcf800000, v4
	v_cvt_u32_f32_e32 v5, v5
	v_cvt_u32_f32_e32 v4, v4
	global_store_b64 v[0:1], v[4:5], off
.LBB110_399:
	s_mov_b32 s10, 0
.LBB110_400:
	s_delay_alu instid0(SALU_CYCLE_1)
	s_and_b32 vcc_lo, exec_lo, s10
	s_cbranch_vccz .LBB110_461
; %bb.401:
	v_cmp_gt_i16_e32 vcc_lo, 27, v2
	s_mov_b32 s9, -1
	s_cbranch_vccnz .LBB110_407
; %bb.402:
	v_cmp_lt_i16_e32 vcc_lo, 27, v2
	s_cbranch_vccz .LBB110_404
; %bb.403:
	s_lshl_b32 s9, s7, 16
	s_delay_alu instid0(SALU_CYCLE_1)
	v_cvt_u32_f32_e32 v4, s9
	s_mov_b32 s9, 0
	global_store_b32 v[0:1], v4, off
.LBB110_404:
	s_and_not1_b32 vcc_lo, exec_lo, s9
	s_cbranch_vccnz .LBB110_406
; %bb.405:
	s_lshl_b32 s9, s7, 16
	s_delay_alu instid0(SALU_CYCLE_1)
	v_cvt_u32_f32_e32 v4, s9
	global_store_b16 v[0:1], v4, off
.LBB110_406:
	s_mov_b32 s9, 0
.LBB110_407:
	s_delay_alu instid0(SALU_CYCLE_1)
	s_and_not1_b32 vcc_lo, exec_lo, s9
	s_cbranch_vccnz .LBB110_460
; %bb.408:
	s_lshl_b32 s10, s7, 16
	v_mov_b32_e32 v5, 0x80
	s_and_b32 s11, s10, 0x7fffffff
	s_delay_alu instid0(SALU_CYCLE_1)
	s_cmp_gt_u32 s11, 0x437fffff
	s_cbranch_scc1 .LBB110_459
; %bb.409:
	s_and_b32 s9, 0xffff, s7
	s_cmp_gt_u32 s11, 0x3bffffff
	s_cbranch_scc0 .LBB110_454
; %bb.410:
	s_bfe_u32 s11, s9, 0x10004
	s_mov_b32 s12, 0
	s_add_i32 s11, s10, s11
	s_delay_alu instid0(SALU_CYCLE_1) | instskip(NEXT) | instid1(SALU_CYCLE_1)
	s_add_i32 s11, s11, 0x487ffff
	s_lshr_b32 s13, s11, 20
	s_mov_b32 s11, -1
	s_branch .LBB110_455
.LBB110_411:
	s_mov_b32 s9, 0
	s_cbranch_execz .LBB110_611
; %bb.412:
	v_cmp_gt_i16_e32 vcc_lo, 5, v2
	s_mov_b32 s0, -1
	s_cbranch_vccnz .LBB110_433
; %bb.413:
	v_cmp_gt_i16_e32 vcc_lo, 8, v2
	s_cbranch_vccnz .LBB110_423
; %bb.414:
	v_cmp_gt_i16_e32 vcc_lo, 9, v2
	s_cbranch_vccnz .LBB110_420
; %bb.415:
	v_cmp_lt_i16_e32 vcc_lo, 9, v2
	s_cbranch_vccz .LBB110_417
; %bb.416:
	s_lshl_b32 s0, s7, 16
	v_mov_b32_e32 v6, 0
	v_cvt_f64_f32_e32 v[4:5], s0
	s_mov_b32 s0, 0
	s_delay_alu instid0(VALU_DEP_2)
	v_mov_b32_e32 v7, v6
	global_store_b128 v[0:1], v[4:7], off
.LBB110_417:
	s_and_not1_b32 vcc_lo, exec_lo, s0
	s_cbranch_vccnz .LBB110_419
; %bb.418:
	s_lshl_b32 s0, s7, 16
	s_delay_alu instid0(SALU_CYCLE_1)
	v_dual_mov_b32 v5, 0 :: v_dual_mov_b32 v4, s0
	global_store_b64 v[0:1], v[4:5], off
.LBB110_419:
	s_mov_b32 s0, 0
.LBB110_420:
	s_delay_alu instid0(SALU_CYCLE_1)
	s_and_not1_b32 vcc_lo, exec_lo, s0
	s_cbranch_vccnz .LBB110_422
; %bb.421:
	s_lshl_b32 s0, s7, 16
	s_delay_alu instid0(SALU_CYCLE_1) | instskip(NEXT) | instid1(VALU_DEP_1)
	v_cvt_f16_f32_e32 v4, s0
	v_and_b32_e32 v4, 0xffff, v4
	global_store_b32 v[0:1], v4, off
.LBB110_422:
	s_mov_b32 s0, 0
.LBB110_423:
	s_delay_alu instid0(SALU_CYCLE_1)
	s_and_not1_b32 vcc_lo, exec_lo, s0
	s_cbranch_vccnz .LBB110_432
; %bb.424:
	v_cmp_gt_i16_e32 vcc_lo, 6, v2
	s_mov_b32 s0, -1
	s_cbranch_vccnz .LBB110_430
; %bb.425:
	v_cmp_lt_i16_e32 vcc_lo, 6, v2
	s_cbranch_vccz .LBB110_427
; %bb.426:
	s_lshl_b32 s0, s7, 16
	s_delay_alu instid0(SALU_CYCLE_1)
	v_cvt_f64_f32_e32 v[4:5], s0
	s_mov_b32 s0, 0
	global_store_b64 v[0:1], v[4:5], off
.LBB110_427:
	s_and_not1_b32 vcc_lo, exec_lo, s0
	s_cbranch_vccnz .LBB110_429
; %bb.428:
	s_lshl_b32 s0, s7, 16
	s_delay_alu instid0(SALU_CYCLE_1)
	v_mov_b32_e32 v4, s0
	global_store_b32 v[0:1], v4, off
.LBB110_429:
	s_mov_b32 s0, 0
.LBB110_430:
	s_delay_alu instid0(SALU_CYCLE_1)
	s_and_not1_b32 vcc_lo, exec_lo, s0
	s_cbranch_vccnz .LBB110_432
; %bb.431:
	s_lshl_b32 s0, s7, 16
	s_delay_alu instid0(SALU_CYCLE_1)
	v_cvt_f16_f32_e32 v4, s0
	global_store_b16 v[0:1], v4, off
.LBB110_432:
	s_mov_b32 s0, 0
.LBB110_433:
	s_delay_alu instid0(SALU_CYCLE_1)
	s_and_not1_b32 vcc_lo, exec_lo, s0
	s_cbranch_vccnz .LBB110_449
; %bb.434:
	v_cmp_gt_i16_e32 vcc_lo, 2, v2
	s_mov_b32 s0, -1
	s_cbranch_vccnz .LBB110_444
; %bb.435:
	v_cmp_gt_i16_e32 vcc_lo, 3, v2
	s_cbranch_vccnz .LBB110_441
; %bb.436:
	v_cmp_lt_i16_e32 vcc_lo, 3, v2
	s_cbranch_vccz .LBB110_438
; %bb.437:
	s_lshl_b32 s0, s7, 16
	s_delay_alu instid0(SALU_CYCLE_1) | instskip(SKIP_1) | instid1(VALU_DEP_1)
	v_trunc_f32_e32 v4, s0
	s_mov_b32 s0, 0
	v_mul_f32_e64 v5, 0x2f800000, |v4|
	v_ashrrev_i32_e32 v7, 31, v4
	s_delay_alu instid0(VALU_DEP_2) | instskip(NEXT) | instid1(VALU_DEP_1)
	v_floor_f32_e32 v5, v5
	v_fma_f32 v6, 0xcf800000, v5, |v4|
	v_cvt_u32_f32_e32 v5, v5
	s_delay_alu instid0(VALU_DEP_2) | instskip(NEXT) | instid1(VALU_DEP_2)
	v_cvt_u32_f32_e32 v4, v6
	v_xor_b32_e32 v5, v5, v7
	s_delay_alu instid0(VALU_DEP_2) | instskip(NEXT) | instid1(VALU_DEP_1)
	v_xor_b32_e32 v4, v4, v7
	v_sub_co_u32 v4, vcc_lo, v4, v7
	s_delay_alu instid0(VALU_DEP_3)
	v_sub_co_ci_u32_e32 v5, vcc_lo, v5, v7, vcc_lo
	global_store_b64 v[0:1], v[4:5], off
.LBB110_438:
	s_and_not1_b32 vcc_lo, exec_lo, s0
	s_cbranch_vccnz .LBB110_440
; %bb.439:
	s_lshl_b32 s0, s7, 16
	s_delay_alu instid0(SALU_CYCLE_1)
	v_cvt_i32_f32_e32 v4, s0
	global_store_b32 v[0:1], v4, off
.LBB110_440:
	s_mov_b32 s0, 0
.LBB110_441:
	s_delay_alu instid0(SALU_CYCLE_1)
	s_and_not1_b32 vcc_lo, exec_lo, s0
	s_cbranch_vccnz .LBB110_443
; %bb.442:
	s_lshl_b32 s0, s7, 16
	s_delay_alu instid0(SALU_CYCLE_1)
	v_cvt_i32_f32_e32 v4, s0
	global_store_b16 v[0:1], v4, off
.LBB110_443:
	s_mov_b32 s0, 0
.LBB110_444:
	s_delay_alu instid0(SALU_CYCLE_1)
	s_and_not1_b32 vcc_lo, exec_lo, s0
	s_cbranch_vccnz .LBB110_449
; %bb.445:
	v_cmp_lt_i16_e32 vcc_lo, 0, v2
	s_mov_b32 s0, -1
	s_cbranch_vccz .LBB110_447
; %bb.446:
	s_lshl_b32 s0, s7, 16
	s_delay_alu instid0(SALU_CYCLE_1)
	v_cvt_i32_f32_e32 v4, s0
	s_mov_b32 s0, 0
	global_store_b8 v[0:1], v4, off
.LBB110_447:
	s_and_not1_b32 vcc_lo, exec_lo, s0
	s_cbranch_vccnz .LBB110_449
; %bb.448:
	s_lshl_b32 s0, s7, 16
	s_delay_alu instid0(SALU_CYCLE_1) | instskip(NEXT) | instid1(VALU_DEP_1)
	v_trunc_f32_e32 v4, s0
	v_mul_f32_e64 v5, 0x2f800000, |v4|
	s_delay_alu instid0(VALU_DEP_1) | instskip(NEXT) | instid1(VALU_DEP_1)
	v_floor_f32_e32 v5, v5
	v_fma_f32 v5, 0xcf800000, v5, |v4|
	v_ashrrev_i32_e32 v4, 31, v4
	s_delay_alu instid0(VALU_DEP_2) | instskip(NEXT) | instid1(VALU_DEP_1)
	v_cvt_u32_f32_e32 v5, v5
	v_xor_b32_e32 v5, v5, v4
	s_delay_alu instid0(VALU_DEP_1)
	v_sub_nc_u32_e32 v4, v5, v4
	global_store_b8 v[0:1], v4, off
.LBB110_449:
	s_branch .LBB110_612
.LBB110_450:
	s_cbranch_execnz .LBB110_452
; %bb.451:
	s_or_b32 s3, s1, exec_lo
	s_cbranch_execz .LBB110_380
	s_branch .LBB110_381
.LBB110_452:
	s_trap 2
	s_sendmsg_rtn_b32 s0, sendmsg(MSG_RTN_GET_DOORBELL)
	s_mov_b32 ttmp2, m0
	s_waitcnt lgkmcnt(0)
	s_and_b32 s0, s0, 0x3ff
	s_delay_alu instid0(SALU_CYCLE_1) | instskip(NEXT) | instid1(SALU_CYCLE_1)
	s_bitset1_b32 s0, 10
	s_mov_b32 m0, s0
	s_sendmsg sendmsg(MSG_INTERRUPT)
	s_mov_b32 m0, ttmp2
.LBB110_453:                            ; =>This Inner Loop Header: Depth=1
	s_sethalt 5
	s_branch .LBB110_453
.LBB110_454:
	s_mov_b32 s12, -1
	s_mov_b32 s11, 0
                                        ; implicit-def: $sgpr13
.LBB110_455:
	v_mov_b32_e32 v4, s13
	s_and_not1_b32 vcc_lo, exec_lo, s12
                                        ; implicit-def: $sgpr12
	s_cbranch_vccnz .LBB110_457
; %bb.456:
	v_add_f32_e64 v4, 0x46000000, |s10|
	s_mov_b32 s12, 0
	s_delay_alu instid0(VALU_DEP_1) | instskip(NEXT) | instid1(VALU_DEP_1)
	v_and_b32_e32 v4, 0xff, v4
	v_cmp_ne_u32_e64 s11, 0, v4
.LBB110_457:
	v_mov_b32_e32 v5, s12
	s_delay_alu instid0(VALU_DEP_2)
	s_and_not1_b32 vcc_lo, exec_lo, s11
	s_cbranch_vccnz .LBB110_459
; %bb.458:
	s_lshr_b32 s9, s9, 8
	s_delay_alu instid0(SALU_CYCLE_1) | instskip(NEXT) | instid1(SALU_CYCLE_1)
	s_and_b32 s9, s9, 0x80
	v_or_b32_e32 v5, s9, v4
.LBB110_459:
	global_store_b8 v[0:1], v5, off
.LBB110_460:
	s_mov_b32 s9, -1
.LBB110_461:
	s_mov_b32 s10, 0
.LBB110_462:
	s_delay_alu instid0(SALU_CYCLE_1)
	s_and_b32 vcc_lo, exec_lo, s10
	s_cbranch_vccz .LBB110_607
; %bb.463:
	v_cmp_lt_i16_e32 vcc_lo, 22, v2
	s_mov_b32 s8, -1
	s_cbranch_vccz .LBB110_600
; %bb.464:
	v_cmp_gt_i16_e32 vcc_lo, 24, v2
	s_cbranch_vccnz .LBB110_587
; %bb.465:
	v_cmp_lt_i16_e32 vcc_lo, 24, v2
	s_cbranch_vccz .LBB110_574
; %bb.466:
	s_lshl_b32 s9, s7, 16
	v_mov_b32_e32 v5, 0x80
	s_and_b32 s10, s9, 0x7fffffff
	s_delay_alu instid0(SALU_CYCLE_1)
	s_cmp_gt_u32 s10, 0x477fffff
	s_cbranch_scc1 .LBB110_573
; %bb.467:
	s_and_b32 s8, 0xffff, s7
	s_cmp_gt_u32 s10, 0x37ffffff
	s_cbranch_scc0 .LBB110_568
; %bb.468:
	s_bfe_u32 s10, s8, 0x10005
	s_mov_b32 s11, 0
	s_add_i32 s10, s9, s10
	s_delay_alu instid0(SALU_CYCLE_1) | instskip(NEXT) | instid1(SALU_CYCLE_1)
	s_add_i32 s10, s10, 0x88fffff
	s_lshr_b32 s12, s10, 21
	s_mov_b32 s10, -1
	s_branch .LBB110_569
.LBB110_469:
	s_mov_b32 s40, -1
	s_mov_b32 s39, 0
	s_mov_b32 s0, s36
.LBB110_470:
	s_and_b32 vcc_lo, exec_lo, s40
	s_cbranch_vccz .LBB110_473
; %bb.471:
	v_cmp_eq_u16_e32 vcc_lo, 44, v17
	s_mov_b32 s0, -1
	s_cbranch_vccz .LBB110_473
; %bb.472:
	v_cndmask_b32_e64 v2, v16, 0xff, s30
	s_mov_b32 s39, -1
	s_mov_b32 s0, 0
	global_store_b8 v[8:9], v2, off
.LBB110_473:
	s_mov_b32 s40, 0
.LBB110_474:
	s_delay_alu instid0(SALU_CYCLE_1)
	s_and_b32 vcc_lo, exec_lo, s40
	s_cbranch_vccz .LBB110_477
; %bb.475:
	v_cmp_eq_u16_e32 vcc_lo, 29, v17
	s_mov_b32 s0, -1
	s_cbranch_vccz .LBB110_477
; %bb.476:
	s_mov_b32 s39, -1
	s_mov_b32 s0, 0
	global_store_b64 v[8:9], v[6:7], off
.LBB110_477:
	s_mov_b32 s40, 0
.LBB110_478:
	s_delay_alu instid0(SALU_CYCLE_1)
	s_and_b32 vcc_lo, exec_lo, s40
	s_cbranch_vccz .LBB110_491
; %bb.479:
	v_cmp_gt_i16_e32 vcc_lo, 27, v17
	s_mov_b32 s39, -1
	s_cbranch_vccnz .LBB110_485
; %bb.480:
	v_cmp_lt_i16_e32 vcc_lo, 27, v17
	s_cbranch_vccz .LBB110_482
; %bb.481:
	s_mov_b32 s39, 0
	global_store_b32 v[8:9], v14, off
.LBB110_482:
	s_and_not1_b32 vcc_lo, exec_lo, s39
	s_cbranch_vccnz .LBB110_484
; %bb.483:
	global_store_b16 v[8:9], v14, off
.LBB110_484:
	s_mov_b32 s39, 0
.LBB110_485:
	s_delay_alu instid0(SALU_CYCLE_1)
	s_and_not1_b32 vcc_lo, exec_lo, s39
	s_cbranch_vccnz .LBB110_490
; %bb.486:
	s_and_not1_b32 vcc_lo, exec_lo, s28
	s_movk_i32 s39, 0x80
	s_cbranch_vccnz .LBB110_489
; %bb.487:
	s_or_b32 s39, s26, s29
	s_delay_alu instid0(SALU_CYCLE_1)
	s_and_not1_b32 vcc_lo, exec_lo, s39
	s_mov_b32 s39, 0
	s_cbranch_vccnz .LBB110_489
; %bb.488:
	s_and_b32 s39, s26, exec_lo
	s_cselect_b32 s39, s27, s25
	s_delay_alu instid0(SALU_CYCLE_1)
	s_or_b32 s39, s39, s9
.LBB110_489:
	s_delay_alu instid0(SALU_CYCLE_1)
	v_mov_b32_e32 v2, s39
	global_store_b8 v[8:9], v2, off
.LBB110_490:
	s_mov_b32 s39, -1
.LBB110_491:
	s_mov_b32 s40, 0
.LBB110_492:
	s_delay_alu instid0(SALU_CYCLE_1)
	s_and_b32 vcc_lo, exec_lo, s40
	s_cbranch_vccz .LBB110_514
; %bb.493:
	v_cmp_lt_i16_e32 vcc_lo, 22, v17
	s_mov_b32 s40, -1
	s_cbranch_vccz .LBB110_506
; %bb.494:
	v_cmp_gt_i16_e32 vcc_lo, 24, v17
	s_mov_b32 s39, -1
	s_cbranch_vccnz .LBB110_503
; %bb.495:
	v_cmp_lt_i16_e32 vcc_lo, 24, v17
	s_cbranch_vccz .LBB110_500
; %bb.496:
	s_and_not1_b32 vcc_lo, exec_lo, s18
	s_movk_i32 s39, 0x80
	s_cbranch_vccnz .LBB110_499
; %bb.497:
	s_or_b32 s39, s13, s21
	s_delay_alu instid0(SALU_CYCLE_1)
	s_and_not1_b32 vcc_lo, exec_lo, s39
	s_mov_b32 s39, 0
	s_cbranch_vccnz .LBB110_499
; %bb.498:
	s_and_b32 s39, s13, exec_lo
	s_cselect_b32 s39, s16, s14
	s_delay_alu instid0(SALU_CYCLE_1)
	s_or_b32 s39, s39, s9
.LBB110_499:
	s_delay_alu instid0(SALU_CYCLE_1)
	v_mov_b32_e32 v2, s39
	s_mov_b32 s39, 0
	global_store_b8 v[8:9], v2, off
.LBB110_500:
	s_and_b32 vcc_lo, exec_lo, s39
	s_cbranch_vccz .LBB110_502
; %bb.501:
	s_and_b32 s39, s12, exec_lo
	s_cselect_b32 s39, s24, s20
	s_and_b32 s40, s11, exec_lo
	s_cselect_b32 s39, s23, s39
	s_delay_alu instid0(SALU_CYCLE_1) | instskip(NEXT) | instid1(SALU_CYCLE_1)
	s_or_b32 s39, s39, s9
	v_mov_b32_e32 v2, s39
	global_store_b8 v[8:9], v2, off
.LBB110_502:
	s_mov_b32 s39, 0
.LBB110_503:
	s_delay_alu instid0(SALU_CYCLE_1)
	s_and_not1_b32 vcc_lo, exec_lo, s39
	s_cbranch_vccnz .LBB110_505
; %bb.504:
	s_and_b32 s39, s15, exec_lo
	s_cselect_b32 s39, s19, s17
	s_and_b32 s40, s10, exec_lo
	s_cselect_b32 s39, s22, s39
	s_delay_alu instid0(SALU_CYCLE_1) | instskip(NEXT) | instid1(SALU_CYCLE_1)
	s_or_b32 s39, s39, s9
	v_mov_b32_e32 v2, s39
	global_store_b8 v[8:9], v2, off
.LBB110_505:
	s_mov_b32 s40, 0
	s_mov_b32 s39, -1
.LBB110_506:
	s_and_not1_b32 vcc_lo, exec_lo, s40
	s_cbranch_vccnz .LBB110_514
; %bb.507:
	v_cmp_lt_i16_e32 vcc_lo, 14, v17
	s_mov_b32 s40, -1
	s_cbranch_vccz .LBB110_511
; %bb.508:
	v_cmp_eq_u16_e32 vcc_lo, 15, v17
	s_mov_b32 s0, -1
	s_cbranch_vccz .LBB110_510
; %bb.509:
	v_mov_b32_e32 v2, s7
	s_mov_b32 s39, -1
	s_mov_b32 s0, 0
	global_store_b16 v[8:9], v2, off
.LBB110_510:
	s_mov_b32 s40, 0
.LBB110_511:
	s_delay_alu instid0(SALU_CYCLE_1)
	s_and_b32 vcc_lo, exec_lo, s40
	s_cbranch_vccz .LBB110_514
; %bb.512:
	v_cmp_eq_u16_e32 vcc_lo, 11, v17
	s_mov_b32 s0, -1
	s_cbranch_vccz .LBB110_514
; %bb.513:
	s_mov_b32 s39, -1
	s_mov_b32 s0, 0
	global_store_b8 v[8:9], v13, off
.LBB110_514:
	s_mov_b32 s40, 0
.LBB110_515:
	s_delay_alu instid0(SALU_CYCLE_1)
	s_and_b32 vcc_lo, exec_lo, s40
	s_cbranch_vccz .LBB110_554
; %bb.516:
	v_cmp_gt_i16_e32 vcc_lo, 5, v17
	s_mov_b32 s39, -1
	s_cbranch_vccnz .LBB110_537
; %bb.517:
	v_cmp_gt_i16_e32 vcc_lo, 8, v17
	s_cbranch_vccnz .LBB110_527
; %bb.518:
	v_cmp_gt_i16_e32 vcc_lo, 9, v17
	s_cbranch_vccnz .LBB110_524
; %bb.519:
	v_cmp_lt_i16_e32 vcc_lo, 9, v17
	s_cbranch_vccz .LBB110_521
; %bb.520:
	v_mov_b32_e32 v2, 0
	s_mov_b32 s39, 0
	s_delay_alu instid0(VALU_DEP_1)
	v_mov_b32_e32 v3, v2
	global_store_b128 v[8:9], v[0:3], off
.LBB110_521:
	s_and_not1_b32 vcc_lo, exec_lo, s39
	s_cbranch_vccnz .LBB110_523
; %bb.522:
	v_dual_mov_b32 v2, s1 :: v_dual_mov_b32 v3, 0
	global_store_b64 v[8:9], v[2:3], off
.LBB110_523:
	s_mov_b32 s39, 0
.LBB110_524:
	s_delay_alu instid0(SALU_CYCLE_1)
	s_and_not1_b32 vcc_lo, exec_lo, s39
	s_cbranch_vccnz .LBB110_526
; %bb.525:
	global_store_b32 v[8:9], v12, off
.LBB110_526:
	s_mov_b32 s39, 0
.LBB110_527:
	s_delay_alu instid0(SALU_CYCLE_1)
	s_and_not1_b32 vcc_lo, exec_lo, s39
	s_cbranch_vccnz .LBB110_536
; %bb.528:
	v_cmp_gt_i16_e32 vcc_lo, 6, v17
	s_mov_b32 s39, -1
	s_cbranch_vccnz .LBB110_534
; %bb.529:
	v_cmp_lt_i16_e32 vcc_lo, 6, v17
	s_cbranch_vccz .LBB110_531
; %bb.530:
	s_mov_b32 s39, 0
	global_store_b64 v[8:9], v[0:1], off
.LBB110_531:
	s_and_not1_b32 vcc_lo, exec_lo, s39
	s_cbranch_vccnz .LBB110_533
; %bb.532:
	v_mov_b32_e32 v2, s1
	global_store_b32 v[8:9], v2, off
.LBB110_533:
	s_mov_b32 s39, 0
.LBB110_534:
	s_delay_alu instid0(SALU_CYCLE_1)
	s_and_not1_b32 vcc_lo, exec_lo, s39
	s_cbranch_vccnz .LBB110_536
; %bb.535:
	global_store_b16 v[8:9], v11, off
.LBB110_536:
	s_mov_b32 s39, 0
.LBB110_537:
	s_delay_alu instid0(SALU_CYCLE_1)
	s_and_not1_b32 vcc_lo, exec_lo, s39
	s_cbranch_vccnz .LBB110_553
; %bb.538:
	v_cmp_gt_i16_e32 vcc_lo, 2, v17
	s_mov_b32 s39, -1
	s_cbranch_vccnz .LBB110_548
; %bb.539:
	v_cmp_gt_i16_e32 vcc_lo, 3, v17
	s_cbranch_vccnz .LBB110_545
; %bb.540:
	v_cmp_lt_i16_e32 vcc_lo, 3, v17
	s_cbranch_vccz .LBB110_542
; %bb.541:
	s_mov_b32 s39, 0
	global_store_b64 v[8:9], v[4:5], off
.LBB110_542:
	s_and_not1_b32 vcc_lo, exec_lo, s39
	s_cbranch_vccnz .LBB110_544
; %bb.543:
	global_store_b32 v[8:9], v10, off
.LBB110_544:
	s_mov_b32 s39, 0
.LBB110_545:
	s_delay_alu instid0(SALU_CYCLE_1)
	s_and_not1_b32 vcc_lo, exec_lo, s39
	s_cbranch_vccnz .LBB110_547
; %bb.546:
	global_store_b16 v[8:9], v10, off
.LBB110_547:
	s_mov_b32 s39, 0
.LBB110_548:
	s_delay_alu instid0(SALU_CYCLE_1)
	s_and_not1_b32 vcc_lo, exec_lo, s39
	s_cbranch_vccnz .LBB110_553
; %bb.549:
	v_cmp_lt_i16_e32 vcc_lo, 0, v17
	s_mov_b32 s39, -1
	s_cbranch_vccz .LBB110_551
; %bb.550:
	s_mov_b32 s39, 0
	global_store_b8 v[8:9], v10, off
.LBB110_551:
	s_and_not1_b32 vcc_lo, exec_lo, s39
	s_cbranch_vccnz .LBB110_553
; %bb.552:
	global_store_b8 v[8:9], v4, off
.LBB110_553:
	s_mov_b32 s39, -1
.LBB110_554:
	s_delay_alu instid0(SALU_CYCLE_1)
	s_and_not1_b32 vcc_lo, exec_lo, s39
	s_cbranch_vccnz .LBB110_556
; %bb.555:
	v_add_nc_u32_e32 v15, 0x80, v15
	s_mov_b32 s40, -1
	s_branch .LBB110_557
.LBB110_556:
	s_mov_b32 s40, 0
                                        ; implicit-def: $vgpr15
.LBB110_557:
	s_and_not1_b32 s39, s36, exec_lo
	s_and_b32 s0, s0, exec_lo
	s_or_not1_b32 s41, s40, exec_lo
	s_or_b32 s39, s39, s0
.LBB110_558:
	s_or_b32 exec_lo, exec_lo, s38
	s_mov_b32 s0, 0
	s_mov_b32 s40, 0
                                        ; implicit-def: $vgpr17
                                        ; implicit-def: $vgpr8_vgpr9
	s_and_saveexec_b32 s38, s41
	s_cbranch_execz .LBB110_881
; %bb.559:
	v_cmp_gt_i32_e32 vcc_lo, s33, v15
	s_mov_b32 s41, s39
                                        ; implicit-def: $vgpr17
                                        ; implicit-def: $vgpr8_vgpr9
	s_and_saveexec_b32 s33, vcc_lo
	s_cbranch_execz .LBB110_880
; %bb.560:
	v_mul_lo_u32 v2, v15, s6
	v_and_b32_e64 v17, 0xff, s8
	s_delay_alu instid0(VALU_DEP_1) | instskip(NEXT) | instid1(VALU_DEP_3)
	v_cmp_gt_i16_e32 vcc_lo, 11, v17
	v_ashrrev_i32_e32 v3, 31, v2
	v_add_co_u32 v8, s0, s4, v2
	s_delay_alu instid0(VALU_DEP_1)
	v_add_co_ci_u32_e64 v9, s0, s5, v3, s0
	s_cbranch_vccnz .LBB110_567
; %bb.561:
	v_cmp_lt_i16_e32 vcc_lo, 25, v17
	s_mov_b32 s40, -1
	s_mov_b32 s0, s39
	s_cbranch_vccz .LBB110_857
; %bb.562:
	v_cmp_lt_i16_e32 vcc_lo, 28, v17
	s_mov_b32 s0, s39
	s_cbranch_vccz .LBB110_844
; %bb.563:
	v_cmp_lt_i16_e32 vcc_lo, 43, v17
	;; [unrolled: 4-line block ×3, first 2 shown]
	s_mov_b32 s0, s39
	s_cbranch_vccz .LBB110_836
; %bb.565:
	v_cmp_eq_u16_e32 vcc_lo, 46, v17
	s_mov_b32 s0, -1
	s_cbranch_vccz .LBB110_835
; %bb.566:
	v_mov_b32_e32 v2, s31
	s_mov_b32 s0, 0
	s_mov_b32 s40, 0
	global_store_b32 v[8:9], v2, off
	s_branch .LBB110_836
.LBB110_567:
	s_mov_b32 s9, 0
	s_mov_b32 s25, -1
	s_mov_b32 s0, s39
	s_branch .LBB110_879
.LBB110_568:
	s_mov_b32 s11, -1
	s_mov_b32 s10, 0
                                        ; implicit-def: $sgpr12
.LBB110_569:
	v_mov_b32_e32 v4, s12
	s_and_not1_b32 vcc_lo, exec_lo, s11
                                        ; implicit-def: $sgpr11
	s_cbranch_vccnz .LBB110_571
; %bb.570:
	v_add_f32_e64 v4, 0x42800000, |s9|
	s_mov_b32 s11, 0
	s_delay_alu instid0(VALU_DEP_1) | instskip(NEXT) | instid1(VALU_DEP_1)
	v_and_b32_e32 v4, 0xff, v4
	v_cmp_ne_u32_e64 s10, 0, v4
.LBB110_571:
	v_mov_b32_e32 v5, s11
	s_delay_alu instid0(VALU_DEP_2)
	s_and_not1_b32 vcc_lo, exec_lo, s10
	s_cbranch_vccnz .LBB110_573
; %bb.572:
	s_lshr_b32 s8, s8, 8
	s_delay_alu instid0(SALU_CYCLE_1) | instskip(NEXT) | instid1(SALU_CYCLE_1)
	s_and_b32 s8, s8, 0x80
	v_or_b32_e32 v5, s8, v4
.LBB110_573:
	s_mov_b32 s8, 0
	global_store_b8 v[0:1], v5, off
.LBB110_574:
	s_and_b32 vcc_lo, exec_lo, s8
	s_cbranch_vccz .LBB110_586
; %bb.575:
	s_lshl_b32 s10, s7, 16
	s_and_b32 s8, 0xffff, s7
	s_and_b32 s9, s10, 0x7fffffff
	s_delay_alu instid0(SALU_CYCLE_1)
	s_cmp_lt_u32 s9, 0x43f00000
	s_cbranch_scc0 .LBB110_578
; %bb.576:
	s_cmp_gt_u32 s9, 0x3c7fffff
	s_cbranch_scc0 .LBB110_579
; %bb.577:
	s_bfe_u32 s11, s8, 0x10004
	s_delay_alu instid0(SALU_CYCLE_1) | instskip(NEXT) | instid1(SALU_CYCLE_1)
	s_add_i32 s11, s10, s11
	s_add_i32 s11, s11, 0x407ffff
	s_delay_alu instid0(SALU_CYCLE_1)
	s_and_b32 s12, s11, 0xff00000
	s_lshr_b32 s11, s11, 20
	s_cmp_lg_u32 s12, 0x7f00000
	s_cselect_b32 s12, s11, 0x7e
	s_mov_b32 s11, 0
	s_branch .LBB110_580
.LBB110_578:
	s_mov_b32 s10, -1
                                        ; implicit-def: $vgpr4
	s_branch .LBB110_583
.LBB110_579:
	s_mov_b32 s11, -1
                                        ; implicit-def: $sgpr12
.LBB110_580:
	v_mov_b32_e32 v4, s12
	s_and_not1_b32 vcc_lo, exec_lo, s11
	s_cbranch_vccnz .LBB110_582
; %bb.581:
	v_add_f32_e64 v4, 0x46800000, |s10|
.LBB110_582:
	s_mov_b32 s10, 0
.LBB110_583:
	s_delay_alu instid0(SALU_CYCLE_1)
	s_and_not1_b32 vcc_lo, exec_lo, s10
	s_cbranch_vccnz .LBB110_585
; %bb.584:
	s_cmp_gt_u32 s9, 0x7f800000
	s_movk_i32 s9, 0x7f
	s_delay_alu instid0(SALU_CYCLE_1) | instskip(NEXT) | instid1(SALU_CYCLE_1)
	s_cselect_b32 s9, s9, 0x7e
	v_mov_b32_e32 v4, s9
.LBB110_585:
	s_lshr_b32 s8, s8, 8
	s_delay_alu instid0(SALU_CYCLE_1)
	s_and_b32 s8, s8, 0x80
	s_delay_alu instid0(VALU_DEP_1) | instid1(SALU_CYCLE_1)
	v_or_b32_e32 v4, s8, v4
	global_store_b8 v[0:1], v4, off
.LBB110_586:
	s_mov_b32 s8, 0
.LBB110_587:
	s_delay_alu instid0(SALU_CYCLE_1)
	s_and_not1_b32 vcc_lo, exec_lo, s8
	s_cbranch_vccnz .LBB110_599
; %bb.588:
	s_lshl_b32 s10, s7, 16
	s_and_b32 s8, 0xffff, s7
	s_and_b32 s9, s10, 0x7fffffff
	s_delay_alu instid0(SALU_CYCLE_1)
	s_cmp_lt_u32 s9, 0x47800000
	s_cbranch_scc0 .LBB110_591
; %bb.589:
	s_cmp_gt_u32 s9, 0x387fffff
	s_cbranch_scc0 .LBB110_592
; %bb.590:
	s_bfe_u32 s11, s8, 0x10005
	s_delay_alu instid0(SALU_CYCLE_1) | instskip(NEXT) | instid1(SALU_CYCLE_1)
	s_add_i32 s11, s10, s11
	s_add_i32 s11, s11, 0x80fffff
	s_delay_alu instid0(SALU_CYCLE_1)
	s_lshr_b32 s12, s11, 21
	s_mov_b32 s11, 0
	s_branch .LBB110_593
.LBB110_591:
	s_mov_b32 s10, -1
                                        ; implicit-def: $vgpr4
	s_branch .LBB110_596
.LBB110_592:
	s_mov_b32 s11, -1
                                        ; implicit-def: $sgpr12
.LBB110_593:
	v_mov_b32_e32 v4, s12
	s_and_not1_b32 vcc_lo, exec_lo, s11
	s_cbranch_vccnz .LBB110_595
; %bb.594:
	v_add_f32_e64 v4, 0x43000000, |s10|
.LBB110_595:
	s_mov_b32 s10, 0
.LBB110_596:
	s_delay_alu instid0(SALU_CYCLE_1)
	s_and_not1_b32 vcc_lo, exec_lo, s10
	s_cbranch_vccnz .LBB110_598
; %bb.597:
	s_cmp_gt_u32 s9, 0x7f800000
	s_movk_i32 s9, 0x7f
	s_delay_alu instid0(SALU_CYCLE_1) | instskip(NEXT) | instid1(SALU_CYCLE_1)
	s_cselect_b32 s9, s9, 0x7c
	v_mov_b32_e32 v4, s9
.LBB110_598:
	s_lshr_b32 s8, s8, 8
	s_delay_alu instid0(SALU_CYCLE_1)
	s_and_b32 s8, s8, 0x80
	s_delay_alu instid0(VALU_DEP_1) | instid1(SALU_CYCLE_1)
	v_or_b32_e32 v4, s8, v4
	global_store_b8 v[0:1], v4, off
.LBB110_599:
	s_mov_b32 s8, 0
	s_mov_b32 s9, -1
.LBB110_600:
	s_and_not1_b32 vcc_lo, exec_lo, s8
	s_mov_b32 s8, 0
	s_cbranch_vccnz .LBB110_607
; %bb.601:
	v_cmp_lt_i16_e32 vcc_lo, 14, v2
	s_mov_b32 s8, -1
	s_cbranch_vccz .LBB110_605
; %bb.602:
	v_cmp_eq_u16_e32 vcc_lo, 15, v2
	s_mov_b32 s0, -1
	s_cbranch_vccz .LBB110_604
; %bb.603:
	v_mov_b32_e32 v4, s7
	s_mov_b32 s0, 0
	s_mov_b32 s9, -1
	global_store_b16 v[0:1], v4, off
.LBB110_604:
	s_mov_b32 s8, 0
.LBB110_605:
	s_delay_alu instid0(SALU_CYCLE_1)
	s_and_b32 vcc_lo, exec_lo, s8
	s_mov_b32 s8, 0
	s_cbranch_vccz .LBB110_607
; %bb.606:
	v_cmp_ne_u16_e64 s0, 11, v2
	s_mov_b32 s8, -1
.LBB110_607:
	s_delay_alu instid0(VALU_DEP_1)
	s_and_b32 vcc_lo, exec_lo, s0
	s_cbranch_vccnz .LBB110_724
; %bb.608:
	s_and_not1_b32 vcc_lo, exec_lo, s8
	s_cbranch_vccnz .LBB110_610
.LBB110_609:
	v_and_b32_e64 v4, 0x7fff, s7
	s_mov_b32 s9, -1
	s_delay_alu instid0(VALU_DEP_1)
	v_cmp_ne_u16_e32 vcc_lo, 0, v4
	v_cndmask_b32_e64 v4, 0, 1, vcc_lo
	global_store_b8 v[0:1], v4, off
.LBB110_610:
.LBB110_611:
	s_and_not1_b32 vcc_lo, exec_lo, s9
	s_cbranch_vccnz .LBB110_679
.LBB110_612:
	v_add_nc_u32_e32 v3, s6, v3
	v_cmp_gt_i16_e32 vcc_lo, 11, v2
	s_delay_alu instid0(VALU_DEP_2) | instskip(SKIP_1) | instid1(VALU_DEP_1)
	v_ashrrev_i32_e32 v1, 31, v3
	v_add_co_u32 v0, s0, s4, v3
	v_add_co_ci_u32_e64 v1, s0, s5, v1, s0
	s_cbranch_vccnz .LBB110_640
; %bb.613:
	v_cmp_lt_i16_e32 vcc_lo, 25, v2
	s_mov_b32 s10, -1
	s_mov_b32 s8, 0
	s_mov_b32 s9, 0
	;; [unrolled: 1-line block ×3, first 2 shown]
	s_cbranch_vccz .LBB110_736
; %bb.614:
	v_cmp_lt_i16_e32 vcc_lo, 28, v2
	s_cbranch_vccz .LBB110_629
; %bb.615:
	v_cmp_lt_i16_e32 vcc_lo, 43, v2
	;; [unrolled: 3-line block ×3, first 2 shown]
	s_cbranch_vccz .LBB110_619
; %bb.617:
	v_cmp_eq_u16_e32 vcc_lo, 46, v2
	s_mov_b32 s0, -1
	s_mov_b32 s10, 0
	s_cbranch_vccz .LBB110_619
; %bb.618:
	s_and_b32 s0, 0xffff, s7
	s_mov_b32 s9, -1
	v_mov_b32_e32 v4, s0
	s_mov_b32 s0, 0
	global_store_b32 v[0:1], v4, off
.LBB110_619:
	s_and_b32 vcc_lo, exec_lo, s10
	s_cbranch_vccz .LBB110_624
; %bb.620:
	v_cmp_eq_u16_e32 vcc_lo, 44, v2
	s_mov_b32 s0, -1
	s_cbranch_vccz .LBB110_624
; %bb.621:
	s_and_b32 s9, 0xffff, s7
	v_mov_b32_e32 v4, 0xff
	s_bfe_u32 s0, s9, 0x80007
	s_delay_alu instid0(SALU_CYCLE_1)
	s_cmpk_eq_i32 s0, 0xff
	s_cbranch_scc1 .LBB110_623
; %bb.622:
	s_lshr_b32 s10, s9, 7
	s_lshl_b32 s11, s9, 16
	s_bitcmp1_b32 s9, 6
	s_cselect_b32 s9, -1, 0
	s_and_b32 s11, s11, 0x3f0000
	s_delay_alu instid0(SALU_CYCLE_1) | instskip(NEXT) | instid1(SALU_CYCLE_1)
	s_or_b32 s0, s0, s11
	s_cmp_lg_u32 s0, 0
	s_cselect_b32 s0, -1, 0
	s_delay_alu instid0(SALU_CYCLE_1) | instskip(NEXT) | instid1(SALU_CYCLE_1)
	s_and_b32 s0, s9, s0
	v_cndmask_b32_e64 v4, 0, 1, s0
	s_delay_alu instid0(VALU_DEP_1)
	v_add_nc_u32_e32 v4, s10, v4
.LBB110_623:
	s_mov_b32 s0, 0
	s_mov_b32 s9, -1
	global_store_b8 v[0:1], v4, off
.LBB110_624:
	s_mov_b32 s10, 0
.LBB110_625:
	s_delay_alu instid0(SALU_CYCLE_1)
	s_and_b32 vcc_lo, exec_lo, s10
	s_cbranch_vccz .LBB110_628
; %bb.626:
	v_cmp_eq_u16_e32 vcc_lo, 29, v2
	s_mov_b32 s0, -1
	s_cbranch_vccz .LBB110_628
; %bb.627:
	s_lshl_b32 s0, s7, 16
	s_mov_b32 s9, -1
	v_trunc_f32_e32 v4, s0
	s_mov_b32 s0, 0
	s_delay_alu instid0(VALU_DEP_1) | instskip(NEXT) | instid1(VALU_DEP_1)
	v_mul_f32_e32 v5, 0x2f800000, v4
	v_floor_f32_e32 v5, v5
	s_delay_alu instid0(VALU_DEP_1) | instskip(SKIP_1) | instid1(VALU_DEP_2)
	v_fmamk_f32 v4, v5, 0xcf800000, v4
	v_cvt_u32_f32_e32 v5, v5
	v_cvt_u32_f32_e32 v4, v4
	global_store_b64 v[0:1], v[4:5], off
.LBB110_628:
	s_mov_b32 s10, 0
.LBB110_629:
	s_delay_alu instid0(SALU_CYCLE_1)
	s_and_b32 vcc_lo, exec_lo, s10
	s_cbranch_vccz .LBB110_735
; %bb.630:
	v_cmp_gt_i16_e32 vcc_lo, 27, v2
	s_mov_b32 s9, -1
	s_cbranch_vccnz .LBB110_636
; %bb.631:
	v_cmp_lt_i16_e32 vcc_lo, 27, v2
	s_cbranch_vccz .LBB110_633
; %bb.632:
	s_lshl_b32 s9, s7, 16
	s_delay_alu instid0(SALU_CYCLE_1)
	v_cvt_u32_f32_e32 v4, s9
	s_mov_b32 s9, 0
	global_store_b32 v[0:1], v4, off
.LBB110_633:
	s_and_not1_b32 vcc_lo, exec_lo, s9
	s_cbranch_vccnz .LBB110_635
; %bb.634:
	s_lshl_b32 s9, s7, 16
	s_delay_alu instid0(SALU_CYCLE_1)
	v_cvt_u32_f32_e32 v4, s9
	global_store_b16 v[0:1], v4, off
.LBB110_635:
	s_mov_b32 s9, 0
.LBB110_636:
	s_delay_alu instid0(SALU_CYCLE_1)
	s_and_not1_b32 vcc_lo, exec_lo, s9
	s_cbranch_vccnz .LBB110_734
; %bb.637:
	s_lshl_b32 s10, s7, 16
	v_mov_b32_e32 v5, 0x80
	s_and_b32 s11, s10, 0x7fffffff
	s_delay_alu instid0(SALU_CYCLE_1)
	s_cmp_gt_u32 s11, 0x437fffff
	s_cbranch_scc1 .LBB110_733
; %bb.638:
	s_and_b32 s9, 0xffff, s7
	s_cmp_gt_u32 s11, 0x3bffffff
	s_cbranch_scc0 .LBB110_728
; %bb.639:
	s_bfe_u32 s11, s9, 0x10004
	s_mov_b32 s12, 0
	s_add_i32 s11, s10, s11
	s_delay_alu instid0(SALU_CYCLE_1) | instskip(NEXT) | instid1(SALU_CYCLE_1)
	s_add_i32 s11, s11, 0x487ffff
	s_lshr_b32 s13, s11, 20
	s_mov_b32 s11, -1
	s_branch .LBB110_729
.LBB110_640:
	s_mov_b32 s9, 0
	s_cbranch_execz .LBB110_786
; %bb.641:
	v_cmp_gt_i16_e32 vcc_lo, 5, v2
	s_mov_b32 s0, -1
	s_cbranch_vccnz .LBB110_662
; %bb.642:
	v_cmp_gt_i16_e32 vcc_lo, 8, v2
	s_cbranch_vccnz .LBB110_652
; %bb.643:
	v_cmp_gt_i16_e32 vcc_lo, 9, v2
	s_cbranch_vccnz .LBB110_649
; %bb.644:
	v_cmp_lt_i16_e32 vcc_lo, 9, v2
	s_cbranch_vccz .LBB110_646
; %bb.645:
	s_lshl_b32 s0, s7, 16
	v_mov_b32_e32 v6, 0
	v_cvt_f64_f32_e32 v[4:5], s0
	s_mov_b32 s0, 0
	s_delay_alu instid0(VALU_DEP_2)
	v_mov_b32_e32 v7, v6
	global_store_b128 v[0:1], v[4:7], off
.LBB110_646:
	s_and_not1_b32 vcc_lo, exec_lo, s0
	s_cbranch_vccnz .LBB110_648
; %bb.647:
	s_lshl_b32 s0, s7, 16
	s_delay_alu instid0(SALU_CYCLE_1)
	v_dual_mov_b32 v5, 0 :: v_dual_mov_b32 v4, s0
	global_store_b64 v[0:1], v[4:5], off
.LBB110_648:
	s_mov_b32 s0, 0
.LBB110_649:
	s_delay_alu instid0(SALU_CYCLE_1)
	s_and_not1_b32 vcc_lo, exec_lo, s0
	s_cbranch_vccnz .LBB110_651
; %bb.650:
	s_lshl_b32 s0, s7, 16
	s_delay_alu instid0(SALU_CYCLE_1) | instskip(NEXT) | instid1(VALU_DEP_1)
	v_cvt_f16_f32_e32 v4, s0
	v_and_b32_e32 v4, 0xffff, v4
	global_store_b32 v[0:1], v4, off
.LBB110_651:
	s_mov_b32 s0, 0
.LBB110_652:
	s_delay_alu instid0(SALU_CYCLE_1)
	s_and_not1_b32 vcc_lo, exec_lo, s0
	s_cbranch_vccnz .LBB110_661
; %bb.653:
	v_cmp_gt_i16_e32 vcc_lo, 6, v2
	s_mov_b32 s0, -1
	s_cbranch_vccnz .LBB110_659
; %bb.654:
	v_cmp_lt_i16_e32 vcc_lo, 6, v2
	s_cbranch_vccz .LBB110_656
; %bb.655:
	s_lshl_b32 s0, s7, 16
	s_delay_alu instid0(SALU_CYCLE_1)
	v_cvt_f64_f32_e32 v[4:5], s0
	s_mov_b32 s0, 0
	global_store_b64 v[0:1], v[4:5], off
.LBB110_656:
	s_and_not1_b32 vcc_lo, exec_lo, s0
	s_cbranch_vccnz .LBB110_658
; %bb.657:
	s_lshl_b32 s0, s7, 16
	s_delay_alu instid0(SALU_CYCLE_1)
	v_mov_b32_e32 v4, s0
	global_store_b32 v[0:1], v4, off
.LBB110_658:
	s_mov_b32 s0, 0
.LBB110_659:
	s_delay_alu instid0(SALU_CYCLE_1)
	s_and_not1_b32 vcc_lo, exec_lo, s0
	s_cbranch_vccnz .LBB110_661
; %bb.660:
	s_lshl_b32 s0, s7, 16
	s_delay_alu instid0(SALU_CYCLE_1)
	v_cvt_f16_f32_e32 v4, s0
	global_store_b16 v[0:1], v4, off
.LBB110_661:
	s_mov_b32 s0, 0
.LBB110_662:
	s_delay_alu instid0(SALU_CYCLE_1)
	s_and_not1_b32 vcc_lo, exec_lo, s0
	s_cbranch_vccnz .LBB110_678
; %bb.663:
	v_cmp_gt_i16_e32 vcc_lo, 2, v2
	s_mov_b32 s0, -1
	s_cbranch_vccnz .LBB110_673
; %bb.664:
	v_cmp_gt_i16_e32 vcc_lo, 3, v2
	s_cbranch_vccnz .LBB110_670
; %bb.665:
	v_cmp_lt_i16_e32 vcc_lo, 3, v2
	s_cbranch_vccz .LBB110_667
; %bb.666:
	s_lshl_b32 s0, s7, 16
	s_delay_alu instid0(SALU_CYCLE_1) | instskip(SKIP_1) | instid1(VALU_DEP_1)
	v_trunc_f32_e32 v4, s0
	s_mov_b32 s0, 0
	v_mul_f32_e64 v5, 0x2f800000, |v4|
	v_ashrrev_i32_e32 v7, 31, v4
	s_delay_alu instid0(VALU_DEP_2) | instskip(NEXT) | instid1(VALU_DEP_1)
	v_floor_f32_e32 v5, v5
	v_fma_f32 v6, 0xcf800000, v5, |v4|
	v_cvt_u32_f32_e32 v5, v5
	s_delay_alu instid0(VALU_DEP_2) | instskip(NEXT) | instid1(VALU_DEP_2)
	v_cvt_u32_f32_e32 v4, v6
	v_xor_b32_e32 v5, v5, v7
	s_delay_alu instid0(VALU_DEP_2) | instskip(NEXT) | instid1(VALU_DEP_1)
	v_xor_b32_e32 v4, v4, v7
	v_sub_co_u32 v4, vcc_lo, v4, v7
	s_delay_alu instid0(VALU_DEP_3)
	v_sub_co_ci_u32_e32 v5, vcc_lo, v5, v7, vcc_lo
	global_store_b64 v[0:1], v[4:5], off
.LBB110_667:
	s_and_not1_b32 vcc_lo, exec_lo, s0
	s_cbranch_vccnz .LBB110_669
; %bb.668:
	s_lshl_b32 s0, s7, 16
	s_delay_alu instid0(SALU_CYCLE_1)
	v_cvt_i32_f32_e32 v4, s0
	global_store_b32 v[0:1], v4, off
.LBB110_669:
	s_mov_b32 s0, 0
.LBB110_670:
	s_delay_alu instid0(SALU_CYCLE_1)
	s_and_not1_b32 vcc_lo, exec_lo, s0
	s_cbranch_vccnz .LBB110_672
; %bb.671:
	s_lshl_b32 s0, s7, 16
	s_delay_alu instid0(SALU_CYCLE_1)
	v_cvt_i32_f32_e32 v4, s0
	global_store_b16 v[0:1], v4, off
.LBB110_672:
	s_mov_b32 s0, 0
.LBB110_673:
	s_delay_alu instid0(SALU_CYCLE_1)
	s_and_not1_b32 vcc_lo, exec_lo, s0
	s_cbranch_vccnz .LBB110_678
; %bb.674:
	v_cmp_lt_i16_e32 vcc_lo, 0, v2
	s_mov_b32 s0, -1
	s_cbranch_vccz .LBB110_676
; %bb.675:
	s_lshl_b32 s0, s7, 16
	s_delay_alu instid0(SALU_CYCLE_1)
	v_cvt_i32_f32_e32 v4, s0
	s_mov_b32 s0, 0
	global_store_b8 v[0:1], v4, off
.LBB110_676:
	s_and_not1_b32 vcc_lo, exec_lo, s0
	s_cbranch_vccnz .LBB110_678
; %bb.677:
	s_lshl_b32 s0, s7, 16
	s_delay_alu instid0(SALU_CYCLE_1) | instskip(NEXT) | instid1(VALU_DEP_1)
	v_trunc_f32_e32 v4, s0
	v_mul_f32_e64 v5, 0x2f800000, |v4|
	s_delay_alu instid0(VALU_DEP_1) | instskip(NEXT) | instid1(VALU_DEP_1)
	v_floor_f32_e32 v5, v5
	v_fma_f32 v5, 0xcf800000, v5, |v4|
	v_ashrrev_i32_e32 v4, 31, v4
	s_delay_alu instid0(VALU_DEP_2) | instskip(NEXT) | instid1(VALU_DEP_1)
	v_cvt_u32_f32_e32 v5, v5
	v_xor_b32_e32 v5, v5, v4
	s_delay_alu instid0(VALU_DEP_1)
	v_sub_nc_u32_e32 v4, v5, v4
	global_store_b8 v[0:1], v4, off
.LBB110_678:
	s_branch .LBB110_787
.LBB110_679:
	s_mov_b32 s0, 0
	s_mov_b32 s4, 0
                                        ; implicit-def: $vgpr2
                                        ; implicit-def: $vgpr0_vgpr1
.LBB110_680:
	s_and_not1_b32 s1, s1, exec_lo
	s_and_b32 s5, s3, exec_lo
	s_and_b32 s0, s0, exec_lo
	;; [unrolled: 1-line block ×3, first 2 shown]
	s_or_b32 s1, s1, s5
.LBB110_681:
	s_or_b32 exec_lo, exec_lo, s2
	s_and_saveexec_b32 s2, s1
	s_cbranch_execz .LBB110_684
; %bb.682:
	; divergent unreachable
	s_or_b32 exec_lo, exec_lo, s2
	s_and_saveexec_b32 s1, s3
	s_delay_alu instid0(SALU_CYCLE_1)
	s_xor_b32 s1, exec_lo, s1
	s_cbranch_execnz .LBB110_685
.LBB110_683:
	s_or_b32 exec_lo, exec_lo, s1
	s_and_saveexec_b32 s1, s0
	s_cbranch_execnz .LBB110_686
	s_branch .LBB110_723
.LBB110_684:
	s_or_b32 exec_lo, exec_lo, s2
	s_and_saveexec_b32 s1, s3
	s_delay_alu instid0(SALU_CYCLE_1)
	s_xor_b32 s1, exec_lo, s1
	s_cbranch_execz .LBB110_683
.LBB110_685:
	v_and_b32_e64 v3, 0x7fff, s7
	s_delay_alu instid0(VALU_DEP_1)
	v_cmp_ne_u16_e32 vcc_lo, 0, v3
	v_cndmask_b32_e64 v3, 0, 1, vcc_lo
	global_store_b8 v[0:1], v3, off
	s_or_b32 exec_lo, exec_lo, s1
	s_and_saveexec_b32 s1, s0
	s_cbranch_execz .LBB110_723
.LBB110_686:
	v_cmp_gt_i16_e32 vcc_lo, 5, v2
	s_mov_b32 s0, -1
	s_cbranch_vccnz .LBB110_707
; %bb.687:
	v_cmp_gt_i16_e32 vcc_lo, 8, v2
	s_cbranch_vccnz .LBB110_697
; %bb.688:
	v_cmp_gt_i16_e32 vcc_lo, 9, v2
	s_cbranch_vccnz .LBB110_694
; %bb.689:
	v_cmp_lt_i16_e32 vcc_lo, 9, v2
	s_cbranch_vccz .LBB110_691
; %bb.690:
	s_lshl_b32 s0, s7, 16
	v_mov_b32_e32 v5, 0
	v_cvt_f64_f32_e32 v[3:4], s0
	s_mov_b32 s0, 0
	s_delay_alu instid0(VALU_DEP_2)
	v_mov_b32_e32 v6, v5
	global_store_b128 v[0:1], v[3:6], off
.LBB110_691:
	s_and_not1_b32 vcc_lo, exec_lo, s0
	s_cbranch_vccnz .LBB110_693
; %bb.692:
	s_lshl_b32 s0, s7, 16
	s_delay_alu instid0(SALU_CYCLE_1)
	v_dual_mov_b32 v4, 0 :: v_dual_mov_b32 v3, s0
	global_store_b64 v[0:1], v[3:4], off
.LBB110_693:
	s_mov_b32 s0, 0
.LBB110_694:
	s_delay_alu instid0(SALU_CYCLE_1)
	s_and_not1_b32 vcc_lo, exec_lo, s0
	s_cbranch_vccnz .LBB110_696
; %bb.695:
	s_lshl_b32 s0, s7, 16
	s_delay_alu instid0(SALU_CYCLE_1) | instskip(NEXT) | instid1(VALU_DEP_1)
	v_cvt_f16_f32_e32 v3, s0
	v_and_b32_e32 v3, 0xffff, v3
	global_store_b32 v[0:1], v3, off
.LBB110_696:
	s_mov_b32 s0, 0
.LBB110_697:
	s_delay_alu instid0(SALU_CYCLE_1)
	s_and_not1_b32 vcc_lo, exec_lo, s0
	s_cbranch_vccnz .LBB110_706
; %bb.698:
	v_cmp_gt_i16_e32 vcc_lo, 6, v2
	s_mov_b32 s0, -1
	s_cbranch_vccnz .LBB110_704
; %bb.699:
	v_cmp_lt_i16_e32 vcc_lo, 6, v2
	s_cbranch_vccz .LBB110_701
; %bb.700:
	s_lshl_b32 s0, s7, 16
	s_delay_alu instid0(SALU_CYCLE_1)
	v_cvt_f64_f32_e32 v[3:4], s0
	s_mov_b32 s0, 0
	global_store_b64 v[0:1], v[3:4], off
.LBB110_701:
	s_and_not1_b32 vcc_lo, exec_lo, s0
	s_cbranch_vccnz .LBB110_703
; %bb.702:
	s_lshl_b32 s0, s7, 16
	s_delay_alu instid0(SALU_CYCLE_1)
	v_mov_b32_e32 v3, s0
	global_store_b32 v[0:1], v3, off
.LBB110_703:
	s_mov_b32 s0, 0
.LBB110_704:
	s_delay_alu instid0(SALU_CYCLE_1)
	s_and_not1_b32 vcc_lo, exec_lo, s0
	s_cbranch_vccnz .LBB110_706
; %bb.705:
	s_lshl_b32 s0, s7, 16
	s_delay_alu instid0(SALU_CYCLE_1)
	v_cvt_f16_f32_e32 v3, s0
	global_store_b16 v[0:1], v3, off
.LBB110_706:
	s_mov_b32 s0, 0
.LBB110_707:
	s_delay_alu instid0(SALU_CYCLE_1)
	s_and_not1_b32 vcc_lo, exec_lo, s0
	s_cbranch_vccnz .LBB110_723
; %bb.708:
	v_cmp_gt_i16_e32 vcc_lo, 2, v2
	s_mov_b32 s0, -1
	s_cbranch_vccnz .LBB110_718
; %bb.709:
	v_cmp_gt_i16_e32 vcc_lo, 3, v2
	s_cbranch_vccnz .LBB110_715
; %bb.710:
	v_cmp_lt_i16_e32 vcc_lo, 3, v2
	s_cbranch_vccz .LBB110_712
; %bb.711:
	s_lshl_b32 s0, s7, 16
	s_delay_alu instid0(SALU_CYCLE_1) | instskip(SKIP_1) | instid1(VALU_DEP_1)
	v_trunc_f32_e32 v3, s0
	s_mov_b32 s0, 0
	v_mul_f32_e64 v4, 0x2f800000, |v3|
	v_ashrrev_i32_e32 v6, 31, v3
	s_delay_alu instid0(VALU_DEP_2) | instskip(NEXT) | instid1(VALU_DEP_1)
	v_floor_f32_e32 v4, v4
	v_fma_f32 v5, 0xcf800000, v4, |v3|
	v_cvt_u32_f32_e32 v4, v4
	s_delay_alu instid0(VALU_DEP_2) | instskip(NEXT) | instid1(VALU_DEP_2)
	v_cvt_u32_f32_e32 v3, v5
	v_xor_b32_e32 v4, v4, v6
	s_delay_alu instid0(VALU_DEP_2) | instskip(NEXT) | instid1(VALU_DEP_1)
	v_xor_b32_e32 v3, v3, v6
	v_sub_co_u32 v3, vcc_lo, v3, v6
	s_delay_alu instid0(VALU_DEP_3)
	v_sub_co_ci_u32_e32 v4, vcc_lo, v4, v6, vcc_lo
	global_store_b64 v[0:1], v[3:4], off
.LBB110_712:
	s_and_not1_b32 vcc_lo, exec_lo, s0
	s_cbranch_vccnz .LBB110_714
; %bb.713:
	s_lshl_b32 s0, s7, 16
	s_delay_alu instid0(SALU_CYCLE_1)
	v_cvt_i32_f32_e32 v3, s0
	global_store_b32 v[0:1], v3, off
.LBB110_714:
	s_mov_b32 s0, 0
.LBB110_715:
	s_delay_alu instid0(SALU_CYCLE_1)
	s_and_not1_b32 vcc_lo, exec_lo, s0
	s_cbranch_vccnz .LBB110_717
; %bb.716:
	s_lshl_b32 s0, s7, 16
	s_delay_alu instid0(SALU_CYCLE_1)
	v_cvt_i32_f32_e32 v3, s0
	global_store_b16 v[0:1], v3, off
.LBB110_717:
	s_mov_b32 s0, 0
.LBB110_718:
	s_delay_alu instid0(SALU_CYCLE_1)
	s_and_not1_b32 vcc_lo, exec_lo, s0
	s_cbranch_vccnz .LBB110_723
; %bb.719:
	v_cmp_lt_i16_e32 vcc_lo, 0, v2
	s_mov_b32 s0, -1
	s_cbranch_vccz .LBB110_721
; %bb.720:
	s_lshl_b32 s0, s7, 16
	s_delay_alu instid0(SALU_CYCLE_1)
	v_cvt_i32_f32_e32 v2, s0
	s_mov_b32 s0, 0
	global_store_b8 v[0:1], v2, off
.LBB110_721:
	s_and_not1_b32 vcc_lo, exec_lo, s0
	s_cbranch_vccnz .LBB110_723
; %bb.722:
	s_lshl_b32 s0, s7, 16
	s_delay_alu instid0(SALU_CYCLE_1) | instskip(NEXT) | instid1(VALU_DEP_1)
	v_trunc_f32_e32 v2, s0
	v_mul_f32_e64 v3, 0x2f800000, |v2|
	s_delay_alu instid0(VALU_DEP_1) | instskip(NEXT) | instid1(VALU_DEP_1)
	v_floor_f32_e32 v3, v3
	v_fma_f32 v3, 0xcf800000, v3, |v2|
	v_ashrrev_i32_e32 v2, 31, v2
	s_delay_alu instid0(VALU_DEP_2) | instskip(NEXT) | instid1(VALU_DEP_1)
	v_cvt_u32_f32_e32 v3, v3
	v_xor_b32_e32 v3, v3, v2
	s_delay_alu instid0(VALU_DEP_1)
	v_sub_nc_u32_e32 v2, v3, v2
	global_store_b8 v[0:1], v2, off
	s_nop 0
	s_sendmsg sendmsg(MSG_DEALLOC_VGPRS)
	s_endpgm
.LBB110_723:
	s_nop 0
	s_sendmsg sendmsg(MSG_DEALLOC_VGPRS)
	s_endpgm
.LBB110_724:
	s_cbranch_execnz .LBB110_726
; %bb.725:
	s_or_b32 s3, s3, exec_lo
	s_cbranch_execz .LBB110_609
	s_branch .LBB110_610
.LBB110_726:
	s_trap 2
	s_sendmsg_rtn_b32 s0, sendmsg(MSG_RTN_GET_DOORBELL)
	s_mov_b32 ttmp2, m0
	s_waitcnt lgkmcnt(0)
	s_and_b32 s0, s0, 0x3ff
	s_delay_alu instid0(SALU_CYCLE_1) | instskip(NEXT) | instid1(SALU_CYCLE_1)
	s_bitset1_b32 s0, 10
	s_mov_b32 m0, s0
	s_sendmsg sendmsg(MSG_INTERRUPT)
	s_mov_b32 m0, ttmp2
.LBB110_727:                            ; =>This Inner Loop Header: Depth=1
	s_sethalt 5
	s_branch .LBB110_727
.LBB110_728:
	s_mov_b32 s12, -1
	s_mov_b32 s11, 0
                                        ; implicit-def: $sgpr13
.LBB110_729:
	v_mov_b32_e32 v4, s13
	s_and_not1_b32 vcc_lo, exec_lo, s12
                                        ; implicit-def: $sgpr12
	s_cbranch_vccnz .LBB110_731
; %bb.730:
	v_add_f32_e64 v4, 0x46000000, |s10|
	s_mov_b32 s12, 0
	s_delay_alu instid0(VALU_DEP_1) | instskip(NEXT) | instid1(VALU_DEP_1)
	v_and_b32_e32 v4, 0xff, v4
	v_cmp_ne_u32_e64 s11, 0, v4
.LBB110_731:
	v_mov_b32_e32 v5, s12
	s_delay_alu instid0(VALU_DEP_2)
	s_and_not1_b32 vcc_lo, exec_lo, s11
	s_cbranch_vccnz .LBB110_733
; %bb.732:
	s_lshr_b32 s9, s9, 8
	s_delay_alu instid0(SALU_CYCLE_1) | instskip(NEXT) | instid1(SALU_CYCLE_1)
	s_and_b32 s9, s9, 0x80
	v_or_b32_e32 v5, s9, v4
.LBB110_733:
	global_store_b8 v[0:1], v5, off
.LBB110_734:
	s_mov_b32 s9, -1
.LBB110_735:
	s_mov_b32 s10, 0
.LBB110_736:
	s_delay_alu instid0(SALU_CYCLE_1)
	s_and_b32 vcc_lo, exec_lo, s10
	s_cbranch_vccz .LBB110_782
; %bb.737:
	v_cmp_lt_i16_e32 vcc_lo, 22, v2
	s_mov_b32 s8, -1
	s_cbranch_vccz .LBB110_775
; %bb.738:
	v_cmp_gt_i16_e32 vcc_lo, 24, v2
	s_cbranch_vccnz .LBB110_762
; %bb.739:
	v_cmp_lt_i16_e32 vcc_lo, 24, v2
	s_cbranch_vccz .LBB110_749
; %bb.740:
	s_lshl_b32 s9, s7, 16
	v_mov_b32_e32 v5, 0x80
	s_and_b32 s10, s9, 0x7fffffff
	s_delay_alu instid0(SALU_CYCLE_1)
	s_cmp_gt_u32 s10, 0x477fffff
	s_cbranch_scc1 .LBB110_748
; %bb.741:
	s_and_b32 s8, 0xffff, s7
	s_cmp_gt_u32 s10, 0x37ffffff
	s_cbranch_scc0 .LBB110_743
; %bb.742:
	s_bfe_u32 s10, s8, 0x10005
	s_mov_b32 s11, 0
	s_add_i32 s10, s9, s10
	s_delay_alu instid0(SALU_CYCLE_1) | instskip(NEXT) | instid1(SALU_CYCLE_1)
	s_add_i32 s10, s10, 0x88fffff
	s_lshr_b32 s12, s10, 21
	s_mov_b32 s10, -1
	s_branch .LBB110_744
.LBB110_743:
	s_mov_b32 s11, -1
	s_mov_b32 s10, 0
                                        ; implicit-def: $sgpr12
.LBB110_744:
	v_mov_b32_e32 v4, s12
	s_and_not1_b32 vcc_lo, exec_lo, s11
                                        ; implicit-def: $sgpr11
	s_cbranch_vccnz .LBB110_746
; %bb.745:
	v_add_f32_e64 v4, 0x42800000, |s9|
	s_mov_b32 s11, 0
	s_delay_alu instid0(VALU_DEP_1) | instskip(NEXT) | instid1(VALU_DEP_1)
	v_and_b32_e32 v4, 0xff, v4
	v_cmp_ne_u32_e64 s10, 0, v4
.LBB110_746:
	v_mov_b32_e32 v5, s11
	s_delay_alu instid0(VALU_DEP_2)
	s_and_not1_b32 vcc_lo, exec_lo, s10
	s_cbranch_vccnz .LBB110_748
; %bb.747:
	s_lshr_b32 s8, s8, 8
	s_delay_alu instid0(SALU_CYCLE_1) | instskip(NEXT) | instid1(SALU_CYCLE_1)
	s_and_b32 s8, s8, 0x80
	v_or_b32_e32 v5, s8, v4
.LBB110_748:
	s_mov_b32 s8, 0
	global_store_b8 v[0:1], v5, off
.LBB110_749:
	s_and_b32 vcc_lo, exec_lo, s8
	s_cbranch_vccz .LBB110_761
; %bb.750:
	s_lshl_b32 s10, s7, 16
	s_and_b32 s8, 0xffff, s7
	s_and_b32 s9, s10, 0x7fffffff
	s_delay_alu instid0(SALU_CYCLE_1)
	s_cmp_lt_u32 s9, 0x43f00000
	s_cbranch_scc0 .LBB110_753
; %bb.751:
	s_cmp_gt_u32 s9, 0x3c7fffff
	s_cbranch_scc0 .LBB110_754
; %bb.752:
	s_bfe_u32 s11, s8, 0x10004
	s_delay_alu instid0(SALU_CYCLE_1) | instskip(NEXT) | instid1(SALU_CYCLE_1)
	s_add_i32 s11, s10, s11
	s_add_i32 s11, s11, 0x407ffff
	s_delay_alu instid0(SALU_CYCLE_1)
	s_and_b32 s12, s11, 0xff00000
	s_lshr_b32 s11, s11, 20
	s_cmp_lg_u32 s12, 0x7f00000
	s_cselect_b32 s12, s11, 0x7e
	s_mov_b32 s11, 0
	s_branch .LBB110_755
.LBB110_753:
	s_mov_b32 s10, -1
                                        ; implicit-def: $vgpr4
	s_branch .LBB110_758
.LBB110_754:
	s_mov_b32 s11, -1
                                        ; implicit-def: $sgpr12
.LBB110_755:
	v_mov_b32_e32 v4, s12
	s_and_not1_b32 vcc_lo, exec_lo, s11
	s_cbranch_vccnz .LBB110_757
; %bb.756:
	v_add_f32_e64 v4, 0x46800000, |s10|
.LBB110_757:
	s_mov_b32 s10, 0
.LBB110_758:
	s_delay_alu instid0(SALU_CYCLE_1)
	s_and_not1_b32 vcc_lo, exec_lo, s10
	s_cbranch_vccnz .LBB110_760
; %bb.759:
	s_cmp_gt_u32 s9, 0x7f800000
	s_movk_i32 s9, 0x7f
	s_delay_alu instid0(SALU_CYCLE_1) | instskip(NEXT) | instid1(SALU_CYCLE_1)
	s_cselect_b32 s9, s9, 0x7e
	v_mov_b32_e32 v4, s9
.LBB110_760:
	s_lshr_b32 s8, s8, 8
	s_delay_alu instid0(SALU_CYCLE_1)
	s_and_b32 s8, s8, 0x80
	s_delay_alu instid0(VALU_DEP_1) | instid1(SALU_CYCLE_1)
	v_or_b32_e32 v4, s8, v4
	global_store_b8 v[0:1], v4, off
.LBB110_761:
	s_mov_b32 s8, 0
.LBB110_762:
	s_delay_alu instid0(SALU_CYCLE_1)
	s_and_not1_b32 vcc_lo, exec_lo, s8
	s_cbranch_vccnz .LBB110_774
; %bb.763:
	s_lshl_b32 s10, s7, 16
	s_and_b32 s8, 0xffff, s7
	s_and_b32 s9, s10, 0x7fffffff
	s_delay_alu instid0(SALU_CYCLE_1)
	s_cmp_lt_u32 s9, 0x47800000
	s_cbranch_scc0 .LBB110_766
; %bb.764:
	s_cmp_gt_u32 s9, 0x387fffff
	s_cbranch_scc0 .LBB110_767
; %bb.765:
	s_bfe_u32 s11, s8, 0x10005
	s_delay_alu instid0(SALU_CYCLE_1) | instskip(NEXT) | instid1(SALU_CYCLE_1)
	s_add_i32 s11, s10, s11
	s_add_i32 s11, s11, 0x80fffff
	s_delay_alu instid0(SALU_CYCLE_1)
	s_lshr_b32 s12, s11, 21
	s_mov_b32 s11, 0
	s_branch .LBB110_768
.LBB110_766:
	s_mov_b32 s10, -1
                                        ; implicit-def: $vgpr4
	s_branch .LBB110_771
.LBB110_767:
	s_mov_b32 s11, -1
                                        ; implicit-def: $sgpr12
.LBB110_768:
	v_mov_b32_e32 v4, s12
	s_and_not1_b32 vcc_lo, exec_lo, s11
	s_cbranch_vccnz .LBB110_770
; %bb.769:
	v_add_f32_e64 v4, 0x43000000, |s10|
.LBB110_770:
	s_mov_b32 s10, 0
.LBB110_771:
	s_delay_alu instid0(SALU_CYCLE_1)
	s_and_not1_b32 vcc_lo, exec_lo, s10
	s_cbranch_vccnz .LBB110_773
; %bb.772:
	s_cmp_gt_u32 s9, 0x7f800000
	s_movk_i32 s9, 0x7f
	s_delay_alu instid0(SALU_CYCLE_1) | instskip(NEXT) | instid1(SALU_CYCLE_1)
	s_cselect_b32 s9, s9, 0x7c
	v_mov_b32_e32 v4, s9
.LBB110_773:
	s_lshr_b32 s8, s8, 8
	s_delay_alu instid0(SALU_CYCLE_1)
	s_and_b32 s8, s8, 0x80
	s_delay_alu instid0(VALU_DEP_1) | instid1(SALU_CYCLE_1)
	v_or_b32_e32 v4, s8, v4
	global_store_b8 v[0:1], v4, off
.LBB110_774:
	s_mov_b32 s8, 0
	s_mov_b32 s9, -1
.LBB110_775:
	s_and_not1_b32 vcc_lo, exec_lo, s8
	s_mov_b32 s8, 0
	s_cbranch_vccnz .LBB110_782
; %bb.776:
	v_cmp_lt_i16_e32 vcc_lo, 14, v2
	s_mov_b32 s8, -1
	s_cbranch_vccz .LBB110_780
; %bb.777:
	v_cmp_eq_u16_e32 vcc_lo, 15, v2
	s_mov_b32 s0, -1
	s_cbranch_vccz .LBB110_779
; %bb.778:
	v_mov_b32_e32 v4, s7
	s_mov_b32 s0, 0
	s_mov_b32 s9, -1
	global_store_b16 v[0:1], v4, off
.LBB110_779:
	s_mov_b32 s8, 0
.LBB110_780:
	s_delay_alu instid0(SALU_CYCLE_1)
	s_and_b32 vcc_lo, exec_lo, s8
	s_mov_b32 s8, 0
	s_cbranch_vccz .LBB110_782
; %bb.781:
	v_cmp_ne_u16_e64 s0, 11, v2
	s_mov_b32 s8, -1
.LBB110_782:
	s_delay_alu instid0(VALU_DEP_1)
	s_and_b32 vcc_lo, exec_lo, s0
	s_cbranch_vccnz .LBB110_817
; %bb.783:
	s_and_not1_b32 vcc_lo, exec_lo, s8
	s_cbranch_vccnz .LBB110_785
.LBB110_784:
	v_and_b32_e64 v4, 0x7fff, s7
	s_mov_b32 s9, -1
	s_delay_alu instid0(VALU_DEP_1)
	v_cmp_ne_u16_e32 vcc_lo, 0, v4
	v_cndmask_b32_e64 v4, 0, 1, vcc_lo
	global_store_b8 v[0:1], v4, off
.LBB110_785:
.LBB110_786:
	s_and_not1_b32 vcc_lo, exec_lo, s9
	s_cbranch_vccnz .LBB110_679
.LBB110_787:
	v_add_nc_u32_e32 v0, s6, v3
	v_cmp_gt_i16_e32 vcc_lo, 11, v2
	s_delay_alu instid0(VALU_DEP_2) | instskip(SKIP_1) | instid1(VALU_DEP_1)
	v_ashrrev_i32_e32 v1, 31, v0
	v_add_co_u32 v0, s0, s4, v0
	v_add_co_ci_u32_e64 v1, s0, s5, v1, s0
	s_cbranch_vccnz .LBB110_816
; %bb.788:
	v_cmp_lt_i16_e32 vcc_lo, 25, v2
	s_mov_b32 s5, -1
	s_mov_b32 s4, 0
	s_mov_b32 s0, 0
	s_cbranch_vccz .LBB110_828
; %bb.789:
	v_cmp_lt_i16_e32 vcc_lo, 28, v2
	s_cbranch_vccz .LBB110_805
; %bb.790:
	v_cmp_lt_i16_e32 vcc_lo, 43, v2
	;; [unrolled: 3-line block ×3, first 2 shown]
	s_cbranch_vccz .LBB110_795
; %bb.792:
	v_cmp_eq_u16_e32 vcc_lo, 46, v2
	s_mov_b32 s0, -1
	s_cbranch_vccz .LBB110_794
; %bb.793:
	s_and_b32 s0, 0xffff, s7
	s_delay_alu instid0(SALU_CYCLE_1)
	v_mov_b32_e32 v3, s0
	s_mov_b32 s0, 0
	global_store_b32 v[0:1], v3, off
.LBB110_794:
	s_mov_b32 s5, 0
.LBB110_795:
	s_delay_alu instid0(SALU_CYCLE_1)
	s_and_b32 vcc_lo, exec_lo, s5
	s_cbranch_vccz .LBB110_800
; %bb.796:
	v_cmp_eq_u16_e32 vcc_lo, 44, v2
	s_mov_b32 s0, -1
	s_cbranch_vccz .LBB110_800
; %bb.797:
	s_and_b32 s5, 0xffff, s7
	v_mov_b32_e32 v3, 0xff
	s_bfe_u32 s0, s5, 0x80007
	s_delay_alu instid0(SALU_CYCLE_1)
	s_cmpk_eq_i32 s0, 0xff
	s_cbranch_scc1 .LBB110_799
; %bb.798:
	s_lshr_b32 s6, s5, 7
	s_lshl_b32 s8, s5, 16
	s_bitcmp1_b32 s5, 6
	s_cselect_b32 s5, -1, 0
	s_and_b32 s8, s8, 0x3f0000
	s_delay_alu instid0(SALU_CYCLE_1) | instskip(NEXT) | instid1(SALU_CYCLE_1)
	s_or_b32 s0, s0, s8
	s_cmp_lg_u32 s0, 0
	s_cselect_b32 s0, -1, 0
	s_delay_alu instid0(SALU_CYCLE_1) | instskip(NEXT) | instid1(SALU_CYCLE_1)
	s_and_b32 s0, s5, s0
	v_cndmask_b32_e64 v3, 0, 1, s0
	s_delay_alu instid0(VALU_DEP_1)
	v_add_nc_u32_e32 v3, s6, v3
.LBB110_799:
	s_mov_b32 s0, 0
	global_store_b8 v[0:1], v3, off
.LBB110_800:
	s_mov_b32 s5, 0
.LBB110_801:
	s_delay_alu instid0(SALU_CYCLE_1)
	s_and_b32 vcc_lo, exec_lo, s5
	s_cbranch_vccz .LBB110_804
; %bb.802:
	v_cmp_eq_u16_e32 vcc_lo, 29, v2
	s_mov_b32 s0, -1
	s_cbranch_vccz .LBB110_804
; %bb.803:
	s_lshl_b32 s0, s7, 16
	s_delay_alu instid0(SALU_CYCLE_1) | instskip(SKIP_1) | instid1(VALU_DEP_1)
	v_trunc_f32_e32 v3, s0
	s_mov_b32 s0, 0
	v_mul_f32_e32 v4, 0x2f800000, v3
	s_delay_alu instid0(VALU_DEP_1) | instskip(NEXT) | instid1(VALU_DEP_1)
	v_floor_f32_e32 v4, v4
	v_fmamk_f32 v3, v4, 0xcf800000, v3
	v_cvt_u32_f32_e32 v4, v4
	s_delay_alu instid0(VALU_DEP_2)
	v_cvt_u32_f32_e32 v3, v3
	global_store_b64 v[0:1], v[3:4], off
.LBB110_804:
	s_mov_b32 s5, 0
.LBB110_805:
	s_delay_alu instid0(SALU_CYCLE_1)
	s_and_b32 vcc_lo, exec_lo, s5
	s_cbranch_vccz .LBB110_827
; %bb.806:
	v_cmp_gt_i16_e32 vcc_lo, 27, v2
	s_mov_b32 s5, -1
	s_cbranch_vccnz .LBB110_812
; %bb.807:
	v_cmp_lt_i16_e32 vcc_lo, 27, v2
	s_cbranch_vccz .LBB110_809
; %bb.808:
	s_lshl_b32 s5, s7, 16
	s_delay_alu instid0(SALU_CYCLE_1)
	v_cvt_u32_f32_e32 v3, s5
	s_mov_b32 s5, 0
	global_store_b32 v[0:1], v3, off
.LBB110_809:
	s_and_not1_b32 vcc_lo, exec_lo, s5
	s_cbranch_vccnz .LBB110_811
; %bb.810:
	s_lshl_b32 s5, s7, 16
	s_delay_alu instid0(SALU_CYCLE_1)
	v_cvt_u32_f32_e32 v3, s5
	global_store_b16 v[0:1], v3, off
.LBB110_811:
	s_mov_b32 s5, 0
.LBB110_812:
	s_delay_alu instid0(SALU_CYCLE_1)
	s_and_not1_b32 vcc_lo, exec_lo, s5
	s_cbranch_vccnz .LBB110_827
; %bb.813:
	s_lshl_b32 s6, s7, 16
	v_mov_b32_e32 v4, 0x80
	s_and_b32 s8, s6, 0x7fffffff
	s_delay_alu instid0(SALU_CYCLE_1)
	s_cmp_gt_u32 s8, 0x437fffff
	s_cbranch_scc1 .LBB110_826
; %bb.814:
	s_and_b32 s5, 0xffff, s7
	s_cmp_gt_u32 s8, 0x3bffffff
	s_cbranch_scc0 .LBB110_821
; %bb.815:
	s_bfe_u32 s8, s5, 0x10004
	s_mov_b32 s9, 0
	s_add_i32 s8, s6, s8
	s_delay_alu instid0(SALU_CYCLE_1) | instskip(NEXT) | instid1(SALU_CYCLE_1)
	s_add_i32 s8, s8, 0x487ffff
	s_lshr_b32 s10, s8, 20
	s_mov_b32 s8, -1
	s_branch .LBB110_822
.LBB110_816:
	s_mov_b32 s4, 0
	s_mov_b32 s0, -1
	s_branch .LBB110_680
.LBB110_817:
	s_cbranch_execnz .LBB110_819
; %bb.818:
	s_or_b32 s3, s3, exec_lo
	s_cbranch_execz .LBB110_784
	s_branch .LBB110_785
.LBB110_819:
	s_trap 2
	s_sendmsg_rtn_b32 s0, sendmsg(MSG_RTN_GET_DOORBELL)
	s_mov_b32 ttmp2, m0
	s_waitcnt lgkmcnt(0)
	s_and_b32 s0, s0, 0x3ff
	s_delay_alu instid0(SALU_CYCLE_1) | instskip(NEXT) | instid1(SALU_CYCLE_1)
	s_bitset1_b32 s0, 10
	s_mov_b32 m0, s0
	s_sendmsg sendmsg(MSG_INTERRUPT)
	s_mov_b32 m0, ttmp2
.LBB110_820:                            ; =>This Inner Loop Header: Depth=1
	s_sethalt 5
	s_branch .LBB110_820
.LBB110_821:
	s_mov_b32 s9, -1
	s_mov_b32 s8, 0
                                        ; implicit-def: $sgpr10
.LBB110_822:
	v_mov_b32_e32 v3, s10
	s_and_not1_b32 vcc_lo, exec_lo, s9
                                        ; implicit-def: $sgpr9
	s_cbranch_vccnz .LBB110_824
; %bb.823:
	v_add_f32_e64 v3, 0x46000000, |s6|
	s_mov_b32 s9, 0
	s_delay_alu instid0(VALU_DEP_1) | instskip(NEXT) | instid1(VALU_DEP_1)
	v_and_b32_e32 v3, 0xff, v3
	v_cmp_ne_u32_e64 s8, 0, v3
.LBB110_824:
	v_mov_b32_e32 v4, s9
	s_delay_alu instid0(VALU_DEP_2)
	s_and_not1_b32 vcc_lo, exec_lo, s8
	s_cbranch_vccnz .LBB110_826
; %bb.825:
	s_lshr_b32 s5, s5, 8
	s_delay_alu instid0(SALU_CYCLE_1) | instskip(NEXT) | instid1(SALU_CYCLE_1)
	s_and_b32 s5, s5, 0x80
	v_or_b32_e32 v4, s5, v3
.LBB110_826:
	global_store_b8 v[0:1], v4, off
.LBB110_827:
	s_mov_b32 s5, 0
.LBB110_828:
	s_delay_alu instid0(SALU_CYCLE_1)
	s_and_b32 vcc_lo, exec_lo, s5
	s_cbranch_vccz .LBB110_926
; %bb.829:
	v_cmp_lt_i16_e32 vcc_lo, 22, v2
	s_mov_b32 s4, -1
	s_cbranch_vccz .LBB110_919
; %bb.830:
	v_cmp_gt_i16_e32 vcc_lo, 24, v2
	s_cbranch_vccnz .LBB110_906
; %bb.831:
	v_cmp_lt_i16_e32 vcc_lo, 24, v2
	s_cbranch_vccz .LBB110_893
; %bb.832:
	s_lshl_b32 s5, s7, 16
	v_mov_b32_e32 v4, 0x80
	s_and_b32 s6, s5, 0x7fffffff
	s_delay_alu instid0(SALU_CYCLE_1)
	s_cmp_gt_u32 s6, 0x477fffff
	s_cbranch_scc1 .LBB110_892
; %bb.833:
	s_and_b32 s4, 0xffff, s7
	s_cmp_gt_u32 s6, 0x37ffffff
	s_cbranch_scc0 .LBB110_887
; %bb.834:
	s_bfe_u32 s6, s4, 0x10005
	s_mov_b32 s8, 0
	s_add_i32 s6, s5, s6
	s_delay_alu instid0(SALU_CYCLE_1) | instskip(NEXT) | instid1(SALU_CYCLE_1)
	s_add_i32 s6, s6, 0x88fffff
	s_lshr_b32 s9, s6, 21
	s_mov_b32 s6, -1
	s_branch .LBB110_888
.LBB110_835:
	s_mov_b32 s40, 0
.LBB110_836:
	s_delay_alu instid0(SALU_CYCLE_1)
	s_and_b32 vcc_lo, exec_lo, s40
	s_cbranch_vccz .LBB110_839
; %bb.837:
	v_cmp_eq_u16_e32 vcc_lo, 44, v17
	s_mov_b32 s0, -1
	s_cbranch_vccz .LBB110_839
; %bb.838:
	v_cndmask_b32_e64 v2, v16, 0xff, s30
	s_mov_b32 s0, 0
	s_mov_b32 s40, 0
	global_store_b8 v[8:9], v2, off
	s_branch .LBB110_840
.LBB110_839:
	s_mov_b32 s40, 0
.LBB110_840:
	s_delay_alu instid0(SALU_CYCLE_1)
	s_and_b32 vcc_lo, exec_lo, s40
	s_cbranch_vccz .LBB110_843
; %bb.841:
	v_cmp_eq_u16_e32 vcc_lo, 29, v17
	s_mov_b32 s0, -1
	s_cbranch_vccz .LBB110_843
; %bb.842:
	s_mov_b32 s0, 0
	global_store_b64 v[8:9], v[6:7], off
.LBB110_843:
	s_mov_b32 s40, 0
.LBB110_844:
	s_delay_alu instid0(SALU_CYCLE_1)
	s_and_b32 vcc_lo, exec_lo, s40
	s_cbranch_vccz .LBB110_856
; %bb.845:
	v_cmp_gt_i16_e32 vcc_lo, 27, v17
	s_mov_b32 s30, -1
	s_cbranch_vccnz .LBB110_851
; %bb.846:
	v_cmp_lt_i16_e32 vcc_lo, 27, v17
	s_cbranch_vccz .LBB110_848
; %bb.847:
	s_mov_b32 s30, 0
	global_store_b32 v[8:9], v14, off
.LBB110_848:
	s_and_not1_b32 vcc_lo, exec_lo, s30
	s_cbranch_vccnz .LBB110_850
; %bb.849:
	global_store_b16 v[8:9], v14, off
.LBB110_850:
	s_mov_b32 s30, 0
.LBB110_851:
	s_delay_alu instid0(SALU_CYCLE_1)
	s_and_not1_b32 vcc_lo, exec_lo, s30
	s_cbranch_vccnz .LBB110_856
; %bb.852:
	s_and_not1_b32 vcc_lo, exec_lo, s28
	s_movk_i32 s28, 0x80
	s_cbranch_vccnz .LBB110_855
; %bb.853:
	s_or_b32 s28, s26, s29
	s_delay_alu instid0(SALU_CYCLE_1)
	s_and_not1_b32 vcc_lo, exec_lo, s28
	s_mov_b32 s28, 0
	s_cbranch_vccnz .LBB110_855
; %bb.854:
	s_and_b32 s26, s26, exec_lo
	s_cselect_b32 s25, s27, s25
	s_delay_alu instid0(SALU_CYCLE_1)
	s_or_b32 s28, s25, s9
.LBB110_855:
	s_delay_alu instid0(SALU_CYCLE_1)
	v_mov_b32_e32 v2, s28
	global_store_b8 v[8:9], v2, off
.LBB110_856:
	s_mov_b32 s40, 0
.LBB110_857:
	s_delay_alu instid0(SALU_CYCLE_1)
	s_and_b32 vcc_lo, exec_lo, s40
	s_mov_b32 s25, 0
	s_cbranch_vccz .LBB110_878
; %bb.858:
	v_cmp_lt_i16_e32 vcc_lo, 22, v17
	s_mov_b32 s26, -1
	s_cbranch_vccz .LBB110_871
; %bb.859:
	v_cmp_gt_i16_e32 vcc_lo, 24, v17
	s_cbranch_vccnz .LBB110_868
; %bb.860:
	v_cmp_lt_i16_e32 vcc_lo, 24, v17
	s_cbranch_vccz .LBB110_865
; %bb.861:
	s_and_not1_b32 vcc_lo, exec_lo, s18
	s_movk_i32 s18, 0x80
	s_cbranch_vccnz .LBB110_864
; %bb.862:
	s_or_b32 s18, s13, s21
	s_delay_alu instid0(SALU_CYCLE_1)
	s_and_not1_b32 vcc_lo, exec_lo, s18
	s_mov_b32 s18, 0
	s_cbranch_vccnz .LBB110_864
; %bb.863:
	s_and_b32 s13, s13, exec_lo
	s_cselect_b32 s13, s16, s14
	s_delay_alu instid0(SALU_CYCLE_1)
	s_or_b32 s18, s13, s9
.LBB110_864:
	s_delay_alu instid0(SALU_CYCLE_1)
	v_mov_b32_e32 v2, s18
	s_mov_b32 s26, 0
	global_store_b8 v[8:9], v2, off
.LBB110_865:
	s_and_b32 vcc_lo, exec_lo, s26
	s_cbranch_vccz .LBB110_867
; %bb.866:
	s_and_b32 s12, s12, exec_lo
	s_cselect_b32 s12, s24, s20
	s_and_b32 s11, s11, exec_lo
	s_cselect_b32 s11, s23, s12
	s_delay_alu instid0(SALU_CYCLE_1) | instskip(NEXT) | instid1(SALU_CYCLE_1)
	s_or_b32 s11, s11, s9
	v_mov_b32_e32 v2, s11
	global_store_b8 v[8:9], v2, off
.LBB110_867:
	s_mov_b32 s26, 0
.LBB110_868:
	s_delay_alu instid0(SALU_CYCLE_1)
	s_and_not1_b32 vcc_lo, exec_lo, s26
	s_cbranch_vccnz .LBB110_870
; %bb.869:
	s_and_b32 s11, s15, exec_lo
	s_cselect_b32 s11, s19, s17
	s_and_b32 s10, s10, exec_lo
	s_cselect_b32 s10, s22, s11
	s_delay_alu instid0(SALU_CYCLE_1) | instskip(NEXT) | instid1(SALU_CYCLE_1)
	s_or_b32 s9, s10, s9
	v_mov_b32_e32 v2, s9
	global_store_b8 v[8:9], v2, off
.LBB110_870:
	s_mov_b32 s26, 0
.LBB110_871:
	s_delay_alu instid0(SALU_CYCLE_1)
	s_and_not1_b32 vcc_lo, exec_lo, s26
	s_mov_b32 s9, 0
	s_cbranch_vccnz .LBB110_879
; %bb.872:
	v_cmp_lt_i16_e32 vcc_lo, 14, v17
	s_mov_b32 s9, -1
	s_cbranch_vccz .LBB110_876
; %bb.873:
	v_cmp_eq_u16_e32 vcc_lo, 15, v17
	s_mov_b32 s0, -1
	s_cbranch_vccz .LBB110_875
; %bb.874:
	v_mov_b32_e32 v2, s7
	s_mov_b32 s0, 0
	global_store_b16 v[8:9], v2, off
.LBB110_875:
	s_mov_b32 s9, 0
.LBB110_876:
	s_delay_alu instid0(SALU_CYCLE_1)
	s_and_b32 vcc_lo, exec_lo, s9
	s_mov_b32 s9, 0
	s_cbranch_vccz .LBB110_879
; %bb.877:
	v_cmp_ne_u16_e32 vcc_lo, 11, v17
	s_and_not1_b32 s0, s0, exec_lo
	s_mov_b32 s9, -1
	s_and_b32 s10, vcc_lo, exec_lo
	s_delay_alu instid0(SALU_CYCLE_1)
	s_or_b32 s0, s0, s10
	s_branch .LBB110_879
.LBB110_878:
	s_mov_b32 s9, 0
.LBB110_879:
	s_and_not1_b32 s10, s39, exec_lo
	s_and_b32 s11, s0, exec_lo
	s_and_b32 s40, s25, exec_lo
	;; [unrolled: 1-line block ×3, first 2 shown]
	s_or_b32 s41, s10, s11
.LBB110_880:
	s_or_b32 exec_lo, exec_lo, s33
	s_delay_alu instid0(SALU_CYCLE_1)
	s_and_not1_b32 s9, s39, exec_lo
	s_and_b32 s10, s41, exec_lo
	s_and_b32 s40, s40, exec_lo
	;; [unrolled: 1-line block ×3, first 2 shown]
	s_or_b32 s39, s9, s10
.LBB110_881:
	s_or_b32 exec_lo, exec_lo, s38
	s_delay_alu instid0(SALU_CYCLE_1)
	s_and_not1_b32 s9, s36, exec_lo
	s_and_b32 s10, s39, exec_lo
	s_and_b32 s38, s40, exec_lo
	;; [unrolled: 1-line block ×3, first 2 shown]
	s_or_b32 s36, s9, s10
.LBB110_882:
	s_or_b32 exec_lo, exec_lo, s37
	s_delay_alu instid0(SALU_CYCLE_1)
	s_and_not1_b32 s9, s34, exec_lo
	s_and_b32 s10, s36, exec_lo
	s_and_b32 s37, s38, exec_lo
	;; [unrolled: 1-line block ×3, first 2 shown]
	s_or_b32 s34, s9, s10
	s_or_b32 exec_lo, exec_lo, s35
	s_mov_b32 s0, 0
	s_and_saveexec_b32 s9, s34
	s_cbranch_execz .LBB110_110
.LBB110_883:
	s_cbranch_execnz .LBB110_885
; %bb.884:
	s_mov_b32 s0, exec_lo
	s_and_not1_b32 s36, s36, exec_lo
	s_or_b32 exec_lo, exec_lo, s9
	s_and_saveexec_b32 s9, s36
	s_delay_alu instid0(SALU_CYCLE_1)
	s_xor_b32 s9, exec_lo, s9
	s_cbranch_execnz .LBB110_111
	s_branch .LBB110_112
.LBB110_885:
	s_trap 2
	s_sendmsg_rtn_b32 s0, sendmsg(MSG_RTN_GET_DOORBELL)
	s_mov_b32 ttmp2, m0
	s_waitcnt lgkmcnt(0)
	s_and_b32 s0, s0, 0x3ff
	s_delay_alu instid0(SALU_CYCLE_1) | instskip(NEXT) | instid1(SALU_CYCLE_1)
	s_bitset1_b32 s0, 10
	s_mov_b32 m0, s0
	s_sendmsg sendmsg(MSG_INTERRUPT)
	s_mov_b32 m0, ttmp2
.LBB110_886:                            ; =>This Inner Loop Header: Depth=1
	s_sethalt 5
	s_branch .LBB110_886
.LBB110_887:
	s_mov_b32 s8, -1
	s_mov_b32 s6, 0
                                        ; implicit-def: $sgpr9
.LBB110_888:
	v_mov_b32_e32 v3, s9
	s_and_not1_b32 vcc_lo, exec_lo, s8
                                        ; implicit-def: $sgpr8
	s_cbranch_vccnz .LBB110_890
; %bb.889:
	v_add_f32_e64 v3, 0x42800000, |s5|
	s_mov_b32 s8, 0
	s_delay_alu instid0(VALU_DEP_1) | instskip(NEXT) | instid1(VALU_DEP_1)
	v_and_b32_e32 v3, 0xff, v3
	v_cmp_ne_u32_e64 s6, 0, v3
.LBB110_890:
	v_mov_b32_e32 v4, s8
	s_delay_alu instid0(VALU_DEP_2)
	s_and_not1_b32 vcc_lo, exec_lo, s6
	s_cbranch_vccnz .LBB110_892
; %bb.891:
	s_lshr_b32 s4, s4, 8
	s_delay_alu instid0(SALU_CYCLE_1) | instskip(NEXT) | instid1(SALU_CYCLE_1)
	s_and_b32 s4, s4, 0x80
	v_or_b32_e32 v4, s4, v3
.LBB110_892:
	s_mov_b32 s4, 0
	global_store_b8 v[0:1], v4, off
.LBB110_893:
	s_and_b32 vcc_lo, exec_lo, s4
	s_cbranch_vccz .LBB110_905
; %bb.894:
	s_lshl_b32 s6, s7, 16
	s_and_b32 s4, 0xffff, s7
	s_and_b32 s5, s6, 0x7fffffff
	s_delay_alu instid0(SALU_CYCLE_1)
	s_cmp_lt_u32 s5, 0x43f00000
	s_cbranch_scc0 .LBB110_897
; %bb.895:
	s_cmp_gt_u32 s5, 0x3c7fffff
	s_cbranch_scc0 .LBB110_898
; %bb.896:
	s_bfe_u32 s8, s4, 0x10004
	s_delay_alu instid0(SALU_CYCLE_1) | instskip(NEXT) | instid1(SALU_CYCLE_1)
	s_add_i32 s8, s6, s8
	s_add_i32 s8, s8, 0x407ffff
	s_delay_alu instid0(SALU_CYCLE_1)
	s_and_b32 s9, s8, 0xff00000
	s_lshr_b32 s8, s8, 20
	s_cmp_lg_u32 s9, 0x7f00000
	s_cselect_b32 s9, s8, 0x7e
	s_mov_b32 s8, 0
	s_branch .LBB110_899
.LBB110_897:
	s_mov_b32 s6, -1
                                        ; implicit-def: $vgpr3
	s_branch .LBB110_902
.LBB110_898:
	s_mov_b32 s8, -1
                                        ; implicit-def: $sgpr9
.LBB110_899:
	v_mov_b32_e32 v3, s9
	s_and_not1_b32 vcc_lo, exec_lo, s8
	s_cbranch_vccnz .LBB110_901
; %bb.900:
	v_add_f32_e64 v3, 0x46800000, |s6|
.LBB110_901:
	s_mov_b32 s6, 0
.LBB110_902:
	s_delay_alu instid0(SALU_CYCLE_1)
	s_and_not1_b32 vcc_lo, exec_lo, s6
	s_cbranch_vccnz .LBB110_904
; %bb.903:
	s_cmp_gt_u32 s5, 0x7f800000
	s_movk_i32 s5, 0x7f
	s_delay_alu instid0(SALU_CYCLE_1) | instskip(NEXT) | instid1(SALU_CYCLE_1)
	s_cselect_b32 s5, s5, 0x7e
	v_mov_b32_e32 v3, s5
.LBB110_904:
	s_lshr_b32 s4, s4, 8
	s_delay_alu instid0(SALU_CYCLE_1)
	s_and_b32 s4, s4, 0x80
	s_delay_alu instid0(VALU_DEP_1) | instid1(SALU_CYCLE_1)
	v_or_b32_e32 v3, s4, v3
	global_store_b8 v[0:1], v3, off
.LBB110_905:
	s_mov_b32 s4, 0
.LBB110_906:
	s_delay_alu instid0(SALU_CYCLE_1)
	s_and_not1_b32 vcc_lo, exec_lo, s4
	s_cbranch_vccnz .LBB110_918
; %bb.907:
	s_lshl_b32 s6, s7, 16
	s_and_b32 s4, 0xffff, s7
	s_and_b32 s5, s6, 0x7fffffff
	s_delay_alu instid0(SALU_CYCLE_1)
	s_cmp_lt_u32 s5, 0x47800000
	s_cbranch_scc0 .LBB110_910
; %bb.908:
	s_cmp_gt_u32 s5, 0x387fffff
	s_cbranch_scc0 .LBB110_911
; %bb.909:
	s_bfe_u32 s8, s4, 0x10005
	s_delay_alu instid0(SALU_CYCLE_1) | instskip(NEXT) | instid1(SALU_CYCLE_1)
	s_add_i32 s8, s6, s8
	s_add_i32 s8, s8, 0x80fffff
	s_delay_alu instid0(SALU_CYCLE_1)
	s_lshr_b32 s9, s8, 21
	s_mov_b32 s8, 0
	s_branch .LBB110_912
.LBB110_910:
	s_mov_b32 s6, -1
                                        ; implicit-def: $vgpr3
	s_branch .LBB110_915
.LBB110_911:
	s_mov_b32 s8, -1
                                        ; implicit-def: $sgpr9
.LBB110_912:
	v_mov_b32_e32 v3, s9
	s_and_not1_b32 vcc_lo, exec_lo, s8
	s_cbranch_vccnz .LBB110_914
; %bb.913:
	v_add_f32_e64 v3, 0x43000000, |s6|
.LBB110_914:
	s_mov_b32 s6, 0
.LBB110_915:
	s_delay_alu instid0(SALU_CYCLE_1)
	s_and_not1_b32 vcc_lo, exec_lo, s6
	s_cbranch_vccnz .LBB110_917
; %bb.916:
	s_cmp_gt_u32 s5, 0x7f800000
	s_movk_i32 s5, 0x7f
	s_delay_alu instid0(SALU_CYCLE_1) | instskip(NEXT) | instid1(SALU_CYCLE_1)
	s_cselect_b32 s5, s5, 0x7c
	v_mov_b32_e32 v3, s5
.LBB110_917:
	s_lshr_b32 s4, s4, 8
	s_delay_alu instid0(SALU_CYCLE_1)
	s_and_b32 s4, s4, 0x80
	s_delay_alu instid0(VALU_DEP_1) | instid1(SALU_CYCLE_1)
	v_or_b32_e32 v3, s4, v3
	global_store_b8 v[0:1], v3, off
.LBB110_918:
	s_mov_b32 s4, 0
.LBB110_919:
	s_delay_alu instid0(SALU_CYCLE_1)
	s_and_not1_b32 vcc_lo, exec_lo, s4
	s_mov_b32 s4, 0
	s_cbranch_vccnz .LBB110_926
; %bb.920:
	v_cmp_lt_i16_e32 vcc_lo, 14, v2
	s_mov_b32 s4, -1
	s_cbranch_vccz .LBB110_924
; %bb.921:
	v_cmp_eq_u16_e32 vcc_lo, 15, v2
	s_mov_b32 s0, -1
	s_cbranch_vccz .LBB110_923
; %bb.922:
	v_mov_b32_e32 v3, s7
	s_mov_b32 s0, 0
	global_store_b16 v[0:1], v3, off
.LBB110_923:
	s_mov_b32 s4, 0
.LBB110_924:
	s_delay_alu instid0(SALU_CYCLE_1)
	s_and_b32 vcc_lo, exec_lo, s4
	s_mov_b32 s4, 0
	s_cbranch_vccz .LBB110_926
; %bb.925:
	v_cmp_ne_u16_e64 s0, 11, v2
	s_mov_b32 s4, -1
.LBB110_926:
	s_delay_alu instid0(VALU_DEP_1)
	s_and_b32 vcc_lo, exec_lo, s0
	s_cbranch_vccnz .LBB110_928
.LBB110_927:
	s_mov_b32 s0, 0
	s_branch .LBB110_680
.LBB110_928:
	s_cbranch_execnz .LBB110_930
; %bb.929:
	s_mov_b32 s4, 0
	s_or_b32 s3, s3, exec_lo
	s_branch .LBB110_927
.LBB110_930:
	s_trap 2
	s_sendmsg_rtn_b32 s0, sendmsg(MSG_RTN_GET_DOORBELL)
	s_mov_b32 ttmp2, m0
	s_waitcnt lgkmcnt(0)
	s_and_b32 s0, s0, 0x3ff
	s_delay_alu instid0(SALU_CYCLE_1) | instskip(NEXT) | instid1(SALU_CYCLE_1)
	s_bitset1_b32 s0, 10
	s_mov_b32 m0, s0
	s_sendmsg sendmsg(MSG_INTERRUPT)
	s_mov_b32 m0, ttmp2
.LBB110_931:                            ; =>This Inner Loop Header: Depth=1
	s_sethalt 5
	s_branch .LBB110_931
	.section	.rodata,"a",@progbits
	.p2align	6, 0x0
	.amdhsa_kernel _ZN2at6native32elementwise_kernel_manual_unrollILi128ELi4EZNS0_15gpu_kernel_implINS0_11FillFunctorIN3c108BFloat16EEEEEvRNS_18TensorIteratorBaseERKT_EUlibE_EEviT1_
		.amdhsa_group_segment_fixed_size 0
		.amdhsa_private_segment_fixed_size 0
		.amdhsa_kernarg_size 24
		.amdhsa_user_sgpr_count 15
		.amdhsa_user_sgpr_dispatch_ptr 0
		.amdhsa_user_sgpr_queue_ptr 0
		.amdhsa_user_sgpr_kernarg_segment_ptr 1
		.amdhsa_user_sgpr_dispatch_id 0
		.amdhsa_user_sgpr_private_segment_size 0
		.amdhsa_wavefront_size32 1
		.amdhsa_uses_dynamic_stack 0
		.amdhsa_enable_private_segment 0
		.amdhsa_system_sgpr_workgroup_id_x 1
		.amdhsa_system_sgpr_workgroup_id_y 0
		.amdhsa_system_sgpr_workgroup_id_z 0
		.amdhsa_system_sgpr_workgroup_info 0
		.amdhsa_system_vgpr_workitem_id 0
		.amdhsa_next_free_vgpr 18
		.amdhsa_next_free_sgpr 42
		.amdhsa_reserve_vcc 1
		.amdhsa_float_round_mode_32 0
		.amdhsa_float_round_mode_16_64 0
		.amdhsa_float_denorm_mode_32 3
		.amdhsa_float_denorm_mode_16_64 3
		.amdhsa_dx10_clamp 1
		.amdhsa_ieee_mode 1
		.amdhsa_fp16_overflow 0
		.amdhsa_workgroup_processor_mode 1
		.amdhsa_memory_ordered 1
		.amdhsa_forward_progress 0
		.amdhsa_shared_vgpr_count 0
		.amdhsa_exception_fp_ieee_invalid_op 0
		.amdhsa_exception_fp_denorm_src 0
		.amdhsa_exception_fp_ieee_div_zero 0
		.amdhsa_exception_fp_ieee_overflow 0
		.amdhsa_exception_fp_ieee_underflow 0
		.amdhsa_exception_fp_ieee_inexact 0
		.amdhsa_exception_int_div_zero 0
	.end_amdhsa_kernel
	.section	.text._ZN2at6native32elementwise_kernel_manual_unrollILi128ELi4EZNS0_15gpu_kernel_implINS0_11FillFunctorIN3c108BFloat16EEEEEvRNS_18TensorIteratorBaseERKT_EUlibE_EEviT1_,"axG",@progbits,_ZN2at6native32elementwise_kernel_manual_unrollILi128ELi4EZNS0_15gpu_kernel_implINS0_11FillFunctorIN3c108BFloat16EEEEEvRNS_18TensorIteratorBaseERKT_EUlibE_EEviT1_,comdat
.Lfunc_end110:
	.size	_ZN2at6native32elementwise_kernel_manual_unrollILi128ELi4EZNS0_15gpu_kernel_implINS0_11FillFunctorIN3c108BFloat16EEEEEvRNS_18TensorIteratorBaseERKT_EUlibE_EEviT1_, .Lfunc_end110-_ZN2at6native32elementwise_kernel_manual_unrollILi128ELi4EZNS0_15gpu_kernel_implINS0_11FillFunctorIN3c108BFloat16EEEEEvRNS_18TensorIteratorBaseERKT_EUlibE_EEviT1_
                                        ; -- End function
	.section	.AMDGPU.csdata,"",@progbits
; Kernel info:
; codeLenInByte = 14588
; NumSgprs: 44
; NumVgprs: 18
; ScratchSize: 0
; MemoryBound: 0
; FloatMode: 240
; IeeeMode: 1
; LDSByteSize: 0 bytes/workgroup (compile time only)
; SGPRBlocks: 5
; VGPRBlocks: 2
; NumSGPRsForWavesPerEU: 44
; NumVGPRsForWavesPerEU: 18
; Occupancy: 16
; WaveLimiterHint : 0
; COMPUTE_PGM_RSRC2:SCRATCH_EN: 0
; COMPUTE_PGM_RSRC2:USER_SGPR: 15
; COMPUTE_PGM_RSRC2:TRAP_HANDLER: 0
; COMPUTE_PGM_RSRC2:TGID_X_EN: 1
; COMPUTE_PGM_RSRC2:TGID_Y_EN: 0
; COMPUTE_PGM_RSRC2:TGID_Z_EN: 0
; COMPUTE_PGM_RSRC2:TIDIG_COMP_CNT: 0
	.section	.text._ZN2at6native32elementwise_kernel_manual_unrollILi128ELi4EZNS0_15gpu_kernel_implINS0_11FillFunctorIN3c108BFloat16EEEEEvRNS_18TensorIteratorBaseERKT_EUlibE0_EEviT1_,"axG",@progbits,_ZN2at6native32elementwise_kernel_manual_unrollILi128ELi4EZNS0_15gpu_kernel_implINS0_11FillFunctorIN3c108BFloat16EEEEEvRNS_18TensorIteratorBaseERKT_EUlibE0_EEviT1_,comdat
	.protected	_ZN2at6native32elementwise_kernel_manual_unrollILi128ELi4EZNS0_15gpu_kernel_implINS0_11FillFunctorIN3c108BFloat16EEEEEvRNS_18TensorIteratorBaseERKT_EUlibE0_EEviT1_ ; -- Begin function _ZN2at6native32elementwise_kernel_manual_unrollILi128ELi4EZNS0_15gpu_kernel_implINS0_11FillFunctorIN3c108BFloat16EEEEEvRNS_18TensorIteratorBaseERKT_EUlibE0_EEviT1_
	.globl	_ZN2at6native32elementwise_kernel_manual_unrollILi128ELi4EZNS0_15gpu_kernel_implINS0_11FillFunctorIN3c108BFloat16EEEEEvRNS_18TensorIteratorBaseERKT_EUlibE0_EEviT1_
	.p2align	8
	.type	_ZN2at6native32elementwise_kernel_manual_unrollILi128ELi4EZNS0_15gpu_kernel_implINS0_11FillFunctorIN3c108BFloat16EEEEEvRNS_18TensorIteratorBaseERKT_EUlibE0_EEviT1_,@function
_ZN2at6native32elementwise_kernel_manual_unrollILi128ELi4EZNS0_15gpu_kernel_implINS0_11FillFunctorIN3c108BFloat16EEEEEvRNS_18TensorIteratorBaseERKT_EUlibE0_EEviT1_: ; @_ZN2at6native32elementwise_kernel_manual_unrollILi128ELi4EZNS0_15gpu_kernel_implINS0_11FillFunctorIN3c108BFloat16EEEEEvRNS_18TensorIteratorBaseERKT_EUlibE0_EEviT1_
; %bb.0:
	s_clause 0x1
	s_load_b32 s20, s[0:1], 0x8
	s_load_b32 s53, s[0:1], 0x0
	v_lshl_or_b32 v12, s15, 9, v0
	s_or_b32 s2, s0, 8
	s_mov_b32 s16, -1
	s_mov_b32 s22, 0
	s_mov_b32 s3, s1
	v_or_b32_e32 v4, 0x180, v12
	s_mov_b32 s8, 0
	s_mov_b32 s4, exec_lo
	s_waitcnt lgkmcnt(0)
	s_add_i32 s21, s20, -1
	s_delay_alu instid0(SALU_CYCLE_1)
	s_cmp_gt_u32 s21, 1
	s_cselect_b32 s23, -1, 0
	v_cmpx_le_i32_e64 s53, v4
	s_xor_b32 s24, exec_lo, s4
	s_cbranch_execz .LBB111_159
; %bb.1:
	s_clause 0x1
	s_load_b32 s4, s[0:1], 0x118
	s_load_b32 s26, s[2:3], 0x110
	s_cmp_lg_u32 s20, 0
	s_clause 0x1
	s_load_b64 s[10:11], s[2:3], 0xc4
	s_load_b64 s[8:9], s[2:3], 0x108
	s_cselect_b32 s55, -1, 0
	s_add_u32 s14, s2, 0xc4
	s_addc_u32 s15, s3, 0
	s_min_u32 s54, s21, 15
	s_cmp_gt_u32 s20, 1
	s_mov_b32 s58, 0
	s_cselect_b32 s52, -1, 0
	s_mov_b32 s56, 0
	s_mov_b32 s57, exec_lo
	s_waitcnt lgkmcnt(0)
	s_lshr_b32 s51, s4, 16
	s_and_b32 s50, s26, 0xffff
	s_lshl_b32 s25, s26, 16
	s_bfe_u32 s17, s26, 0x90007
	s_bfe_u32 s4, s50, 0x80007
	s_or_b32 s5, s17, s25
	s_cmpk_eq_i32 s4, 0xff
	v_add_f32_e64 v0, 0x46000000, |s25|
	s_cselect_b32 s49, -1, 0
	s_bitcmp1_b32 s26, 6
	v_trunc_f32_e32 v2, s25
	s_cselect_b32 s4, -1, 0
	s_and_b32 s5, s5, 0x3f00ff
	v_readfirstlane_b32 s43, v0
	s_cmp_lg_u32 s5, 0
	v_add_f32_e64 v0, 0x42800000, |s25|
	s_cselect_b32 s5, -1, 0
	s_and_b32 s18, s25, 0x7fffffff
	s_and_b32 s19, s4, s5
	s_cmp_lt_u32 s18, 0x43800000
	v_cndmask_b32_e64 v3, 0, 1, s19
	v_mul_f32_e32 v1, 0x2f800000, v2
	s_cselect_b32 s47, -1, 0
	s_cmp_gt_u32 s18, 0x3bffffff
	v_readfirstlane_b32 s31, v0
	v_add_nc_u32_e32 v16, s17, v3
	v_floor_f32_e32 v0, v1
	s_cselect_b32 s44, -1, 0
	s_bfe_u32 s4, s26, 0x10004
	s_and_b32 s5, s43, 0xff
	s_or_b32 s35, s25, s4
	v_fmamk_f32 v1, v0, 0xcf800000, v2
	s_add_i32 s4, s35, 0x487ffff
	v_cvt_u32_f32_e32 v7, v0
	s_lshr_b32 s45, s4, 20
	s_cmp_lg_u32 s5, 0
	v_cvt_u32_f32_e32 v6, v1
	v_cvt_f64_f32_e32 v[0:1], s25
	s_cselect_b32 s48, -1, 0
	s_lshr_b32 s27, s26, 8
	v_mul_f32_e64 v4, 0x2f800000, |v2|
	s_and_b32 s27, s27, 0x80
	s_cmp_gt_u32 s18, 0x477fffff
	v_add_f32_e64 v5, 0x46800000, |s25|
	s_cselect_b32 s28, -1, 0
	s_cmp_lt_u32 s18, 0x47800000
	v_floor_f32_e32 v3, v4
	s_cselect_b32 s38, -1, 0
	s_cmp_gt_u32 s18, 0x37ffffff
	v_readfirstlane_b32 s41, v5
	s_cselect_b32 s33, -1, 0
	s_bfe_u32 s29, s26, 0x10005
	s_and_b32 s30, s31, 0xff
	s_or_b32 s36, s25, s29
	v_add_f32_e64 v4, 0x43000000, |s25|
	s_add_i32 s29, s36, 0x88fffff
	v_fma_f32 v5, 0xcf800000, v3, |v2|
	s_lshr_b32 s34, s29, 21
	s_cmp_lg_u32 s30, 0
	s_clause 0x1
	s_load_b128 s[4:7], s[2:3], 0x4
	s_load_b64 s[12:13], s[2:3], 0x14
	s_cselect_b32 s39, -1, 0
	s_cmp_gt_u32 s18, 0x43efffff
	v_readfirstlane_b32 s37, v4
	s_cselect_b32 s29, -1, 0
	s_cmp_lt_u32 s18, 0x3c800000
	v_cvt_u32_f32_e32 v4, v5
	v_ashrrev_i32_e32 v2, 31, v2
	v_and_b32_e64 v5, 0x7fff, s26
	s_cselect_b32 s30, -1, 0
	s_add_i32 s35, s35, 0x407ffff
	v_cvt_u32_f32_e32 v3, v3
	s_lshr_b32 s19, s35, 20
	s_and_b32 s35, s35, 0xff00000
	v_xor_b32_e32 v4, v4, v2
	v_cmp_ne_u16_e32 vcc_lo, 0, v5
	s_cmp_lg_u32 s35, 0x7f00000
	v_cvt_f16_f32_e32 v11, s25
	v_xor_b32_e32 v3, v3, v2
	s_cselect_b32 s40, s19, 0x7e
	s_cmp_lt_u32 s18, 0x38800000
	v_cndmask_b32_e64 v14, 0, 1, vcc_lo
	s_cselect_b32 s35, -1, 0
	s_add_i32 s36, s36, 0x80fffff
	v_sub_co_u32 v4, vcc_lo, v4, v2
	v_cvt_u32_f32_e32 v15, s25
	s_lshr_b32 s36, s36, 21
	v_and_b32_e32 v13, 0xffff, v11
	v_sub_co_ci_u32_e32 v5, vcc_lo, v3, v2, vcc_lo
	v_cvt_i32_f32_e32 v10, s25
	s_cmp_gt_u32 s18, 0x7f800000
	s_movk_i32 s17, 0x7f
	s_movk_i32 s18, 0x7c
	s_cselect_b32 s46, s17, 0x7e
	s_cselect_b32 s42, 0x7f, s18
	v_cmpx_gt_i32_e64 s53, v12
	s_cbranch_execz .LBB111_110
; %bb.2:
	s_and_not1_b32 vcc_lo, exec_lo, s23
	s_cbranch_vccnz .LBB111_7
; %bb.3:
	v_mov_b32_e32 v2, 0
	s_and_not1_b32 vcc_lo, exec_lo, s55
	s_cbranch_vccnz .LBB111_12
; %bb.4:
	s_add_i32 s59, s54, 1
	s_cmp_eq_u32 s21, 2
	s_cbranch_scc1 .LBB111_8
; %bb.5:
	v_dual_mov_b32 v2, 0 :: v_dual_mov_b32 v3, v12
	s_and_b32 s56, s59, 28
	s_mov_b32 s60, 0
	s_mov_b64 s[16:17], s[2:3]
	s_mov_b64 s[18:19], s[14:15]
.LBB111_6:                              ; =>This Inner Loop Header: Depth=1
	s_clause 0x1
	s_load_b256 s[64:71], s[16:17], 0x4
	s_load_b128 s[72:75], s[16:17], 0x24
	s_load_b128 s[76:79], s[18:19], 0x0
	s_add_u32 s16, s16, 48
	s_addc_u32 s17, s17, 0
	s_add_i32 s60, s60, 4
	s_add_u32 s18, s18, 16
	s_addc_u32 s19, s19, 0
	s_cmp_lg_u32 s56, s60
	s_waitcnt lgkmcnt(0)
	v_mul_hi_u32 v8, s65, v3
	s_delay_alu instid0(VALU_DEP_1) | instskip(NEXT) | instid1(VALU_DEP_1)
	v_add_nc_u32_e32 v8, v3, v8
	v_lshrrev_b32_e32 v8, s66, v8
	s_delay_alu instid0(VALU_DEP_1) | instskip(SKIP_1) | instid1(VALU_DEP_2)
	v_mul_hi_u32 v9, s68, v8
	v_mul_lo_u32 v19, v8, s64
	v_add_nc_u32_e32 v9, v8, v9
	s_delay_alu instid0(VALU_DEP_2) | instskip(NEXT) | instid1(VALU_DEP_2)
	v_sub_nc_u32_e32 v19, v3, v19
	v_lshrrev_b32_e32 v9, s69, v9
	s_delay_alu instid0(VALU_DEP_2) | instskip(NEXT) | instid1(VALU_DEP_2)
	v_mul_lo_u32 v19, v19, s76
	v_mul_hi_u32 v17, s71, v9
	v_mul_lo_u32 v20, v9, s67
	s_delay_alu instid0(VALU_DEP_2) | instskip(NEXT) | instid1(VALU_DEP_2)
	v_add_nc_u32_e32 v17, v9, v17
	v_sub_nc_u32_e32 v8, v8, v20
	s_delay_alu instid0(VALU_DEP_2) | instskip(NEXT) | instid1(VALU_DEP_2)
	v_lshrrev_b32_e32 v17, s72, v17
	v_mul_lo_u32 v8, v8, s77
	s_delay_alu instid0(VALU_DEP_2) | instskip(NEXT) | instid1(VALU_DEP_2)
	v_mul_hi_u32 v18, s74, v17
	v_add3_u32 v2, v19, v2, v8
	s_delay_alu instid0(VALU_DEP_2) | instskip(NEXT) | instid1(VALU_DEP_1)
	v_add_nc_u32_e32 v18, v17, v18
	v_lshrrev_b32_e32 v3, s75, v18
	v_mul_lo_u32 v18, v17, s70
	s_delay_alu instid0(VALU_DEP_2) | instskip(NEXT) | instid1(VALU_DEP_2)
	v_mul_lo_u32 v21, v3, s73
	v_sub_nc_u32_e32 v9, v9, v18
	s_delay_alu instid0(VALU_DEP_2) | instskip(NEXT) | instid1(VALU_DEP_2)
	v_sub_nc_u32_e32 v17, v17, v21
	v_mul_lo_u32 v9, v9, s78
	s_delay_alu instid0(VALU_DEP_2) | instskip(NEXT) | instid1(VALU_DEP_1)
	v_mul_lo_u32 v17, v17, s79
	v_add3_u32 v2, v9, v2, v17
	s_cbranch_scc1 .LBB111_6
	s_branch .LBB111_9
.LBB111_7:
                                        ; implicit-def: $vgpr2
	s_and_not1_b32 vcc_lo, exec_lo, s16
	s_cbranch_vccz .LBB111_13
	s_branch .LBB111_15
.LBB111_8:
	v_mov_b32_e32 v3, v12
.LBB111_9:
	s_and_b32 s59, s59, 3
	s_delay_alu instid0(SALU_CYCLE_1)
	s_cmp_eq_u32 s59, 0
	s_cbranch_scc1 .LBB111_12
; %bb.10:
	s_lshl_b32 s16, s56, 2
	s_mul_i32 s18, s56, 12
	s_add_u32 s16, s16, s2
	s_addc_u32 s17, s3, 0
	s_add_u32 s16, s16, 0xc4
	s_addc_u32 s17, s17, 0
	;; [unrolled: 2-line block ×3, first 2 shown]
	.p2align	6
.LBB111_11:                             ; =>This Inner Loop Header: Depth=1
	s_clause 0x1
	s_load_b64 s[60:61], s[18:19], 0x4
	s_load_b32 s56, s[18:19], 0xc
	s_add_u32 s18, s18, 12
	s_addc_u32 s19, s19, 0
	s_waitcnt lgkmcnt(0)
	v_mul_hi_u32 v8, s61, v3
	s_load_b32 s61, s[16:17], 0x0
	s_add_u32 s16, s16, 4
	s_addc_u32 s17, s17, 0
	s_add_i32 s59, s59, -1
	s_delay_alu instid0(SALU_CYCLE_1) | instskip(NEXT) | instid1(VALU_DEP_1)
	s_cmp_lg_u32 s59, 0
	v_add_nc_u32_e32 v8, v3, v8
	s_delay_alu instid0(VALU_DEP_1) | instskip(NEXT) | instid1(VALU_DEP_1)
	v_lshrrev_b32_e32 v17, s56, v8
	v_mul_lo_u32 v8, v17, s60
	s_delay_alu instid0(VALU_DEP_1) | instskip(SKIP_1) | instid1(VALU_DEP_1)
	v_sub_nc_u32_e32 v3, v3, v8
	s_waitcnt lgkmcnt(0)
	v_mad_u64_u32 v[8:9], null, v3, s61, v[2:3]
	s_delay_alu instid0(VALU_DEP_1)
	v_dual_mov_b32 v3, v17 :: v_dual_mov_b32 v2, v8
	s_cbranch_scc1 .LBB111_11
.LBB111_12:
	s_cbranch_execnz .LBB111_15
.LBB111_13:
	s_waitcnt lgkmcnt(0)
	v_mul_hi_u32 v2, s5, v12
	s_and_not1_b32 vcc_lo, exec_lo, s52
	s_delay_alu instid0(VALU_DEP_1) | instskip(NEXT) | instid1(VALU_DEP_1)
	v_add_nc_u32_e32 v2, v12, v2
	v_lshrrev_b32_e32 v3, s6, v2
	s_delay_alu instid0(VALU_DEP_1) | instskip(NEXT) | instid1(VALU_DEP_1)
	v_mul_lo_u32 v2, v3, s4
	v_sub_nc_u32_e32 v2, v12, v2
	s_delay_alu instid0(VALU_DEP_1)
	v_mul_lo_u32 v2, v2, s10
	s_cbranch_vccnz .LBB111_15
; %bb.14:
	v_mul_hi_u32 v8, s12, v3
	s_delay_alu instid0(VALU_DEP_1) | instskip(NEXT) | instid1(VALU_DEP_1)
	v_add_nc_u32_e32 v8, v3, v8
	v_lshrrev_b32_e32 v8, s13, v8
	s_delay_alu instid0(VALU_DEP_1) | instskip(NEXT) | instid1(VALU_DEP_1)
	v_mul_lo_u32 v8, v8, s7
	v_sub_nc_u32_e32 v3, v3, v8
	s_delay_alu instid0(VALU_DEP_1) | instskip(NEXT) | instid1(VALU_DEP_1)
	v_mad_u64_u32 v[8:9], null, v3, s11, v[2:3]
	v_mov_b32_e32 v2, v8
.LBB111_15:
	v_and_b32_e64 v17, 0xff, s51
	s_delay_alu instid0(VALU_DEP_2) | instskip(NEXT) | instid1(VALU_DEP_1)
	v_add_co_u32 v8, s17, s8, v2
	v_add_co_ci_u32_e64 v9, null, s9, 0, s17
	s_delay_alu instid0(VALU_DEP_3)
	v_cmp_gt_i16_e32 vcc_lo, 11, v17
	s_mov_b32 s16, 0
	s_mov_b32 s18, -1
	s_mov_b32 s17, 0
	s_cbranch_vccnz .LBB111_69
; %bb.16:
	v_cmp_lt_i16_e32 vcc_lo, 25, v17
	s_cbranch_vccz .LBB111_44
; %bb.17:
	v_cmp_lt_i16_e32 vcc_lo, 28, v17
	s_cbranch_vccz .LBB111_30
; %bb.18:
	v_cmp_lt_i16_e32 vcc_lo, 43, v17
	s_cbranch_vccz .LBB111_26
; %bb.19:
	v_cmp_lt_i16_e32 vcc_lo, 45, v17
	s_cbranch_vccz .LBB111_22
; %bb.20:
	v_cmp_eq_u16_e32 vcc_lo, 46, v17
	s_mov_b32 s18, 0
	s_mov_b32 s16, -1
	s_cbranch_vccz .LBB111_22
; %bb.21:
	v_mov_b32_e32 v2, s50
	s_mov_b32 s17, -1
	s_mov_b32 s16, 0
	global_store_b32 v[8:9], v2, off
.LBB111_22:
	s_and_b32 vcc_lo, exec_lo, s18
	s_cbranch_vccz .LBB111_25
; %bb.23:
	v_cmp_eq_u16_e32 vcc_lo, 44, v17
	s_mov_b32 s16, -1
	s_cbranch_vccz .LBB111_25
; %bb.24:
	v_cndmask_b32_e64 v2, v16, 0xff, s49
	s_mov_b32 s17, -1
	s_mov_b32 s16, 0
	global_store_b8 v[8:9], v2, off
.LBB111_25:
	s_mov_b32 s18, 0
.LBB111_26:
	s_delay_alu instid0(SALU_CYCLE_1)
	s_and_b32 vcc_lo, exec_lo, s18
	s_cbranch_vccz .LBB111_29
; %bb.27:
	v_cmp_eq_u16_e32 vcc_lo, 29, v17
	s_mov_b32 s16, -1
	s_cbranch_vccz .LBB111_29
; %bb.28:
	s_mov_b32 s17, -1
	s_mov_b32 s16, 0
	global_store_b64 v[8:9], v[6:7], off
.LBB111_29:
	s_mov_b32 s18, 0
.LBB111_30:
	s_delay_alu instid0(SALU_CYCLE_1)
	s_and_b32 vcc_lo, exec_lo, s18
	s_cbranch_vccz .LBB111_43
; %bb.31:
	v_cmp_gt_i16_e32 vcc_lo, 27, v17
	s_mov_b32 s17, -1
	s_cbranch_vccnz .LBB111_37
; %bb.32:
	v_cmp_lt_i16_e32 vcc_lo, 27, v17
	s_cbranch_vccz .LBB111_34
; %bb.33:
	s_mov_b32 s17, 0
	global_store_b32 v[8:9], v15, off
.LBB111_34:
	s_and_not1_b32 vcc_lo, exec_lo, s17
	s_cbranch_vccnz .LBB111_36
; %bb.35:
	global_store_b16 v[8:9], v15, off
.LBB111_36:
	s_mov_b32 s17, 0
.LBB111_37:
	s_delay_alu instid0(SALU_CYCLE_1)
	s_and_not1_b32 vcc_lo, exec_lo, s17
	s_cbranch_vccnz .LBB111_42
; %bb.38:
	s_and_not1_b32 vcc_lo, exec_lo, s47
	s_movk_i32 s17, 0x80
	s_cbranch_vccnz .LBB111_41
; %bb.39:
	s_or_b32 s17, s44, s48
	s_delay_alu instid0(SALU_CYCLE_1)
	s_and_not1_b32 vcc_lo, exec_lo, s17
	s_mov_b32 s17, 0
	s_cbranch_vccnz .LBB111_41
; %bb.40:
	s_and_b32 s17, s44, exec_lo
	s_cselect_b32 s17, s45, s43
	s_delay_alu instid0(SALU_CYCLE_1)
	s_or_b32 s17, s17, s27
.LBB111_41:
	s_delay_alu instid0(SALU_CYCLE_1)
	v_mov_b32_e32 v2, s17
	global_store_b8 v[8:9], v2, off
.LBB111_42:
	s_mov_b32 s17, -1
.LBB111_43:
	s_mov_b32 s18, 0
.LBB111_44:
	s_delay_alu instid0(SALU_CYCLE_1)
	s_and_b32 vcc_lo, exec_lo, s18
	s_cbranch_vccz .LBB111_66
; %bb.45:
	v_cmp_lt_i16_e32 vcc_lo, 22, v17
	s_mov_b32 s18, -1
	s_cbranch_vccz .LBB111_58
; %bb.46:
	v_cmp_gt_i16_e32 vcc_lo, 24, v17
	s_mov_b32 s17, -1
	s_cbranch_vccnz .LBB111_55
; %bb.47:
	v_cmp_lt_i16_e32 vcc_lo, 24, v17
	s_cbranch_vccz .LBB111_52
; %bb.48:
	s_and_not1_b32 vcc_lo, exec_lo, s38
	s_movk_i32 s17, 0x80
	s_cbranch_vccnz .LBB111_51
; %bb.49:
	s_or_b32 s17, s33, s39
	s_delay_alu instid0(SALU_CYCLE_1)
	s_and_not1_b32 vcc_lo, exec_lo, s17
	s_mov_b32 s17, 0
	s_cbranch_vccnz .LBB111_51
; %bb.50:
	s_and_b32 s17, s33, exec_lo
	s_cselect_b32 s17, s34, s31
	s_delay_alu instid0(SALU_CYCLE_1)
	s_or_b32 s17, s17, s27
.LBB111_51:
	s_delay_alu instid0(SALU_CYCLE_1)
	v_mov_b32_e32 v2, s17
	s_mov_b32 s17, 0
	global_store_b8 v[8:9], v2, off
.LBB111_52:
	s_and_b32 vcc_lo, exec_lo, s17
	s_cbranch_vccz .LBB111_54
; %bb.53:
	s_and_b32 s17, s30, exec_lo
	s_cselect_b32 s17, s41, s40
	s_and_b32 s18, s29, exec_lo
	s_cselect_b32 s17, s46, s17
	s_delay_alu instid0(SALU_CYCLE_1) | instskip(NEXT) | instid1(SALU_CYCLE_1)
	s_or_b32 s17, s17, s27
	v_mov_b32_e32 v2, s17
	global_store_b8 v[8:9], v2, off
.LBB111_54:
	s_mov_b32 s17, 0
.LBB111_55:
	s_delay_alu instid0(SALU_CYCLE_1)
	s_and_not1_b32 vcc_lo, exec_lo, s17
	s_cbranch_vccnz .LBB111_57
; %bb.56:
	s_and_b32 s17, s35, exec_lo
	s_cselect_b32 s17, s37, s36
	s_and_b32 s18, s28, exec_lo
	s_cselect_b32 s17, s42, s17
	s_delay_alu instid0(SALU_CYCLE_1) | instskip(NEXT) | instid1(SALU_CYCLE_1)
	s_or_b32 s17, s17, s27
	v_mov_b32_e32 v2, s17
	global_store_b8 v[8:9], v2, off
.LBB111_57:
	s_mov_b32 s18, 0
	s_mov_b32 s17, -1
.LBB111_58:
	s_and_not1_b32 vcc_lo, exec_lo, s18
	s_cbranch_vccnz .LBB111_66
; %bb.59:
	v_cmp_lt_i16_e32 vcc_lo, 14, v17
	s_mov_b32 s18, -1
	s_cbranch_vccz .LBB111_63
; %bb.60:
	v_cmp_eq_u16_e32 vcc_lo, 15, v17
	s_mov_b32 s16, -1
	s_cbranch_vccz .LBB111_62
; %bb.61:
	v_mov_b32_e32 v2, s26
	s_mov_b32 s17, -1
	s_mov_b32 s16, 0
	global_store_b16 v[8:9], v2, off
.LBB111_62:
	s_mov_b32 s18, 0
.LBB111_63:
	s_delay_alu instid0(SALU_CYCLE_1)
	s_and_b32 vcc_lo, exec_lo, s18
	s_cbranch_vccz .LBB111_66
; %bb.64:
	v_cmp_eq_u16_e32 vcc_lo, 11, v17
	s_mov_b32 s16, -1
	s_cbranch_vccz .LBB111_66
; %bb.65:
	s_mov_b32 s17, -1
	s_mov_b32 s16, 0
	global_store_b8 v[8:9], v14, off
.LBB111_66:
.LBB111_67:
	s_and_not1_b32 vcc_lo, exec_lo, s17
	s_cbranch_vccnz .LBB111_108
.LBB111_68:
	v_add_nc_u32_e32 v12, 0x80, v12
	s_mov_b32 s17, -1
	s_branch .LBB111_109
.LBB111_69:
	s_and_b32 vcc_lo, exec_lo, s18
	s_cbranch_vccz .LBB111_67
; %bb.70:
	v_cmp_gt_i16_e32 vcc_lo, 5, v17
	s_mov_b32 s17, -1
	s_cbranch_vccnz .LBB111_91
; %bb.71:
	v_cmp_gt_i16_e32 vcc_lo, 8, v17
	s_cbranch_vccnz .LBB111_81
; %bb.72:
	v_cmp_gt_i16_e32 vcc_lo, 9, v17
	s_cbranch_vccnz .LBB111_78
; %bb.73:
	v_cmp_lt_i16_e32 vcc_lo, 9, v17
	s_cbranch_vccz .LBB111_75
; %bb.74:
	v_mov_b32_e32 v2, 0
	s_mov_b32 s17, 0
	s_delay_alu instid0(VALU_DEP_1)
	v_mov_b32_e32 v3, v2
	global_store_b128 v[8:9], v[0:3], off
.LBB111_75:
	s_and_not1_b32 vcc_lo, exec_lo, s17
	s_cbranch_vccnz .LBB111_77
; %bb.76:
	v_dual_mov_b32 v2, s25 :: v_dual_mov_b32 v3, 0
	global_store_b64 v[8:9], v[2:3], off
.LBB111_77:
	s_mov_b32 s17, 0
.LBB111_78:
	s_delay_alu instid0(SALU_CYCLE_1)
	s_and_not1_b32 vcc_lo, exec_lo, s17
	s_cbranch_vccnz .LBB111_80
; %bb.79:
	global_store_b32 v[8:9], v13, off
.LBB111_80:
	s_mov_b32 s17, 0
.LBB111_81:
	s_delay_alu instid0(SALU_CYCLE_1)
	s_and_not1_b32 vcc_lo, exec_lo, s17
	s_cbranch_vccnz .LBB111_90
; %bb.82:
	v_cmp_gt_i16_e32 vcc_lo, 6, v17
	s_mov_b32 s17, -1
	s_cbranch_vccnz .LBB111_88
; %bb.83:
	v_cmp_lt_i16_e32 vcc_lo, 6, v17
	s_cbranch_vccz .LBB111_85
; %bb.84:
	s_mov_b32 s17, 0
	global_store_b64 v[8:9], v[0:1], off
.LBB111_85:
	s_and_not1_b32 vcc_lo, exec_lo, s17
	s_cbranch_vccnz .LBB111_87
; %bb.86:
	v_mov_b32_e32 v2, s25
	global_store_b32 v[8:9], v2, off
.LBB111_87:
	s_mov_b32 s17, 0
.LBB111_88:
	s_delay_alu instid0(SALU_CYCLE_1)
	s_and_not1_b32 vcc_lo, exec_lo, s17
	s_cbranch_vccnz .LBB111_90
; %bb.89:
	global_store_b16 v[8:9], v11, off
.LBB111_90:
	s_mov_b32 s17, 0
.LBB111_91:
	s_delay_alu instid0(SALU_CYCLE_1)
	s_and_not1_b32 vcc_lo, exec_lo, s17
	s_cbranch_vccnz .LBB111_107
; %bb.92:
	v_cmp_gt_i16_e32 vcc_lo, 2, v17
	s_mov_b32 s17, -1
	s_cbranch_vccnz .LBB111_102
; %bb.93:
	v_cmp_gt_i16_e32 vcc_lo, 3, v17
	s_cbranch_vccnz .LBB111_99
; %bb.94:
	v_cmp_lt_i16_e32 vcc_lo, 3, v17
	s_cbranch_vccz .LBB111_96
; %bb.95:
	s_mov_b32 s17, 0
	global_store_b64 v[8:9], v[4:5], off
.LBB111_96:
	s_and_not1_b32 vcc_lo, exec_lo, s17
	s_cbranch_vccnz .LBB111_98
; %bb.97:
	global_store_b32 v[8:9], v10, off
.LBB111_98:
	s_mov_b32 s17, 0
.LBB111_99:
	s_delay_alu instid0(SALU_CYCLE_1)
	s_and_not1_b32 vcc_lo, exec_lo, s17
	s_cbranch_vccnz .LBB111_101
; %bb.100:
	global_store_b16 v[8:9], v10, off
.LBB111_101:
	s_mov_b32 s17, 0
.LBB111_102:
	s_delay_alu instid0(SALU_CYCLE_1)
	s_and_not1_b32 vcc_lo, exec_lo, s17
	s_cbranch_vccnz .LBB111_107
; %bb.103:
	v_cmp_lt_i16_e32 vcc_lo, 0, v17
	s_mov_b32 s17, -1
	s_cbranch_vccz .LBB111_105
; %bb.104:
	s_mov_b32 s17, 0
	global_store_b8 v[8:9], v10, off
.LBB111_105:
	s_and_not1_b32 vcc_lo, exec_lo, s17
	s_cbranch_vccnz .LBB111_107
; %bb.106:
	global_store_b8 v[8:9], v4, off
.LBB111_107:
	s_branch .LBB111_68
.LBB111_108:
	s_mov_b32 s17, 0
                                        ; implicit-def: $vgpr12
.LBB111_109:
	s_and_b32 s56, s16, exec_lo
	s_or_not1_b32 s16, s17, exec_lo
.LBB111_110:
	s_or_b32 exec_lo, exec_lo, s57
	s_mov_b32 s17, 0
                                        ; implicit-def: $vgpr17
                                        ; implicit-def: $vgpr8_vgpr9
	s_and_saveexec_b32 s57, s16
	s_cbranch_execz .LBB111_117
; %bb.111:
	s_mov_b32 s18, -1
	s_mov_b32 s58, s56
	s_mov_b32 s59, exec_lo
	v_cmpx_gt_i32_e64 s53, v12
	s_cbranch_execz .LBB111_362
; %bb.112:
	s_and_not1_b32 vcc_lo, exec_lo, s23
	s_cbranch_vccnz .LBB111_240
; %bb.113:
	v_mov_b32_e32 v2, 0
	s_and_not1_b32 vcc_lo, exec_lo, s55
	s_cbranch_vccnz .LBB111_245
; %bb.114:
	s_add_i32 s60, s54, 1
	s_cmp_eq_u32 s21, 2
	s_mov_b32 s58, 0
	s_cbranch_scc1 .LBB111_241
; %bb.115:
	v_dual_mov_b32 v2, 0 :: v_dual_mov_b32 v3, v12
	s_and_b32 s58, s60, 28
	s_mov_b32 s61, 0
	s_mov_b64 s[16:17], s[2:3]
	s_mov_b64 s[18:19], s[14:15]
.LBB111_116:                            ; =>This Inner Loop Header: Depth=1
	s_clause 0x1
	s_load_b256 s[64:71], s[16:17], 0x4
	s_load_b128 s[72:75], s[16:17], 0x24
	s_load_b128 s[76:79], s[18:19], 0x0
	s_add_u32 s16, s16, 48
	s_addc_u32 s17, s17, 0
	s_add_i32 s61, s61, 4
	s_add_u32 s18, s18, 16
	s_addc_u32 s19, s19, 0
	s_cmp_eq_u32 s58, s61
	s_waitcnt lgkmcnt(0)
	v_mul_hi_u32 v8, s65, v3
	s_delay_alu instid0(VALU_DEP_1) | instskip(NEXT) | instid1(VALU_DEP_1)
	v_add_nc_u32_e32 v8, v3, v8
	v_lshrrev_b32_e32 v8, s66, v8
	s_delay_alu instid0(VALU_DEP_1) | instskip(SKIP_1) | instid1(VALU_DEP_2)
	v_mul_hi_u32 v9, s68, v8
	v_mul_lo_u32 v19, v8, s64
	v_add_nc_u32_e32 v9, v8, v9
	s_delay_alu instid0(VALU_DEP_2) | instskip(NEXT) | instid1(VALU_DEP_2)
	v_sub_nc_u32_e32 v19, v3, v19
	v_lshrrev_b32_e32 v9, s69, v9
	s_delay_alu instid0(VALU_DEP_2) | instskip(NEXT) | instid1(VALU_DEP_2)
	v_mul_lo_u32 v19, v19, s76
	v_mul_hi_u32 v17, s71, v9
	v_mul_lo_u32 v20, v9, s67
	s_delay_alu instid0(VALU_DEP_2) | instskip(NEXT) | instid1(VALU_DEP_2)
	v_add_nc_u32_e32 v17, v9, v17
	v_sub_nc_u32_e32 v8, v8, v20
	s_delay_alu instid0(VALU_DEP_2) | instskip(NEXT) | instid1(VALU_DEP_2)
	v_lshrrev_b32_e32 v17, s72, v17
	v_mul_lo_u32 v8, v8, s77
	s_delay_alu instid0(VALU_DEP_2) | instskip(NEXT) | instid1(VALU_DEP_2)
	v_mul_hi_u32 v18, s74, v17
	v_add3_u32 v2, v19, v2, v8
	s_delay_alu instid0(VALU_DEP_2) | instskip(NEXT) | instid1(VALU_DEP_1)
	v_add_nc_u32_e32 v18, v17, v18
	v_lshrrev_b32_e32 v3, s75, v18
	v_mul_lo_u32 v18, v17, s70
	s_delay_alu instid0(VALU_DEP_2) | instskip(NEXT) | instid1(VALU_DEP_2)
	v_mul_lo_u32 v21, v3, s73
	v_sub_nc_u32_e32 v9, v9, v18
	s_delay_alu instid0(VALU_DEP_2) | instskip(NEXT) | instid1(VALU_DEP_2)
	v_sub_nc_u32_e32 v17, v17, v21
	v_mul_lo_u32 v9, v9, s78
	s_delay_alu instid0(VALU_DEP_2) | instskip(NEXT) | instid1(VALU_DEP_1)
	v_mul_lo_u32 v17, v17, s79
	v_add3_u32 v2, v9, v2, v17
	s_cbranch_scc0 .LBB111_116
	s_branch .LBB111_242
.LBB111_117:
	s_or_b32 exec_lo, exec_lo, s57
	s_waitcnt lgkmcnt(0)
	s_mov_b32 s4, 0
	s_and_saveexec_b32 s5, s56
	s_cbranch_execnz .LBB111_677
.LBB111_118:
	s_or_b32 exec_lo, exec_lo, s5
	s_and_saveexec_b32 s5, s58
	s_delay_alu instid0(SALU_CYCLE_1)
	s_xor_b32 s5, exec_lo, s5
	s_cbranch_execz .LBB111_120
.LBB111_119:
	global_store_b8 v[8:9], v14, off
.LBB111_120:
	s_or_b32 exec_lo, exec_lo, s5
	s_and_saveexec_b32 s5, s17
	s_delay_alu instid0(SALU_CYCLE_1)
	s_xor_b32 s5, exec_lo, s5
	s_cbranch_execz .LBB111_158
; %bb.121:
	v_cmp_gt_i16_e32 vcc_lo, 5, v17
	s_mov_b32 s6, -1
	s_cbranch_vccnz .LBB111_142
; %bb.122:
	v_cmp_gt_i16_e32 vcc_lo, 8, v17
	s_cbranch_vccnz .LBB111_132
; %bb.123:
	v_cmp_gt_i16_e32 vcc_lo, 9, v17
	s_cbranch_vccnz .LBB111_129
; %bb.124:
	v_cmp_lt_i16_e32 vcc_lo, 9, v17
	s_cbranch_vccz .LBB111_126
; %bb.125:
	v_mov_b32_e32 v2, 0
	s_mov_b32 s6, 0
	s_delay_alu instid0(VALU_DEP_1)
	v_mov_b32_e32 v3, v2
	global_store_b128 v[8:9], v[0:3], off
.LBB111_126:
	s_and_not1_b32 vcc_lo, exec_lo, s6
	s_cbranch_vccnz .LBB111_128
; %bb.127:
	v_dual_mov_b32 v2, s25 :: v_dual_mov_b32 v3, 0
	global_store_b64 v[8:9], v[2:3], off
.LBB111_128:
	s_mov_b32 s6, 0
.LBB111_129:
	s_delay_alu instid0(SALU_CYCLE_1)
	s_and_not1_b32 vcc_lo, exec_lo, s6
	s_cbranch_vccnz .LBB111_131
; %bb.130:
	global_store_b32 v[8:9], v13, off
.LBB111_131:
	s_mov_b32 s6, 0
.LBB111_132:
	s_delay_alu instid0(SALU_CYCLE_1)
	s_and_not1_b32 vcc_lo, exec_lo, s6
	s_cbranch_vccnz .LBB111_141
; %bb.133:
	v_cmp_gt_i16_e32 vcc_lo, 6, v17
	s_mov_b32 s6, -1
	s_cbranch_vccnz .LBB111_139
; %bb.134:
	v_cmp_lt_i16_e32 vcc_lo, 6, v17
	s_cbranch_vccz .LBB111_136
; %bb.135:
	s_mov_b32 s6, 0
	global_store_b64 v[8:9], v[0:1], off
.LBB111_136:
	s_and_not1_b32 vcc_lo, exec_lo, s6
	s_cbranch_vccnz .LBB111_138
; %bb.137:
	v_mov_b32_e32 v0, s25
	global_store_b32 v[8:9], v0, off
.LBB111_138:
	s_mov_b32 s6, 0
.LBB111_139:
	s_delay_alu instid0(SALU_CYCLE_1)
	s_and_not1_b32 vcc_lo, exec_lo, s6
	s_cbranch_vccnz .LBB111_141
; %bb.140:
	global_store_b16 v[8:9], v11, off
.LBB111_141:
	s_mov_b32 s6, 0
.LBB111_142:
	s_delay_alu instid0(SALU_CYCLE_1)
	s_and_not1_b32 vcc_lo, exec_lo, s6
	s_cbranch_vccnz .LBB111_158
; %bb.143:
	v_cmp_gt_i16_e32 vcc_lo, 2, v17
	s_mov_b32 s6, -1
	s_cbranch_vccnz .LBB111_153
; %bb.144:
	v_cmp_gt_i16_e32 vcc_lo, 3, v17
	s_cbranch_vccnz .LBB111_150
; %bb.145:
	v_cmp_lt_i16_e32 vcc_lo, 3, v17
	s_cbranch_vccz .LBB111_147
; %bb.146:
	s_mov_b32 s6, 0
	global_store_b64 v[8:9], v[4:5], off
.LBB111_147:
	s_and_not1_b32 vcc_lo, exec_lo, s6
	s_cbranch_vccnz .LBB111_149
; %bb.148:
	global_store_b32 v[8:9], v10, off
.LBB111_149:
	s_mov_b32 s6, 0
.LBB111_150:
	s_delay_alu instid0(SALU_CYCLE_1)
	s_and_not1_b32 vcc_lo, exec_lo, s6
	s_cbranch_vccnz .LBB111_152
; %bb.151:
	global_store_b16 v[8:9], v10, off
.LBB111_152:
	s_mov_b32 s6, 0
.LBB111_153:
	s_delay_alu instid0(SALU_CYCLE_1)
	s_and_not1_b32 vcc_lo, exec_lo, s6
	s_cbranch_vccnz .LBB111_158
; %bb.154:
	v_cmp_lt_i16_e32 vcc_lo, 0, v17
	s_mov_b32 s6, -1
	s_cbranch_vccz .LBB111_156
; %bb.155:
	s_mov_b32 s6, 0
	global_store_b8 v[8:9], v10, off
.LBB111_156:
	s_and_not1_b32 vcc_lo, exec_lo, s6
	s_cbranch_vccnz .LBB111_158
; %bb.157:
	global_store_b8 v[8:9], v4, off
.LBB111_158:
	s_or_b32 exec_lo, exec_lo, s5
	s_delay_alu instid0(SALU_CYCLE_1)
	s_and_b32 s8, s4, exec_lo
                                        ; implicit-def: $vgpr4
                                        ; implicit-def: $vgpr12
.LBB111_159:
	s_or_saveexec_b32 s9, s24
	s_mov_b32 s5, 0
                                        ; implicit-def: $vgpr5
                                        ; implicit-def: $vgpr0_vgpr1
                                        ; implicit-def: $sgpr4
	s_xor_b32 exec_lo, exec_lo, s9
	s_cbranch_execz .LBB111_925
; %bb.160:
	v_cndmask_b32_e64 v0, 0, 1, s23
	s_and_not1_b32 vcc_lo, exec_lo, s23
	s_cbranch_vccnz .LBB111_166
; %bb.161:
	v_mov_b32_e32 v3, 0
	s_cmp_eq_u32 s20, 0
	s_mov_b32 s10, 0
	s_cbranch_scc1 .LBB111_170
; %bb.162:
	s_min_u32 s11, s21, 15
	v_mov_b32_e32 v3, 0
	s_add_i32 s11, s11, 1
	s_cmp_eq_u32 s21, 2
	s_mov_b32 s12, 0
	s_cbranch_scc1 .LBB111_167
; %bb.163:
	v_mov_b32_e32 v3, 0
	v_mov_b32_e32 v1, v12
	s_add_u32 s4, s2, 0xc4
	s_addc_u32 s5, s3, 0
	s_and_b32 s12, s11, 28
	s_mov_b32 s13, 0
	s_mov_b64 s[6:7], s[2:3]
.LBB111_164:                            ; =>This Inner Loop Header: Depth=1
	s_clause 0x1
	s_load_b256 s[24:31], s[6:7], 0x4
	s_load_b128 s[16:19], s[6:7], 0x24
	s_load_b128 s[36:39], s[4:5], 0x0
	s_add_u32 s6, s6, 48
	s_addc_u32 s7, s7, 0
	s_add_i32 s13, s13, 4
	s_add_u32 s4, s4, 16
	s_addc_u32 s5, s5, 0
	s_cmp_lg_u32 s12, s13
	s_waitcnt lgkmcnt(0)
	v_mul_hi_u32 v2, s25, v1
	s_delay_alu instid0(VALU_DEP_1) | instskip(NEXT) | instid1(VALU_DEP_1)
	v_add_nc_u32_e32 v2, v1, v2
	v_lshrrev_b32_e32 v2, s26, v2
	s_delay_alu instid0(VALU_DEP_1) | instskip(SKIP_1) | instid1(VALU_DEP_2)
	v_mul_hi_u32 v5, s28, v2
	v_mul_lo_u32 v8, v2, s24
	v_add_nc_u32_e32 v5, v2, v5
	s_delay_alu instid0(VALU_DEP_2) | instskip(NEXT) | instid1(VALU_DEP_2)
	v_sub_nc_u32_e32 v8, v1, v8
	v_lshrrev_b32_e32 v5, s29, v5
	s_delay_alu instid0(VALU_DEP_2) | instskip(NEXT) | instid1(VALU_DEP_2)
	v_mul_lo_u32 v8, v8, s36
	v_mul_hi_u32 v6, s31, v5
	v_mul_lo_u32 v9, v5, s27
	s_delay_alu instid0(VALU_DEP_2) | instskip(NEXT) | instid1(VALU_DEP_2)
	v_add_nc_u32_e32 v6, v5, v6
	v_sub_nc_u32_e32 v2, v2, v9
	s_delay_alu instid0(VALU_DEP_2) | instskip(NEXT) | instid1(VALU_DEP_2)
	v_lshrrev_b32_e32 v6, s16, v6
	v_mul_lo_u32 v2, v2, s37
	s_delay_alu instid0(VALU_DEP_2) | instskip(NEXT) | instid1(VALU_DEP_2)
	v_mul_hi_u32 v7, s18, v6
	v_add3_u32 v2, v8, v3, v2
	s_delay_alu instid0(VALU_DEP_2) | instskip(NEXT) | instid1(VALU_DEP_1)
	v_add_nc_u32_e32 v7, v6, v7
	v_lshrrev_b32_e32 v1, s19, v7
	v_mul_lo_u32 v7, v6, s30
	s_delay_alu instid0(VALU_DEP_2) | instskip(NEXT) | instid1(VALU_DEP_2)
	v_mul_lo_u32 v10, v1, s17
	v_sub_nc_u32_e32 v5, v5, v7
	s_delay_alu instid0(VALU_DEP_2) | instskip(NEXT) | instid1(VALU_DEP_2)
	v_sub_nc_u32_e32 v6, v6, v10
	v_mul_lo_u32 v5, v5, s38
	s_delay_alu instid0(VALU_DEP_2) | instskip(NEXT) | instid1(VALU_DEP_1)
	v_mul_lo_u32 v6, v6, s39
	v_add3_u32 v3, v5, v2, v6
	s_cbranch_scc1 .LBB111_164
; %bb.165:
	s_and_b32 s11, s11, 3
	s_delay_alu instid0(SALU_CYCLE_1)
	s_cmp_eq_u32 s11, 0
	s_cbranch_scc0 .LBB111_168
	s_branch .LBB111_170
.LBB111_166:
	s_mov_b32 s10, -1
                                        ; implicit-def: $vgpr3
	s_branch .LBB111_170
.LBB111_167:
	v_mov_b32_e32 v1, v12
	s_and_b32 s11, s11, 3
	s_delay_alu instid0(SALU_CYCLE_1)
	s_cmp_eq_u32 s11, 0
	s_cbranch_scc1 .LBB111_170
.LBB111_168:
	s_lshl_b32 s4, s12, 2
	s_mul_i32 s6, s12, 12
	s_add_u32 s4, s4, s2
	s_addc_u32 s5, 0, s3
	s_add_u32 s4, s4, 0xc4
	s_addc_u32 s5, s5, 0
	;; [unrolled: 2-line block ×3, first 2 shown]
	.p2align	6
.LBB111_169:                            ; =>This Inner Loop Header: Depth=1
	s_clause 0x1
	s_load_b64 s[12:13], s[6:7], 0x4
	s_load_b32 s14, s[6:7], 0xc
	s_add_u32 s6, s6, 12
	s_addc_u32 s7, s7, 0
	s_waitcnt lgkmcnt(0)
	v_mul_hi_u32 v2, s13, v1
	s_load_b32 s13, s[4:5], 0x0
	s_add_u32 s4, s4, 4
	s_addc_u32 s5, s5, 0
	s_add_i32 s11, s11, -1
	s_delay_alu instid0(SALU_CYCLE_1) | instskip(NEXT) | instid1(VALU_DEP_1)
	s_cmp_lg_u32 s11, 0
	v_add_nc_u32_e32 v2, v1, v2
	s_delay_alu instid0(VALU_DEP_1) | instskip(NEXT) | instid1(VALU_DEP_1)
	v_lshrrev_b32_e32 v2, s14, v2
	v_mul_lo_u32 v5, v2, s12
	s_delay_alu instid0(VALU_DEP_1) | instskip(SKIP_1) | instid1(VALU_DEP_1)
	v_sub_nc_u32_e32 v1, v1, v5
	s_waitcnt lgkmcnt(0)
	v_mad_u64_u32 v[5:6], null, v1, s13, v[3:4]
	v_mov_b32_e32 v1, v2
	s_delay_alu instid0(VALU_DEP_2)
	v_mov_b32_e32 v3, v5
	s_cbranch_scc1 .LBB111_169
.LBB111_170:
	s_and_not1_b32 vcc_lo, exec_lo, s10
	s_cbranch_vccnz .LBB111_173
; %bb.171:
	s_load_b128 s[4:7], s[2:3], 0x4
	s_waitcnt lgkmcnt(0)
	s_load_b32 s7, s[2:3], 0xc4
	s_cmp_lt_u32 s20, 2
	v_mul_hi_u32 v1, s5, v12
	s_delay_alu instid0(VALU_DEP_1) | instskip(NEXT) | instid1(VALU_DEP_1)
	v_add_nc_u32_e32 v1, v12, v1
	v_lshrrev_b32_e32 v1, s6, v1
	s_delay_alu instid0(VALU_DEP_1) | instskip(NEXT) | instid1(VALU_DEP_1)
	v_mul_lo_u32 v2, v1, s4
	v_sub_nc_u32_e32 v2, v12, v2
	s_waitcnt lgkmcnt(0)
	s_delay_alu instid0(VALU_DEP_1)
	v_mul_lo_u32 v3, v2, s7
	s_cbranch_scc1 .LBB111_173
; %bb.172:
	s_load_b128 s[4:7], s[2:3], 0x10
	s_waitcnt lgkmcnt(0)
	s_load_b32 s7, s[2:3], 0xc8
	v_mul_hi_u32 v2, s5, v1
	s_delay_alu instid0(VALU_DEP_1) | instskip(NEXT) | instid1(VALU_DEP_1)
	v_add_nc_u32_e32 v2, v1, v2
	v_lshrrev_b32_e32 v2, s6, v2
	s_delay_alu instid0(VALU_DEP_1) | instskip(NEXT) | instid1(VALU_DEP_1)
	v_mul_lo_u32 v2, v2, s4
	v_sub_nc_u32_e32 v5, v1, v2
	s_waitcnt lgkmcnt(0)
	s_delay_alu instid0(VALU_DEP_1) | instskip(NEXT) | instid1(VALU_DEP_1)
	v_mad_u64_u32 v[1:2], null, v5, s7, v[3:4]
	v_mov_b32_e32 v3, v1
.LBB111_173:
	v_cmp_ne_u32_e32 vcc_lo, 1, v0
	v_add_nc_u32_e32 v1, 0x80, v12
	s_cbranch_vccnz .LBB111_179
; %bb.174:
	v_mov_b32_e32 v2, 0
	s_cmp_eq_u32 s20, 0
	s_mov_b32 s10, 0
	s_cbranch_scc1 .LBB111_183
; %bb.175:
	s_min_u32 s11, s21, 15
	v_mov_b32_e32 v2, 0
	s_add_i32 s11, s11, 1
	s_cmp_eq_u32 s21, 2
	s_mov_b32 s12, 0
	s_cbranch_scc1 .LBB111_180
; %bb.176:
	v_dual_mov_b32 v2, 0 :: v_dual_mov_b32 v5, v1
	s_add_u32 s4, s2, 0xc4
	s_addc_u32 s5, s3, 0
	s_and_b32 s12, s11, 28
	s_mov_b32 s13, 0
	s_mov_b64 s[6:7], s[2:3]
.LBB111_177:                            ; =>This Inner Loop Header: Depth=1
	s_clause 0x1
	s_load_b256 s[24:31], s[6:7], 0x4
	s_load_b128 s[16:19], s[6:7], 0x24
	s_load_b128 s[36:39], s[4:5], 0x0
	s_add_u32 s6, s6, 48
	s_addc_u32 s7, s7, 0
	s_add_i32 s13, s13, 4
	s_add_u32 s4, s4, 16
	s_addc_u32 s5, s5, 0
	s_cmp_lg_u32 s12, s13
	s_waitcnt lgkmcnt(0)
	v_mul_hi_u32 v6, s25, v5
	s_delay_alu instid0(VALU_DEP_1) | instskip(NEXT) | instid1(VALU_DEP_1)
	v_add_nc_u32_e32 v6, v5, v6
	v_lshrrev_b32_e32 v6, s26, v6
	s_delay_alu instid0(VALU_DEP_1) | instskip(SKIP_1) | instid1(VALU_DEP_2)
	v_mul_hi_u32 v7, s28, v6
	v_mul_lo_u32 v10, v6, s24
	v_add_nc_u32_e32 v7, v6, v7
	s_delay_alu instid0(VALU_DEP_2) | instskip(NEXT) | instid1(VALU_DEP_2)
	v_sub_nc_u32_e32 v10, v5, v10
	v_lshrrev_b32_e32 v7, s29, v7
	s_delay_alu instid0(VALU_DEP_2) | instskip(NEXT) | instid1(VALU_DEP_2)
	v_mul_lo_u32 v10, v10, s36
	v_mul_hi_u32 v8, s31, v7
	v_mul_lo_u32 v11, v7, s27
	s_delay_alu instid0(VALU_DEP_2) | instskip(NEXT) | instid1(VALU_DEP_2)
	v_add_nc_u32_e32 v8, v7, v8
	v_sub_nc_u32_e32 v6, v6, v11
	s_delay_alu instid0(VALU_DEP_2) | instskip(NEXT) | instid1(VALU_DEP_2)
	v_lshrrev_b32_e32 v8, s16, v8
	v_mul_lo_u32 v6, v6, s37
	s_delay_alu instid0(VALU_DEP_2) | instskip(NEXT) | instid1(VALU_DEP_2)
	v_mul_hi_u32 v9, s18, v8
	v_add3_u32 v2, v10, v2, v6
	s_delay_alu instid0(VALU_DEP_2) | instskip(NEXT) | instid1(VALU_DEP_1)
	v_add_nc_u32_e32 v9, v8, v9
	v_lshrrev_b32_e32 v5, s19, v9
	v_mul_lo_u32 v9, v8, s30
	s_delay_alu instid0(VALU_DEP_2) | instskip(NEXT) | instid1(VALU_DEP_2)
	v_mul_lo_u32 v13, v5, s17
	v_sub_nc_u32_e32 v7, v7, v9
	s_delay_alu instid0(VALU_DEP_2) | instskip(NEXT) | instid1(VALU_DEP_2)
	v_sub_nc_u32_e32 v8, v8, v13
	v_mul_lo_u32 v7, v7, s38
	s_delay_alu instid0(VALU_DEP_2) | instskip(NEXT) | instid1(VALU_DEP_1)
	v_mul_lo_u32 v8, v8, s39
	v_add3_u32 v2, v7, v2, v8
	s_cbranch_scc1 .LBB111_177
; %bb.178:
	s_and_b32 s11, s11, 3
	s_delay_alu instid0(SALU_CYCLE_1)
	s_cmp_eq_u32 s11, 0
	s_cbranch_scc0 .LBB111_181
	s_branch .LBB111_183
.LBB111_179:
	s_mov_b32 s10, -1
                                        ; implicit-def: $vgpr2
	s_branch .LBB111_183
.LBB111_180:
	v_mov_b32_e32 v5, v1
	s_and_b32 s11, s11, 3
	s_delay_alu instid0(SALU_CYCLE_1)
	s_cmp_eq_u32 s11, 0
	s_cbranch_scc1 .LBB111_183
.LBB111_181:
	s_lshl_b32 s4, s12, 2
	s_mul_i32 s6, s12, 12
	s_add_u32 s4, s4, s2
	s_addc_u32 s5, 0, s3
	s_add_u32 s4, s4, 0xc4
	s_addc_u32 s5, s5, 0
	;; [unrolled: 2-line block ×3, first 2 shown]
	.p2align	6
.LBB111_182:                            ; =>This Inner Loop Header: Depth=1
	s_clause 0x1
	s_load_b64 s[12:13], s[6:7], 0x4
	s_load_b32 s14, s[6:7], 0xc
	s_add_u32 s6, s6, 12
	s_addc_u32 s7, s7, 0
	s_waitcnt lgkmcnt(0)
	v_mul_hi_u32 v6, s13, v5
	s_load_b32 s13, s[4:5], 0x0
	s_add_u32 s4, s4, 4
	s_addc_u32 s5, s5, 0
	s_add_i32 s11, s11, -1
	s_delay_alu instid0(SALU_CYCLE_1) | instskip(NEXT) | instid1(VALU_DEP_1)
	s_cmp_lg_u32 s11, 0
	v_add_nc_u32_e32 v6, v5, v6
	s_delay_alu instid0(VALU_DEP_1) | instskip(NEXT) | instid1(VALU_DEP_1)
	v_lshrrev_b32_e32 v8, s14, v6
	v_mul_lo_u32 v6, v8, s12
	s_delay_alu instid0(VALU_DEP_1) | instskip(SKIP_1) | instid1(VALU_DEP_1)
	v_sub_nc_u32_e32 v5, v5, v6
	s_waitcnt lgkmcnt(0)
	v_mad_u64_u32 v[6:7], null, v5, s13, v[2:3]
	s_delay_alu instid0(VALU_DEP_1)
	v_dual_mov_b32 v5, v8 :: v_dual_mov_b32 v2, v6
	s_cbranch_scc1 .LBB111_182
.LBB111_183:
	s_and_not1_b32 vcc_lo, exec_lo, s10
	s_cbranch_vccnz .LBB111_186
; %bb.184:
	s_load_b128 s[4:7], s[2:3], 0x4
	s_waitcnt lgkmcnt(0)
	s_load_b32 s7, s[2:3], 0xc4
	s_cmp_lt_u32 s20, 2
	v_mul_hi_u32 v2, s5, v1
	s_delay_alu instid0(VALU_DEP_1) | instskip(NEXT) | instid1(VALU_DEP_1)
	v_add_nc_u32_e32 v2, v1, v2
	v_lshrrev_b32_e32 v5, s6, v2
	s_delay_alu instid0(VALU_DEP_1) | instskip(NEXT) | instid1(VALU_DEP_1)
	v_mul_lo_u32 v2, v5, s4
	v_sub_nc_u32_e32 v1, v1, v2
	s_waitcnt lgkmcnt(0)
	s_delay_alu instid0(VALU_DEP_1)
	v_mul_lo_u32 v2, v1, s7
	s_cbranch_scc1 .LBB111_186
; %bb.185:
	s_load_b128 s[4:7], s[2:3], 0x10
	s_waitcnt lgkmcnt(0)
	s_load_b32 s7, s[2:3], 0xc8
	v_mul_hi_u32 v1, s5, v5
	s_delay_alu instid0(VALU_DEP_1) | instskip(NEXT) | instid1(VALU_DEP_1)
	v_add_nc_u32_e32 v1, v5, v1
	v_lshrrev_b32_e32 v1, s6, v1
	s_delay_alu instid0(VALU_DEP_1) | instskip(NEXT) | instid1(VALU_DEP_1)
	v_mul_lo_u32 v1, v1, s4
	v_sub_nc_u32_e32 v1, v5, v1
	s_waitcnt lgkmcnt(0)
	s_delay_alu instid0(VALU_DEP_1) | instskip(NEXT) | instid1(VALU_DEP_1)
	v_mad_u64_u32 v[5:6], null, v1, s7, v[2:3]
	v_mov_b32_e32 v2, v5
.LBB111_186:
	v_cmp_ne_u32_e32 vcc_lo, 1, v0
	v_add_nc_u32_e32 v5, 0x100, v12
	s_cbranch_vccnz .LBB111_192
; %bb.187:
	v_mov_b32_e32 v1, 0
	s_cmp_eq_u32 s20, 0
	s_mov_b32 s10, 0
	s_cbranch_scc1 .LBB111_196
; %bb.188:
	s_min_u32 s11, s21, 15
	v_mov_b32_e32 v1, 0
	s_add_i32 s11, s11, 1
	s_cmp_eq_u32 s21, 2
	s_mov_b32 s12, 0
	s_cbranch_scc1 .LBB111_193
; %bb.189:
	v_dual_mov_b32 v1, 0 :: v_dual_mov_b32 v6, v5
	s_add_u32 s4, s2, 0xc4
	s_addc_u32 s5, s3, 0
	s_and_b32 s12, s11, 28
	s_mov_b32 s13, 0
	s_mov_b64 s[6:7], s[2:3]
.LBB111_190:                            ; =>This Inner Loop Header: Depth=1
	s_clause 0x1
	s_load_b256 s[24:31], s[6:7], 0x4
	s_load_b128 s[16:19], s[6:7], 0x24
	s_load_b128 s[36:39], s[4:5], 0x0
	s_add_u32 s6, s6, 48
	s_addc_u32 s7, s7, 0
	s_add_i32 s13, s13, 4
	s_add_u32 s4, s4, 16
	s_addc_u32 s5, s5, 0
	s_cmp_lg_u32 s12, s13
	s_waitcnt lgkmcnt(0)
	v_mul_hi_u32 v7, s25, v6
	s_delay_alu instid0(VALU_DEP_1) | instskip(NEXT) | instid1(VALU_DEP_1)
	v_add_nc_u32_e32 v7, v6, v7
	v_lshrrev_b32_e32 v7, s26, v7
	s_delay_alu instid0(VALU_DEP_1) | instskip(SKIP_1) | instid1(VALU_DEP_2)
	v_mul_hi_u32 v8, s28, v7
	v_mul_lo_u32 v11, v7, s24
	v_add_nc_u32_e32 v8, v7, v8
	s_delay_alu instid0(VALU_DEP_2) | instskip(NEXT) | instid1(VALU_DEP_2)
	v_sub_nc_u32_e32 v11, v6, v11
	v_lshrrev_b32_e32 v8, s29, v8
	s_delay_alu instid0(VALU_DEP_2) | instskip(NEXT) | instid1(VALU_DEP_2)
	v_mul_lo_u32 v11, v11, s36
	v_mul_hi_u32 v9, s31, v8
	v_mul_lo_u32 v12, v8, s27
	s_delay_alu instid0(VALU_DEP_2) | instskip(NEXT) | instid1(VALU_DEP_2)
	v_add_nc_u32_e32 v9, v8, v9
	v_sub_nc_u32_e32 v7, v7, v12
	s_delay_alu instid0(VALU_DEP_2) | instskip(NEXT) | instid1(VALU_DEP_2)
	v_lshrrev_b32_e32 v9, s16, v9
	v_mul_lo_u32 v7, v7, s37
	s_delay_alu instid0(VALU_DEP_2) | instskip(NEXT) | instid1(VALU_DEP_2)
	v_mul_hi_u32 v10, s18, v9
	v_add3_u32 v1, v11, v1, v7
	s_delay_alu instid0(VALU_DEP_2) | instskip(NEXT) | instid1(VALU_DEP_1)
	v_add_nc_u32_e32 v10, v9, v10
	v_lshrrev_b32_e32 v6, s19, v10
	v_mul_lo_u32 v10, v9, s30
	s_delay_alu instid0(VALU_DEP_2) | instskip(NEXT) | instid1(VALU_DEP_2)
	v_mul_lo_u32 v13, v6, s17
	v_sub_nc_u32_e32 v8, v8, v10
	s_delay_alu instid0(VALU_DEP_2) | instskip(NEXT) | instid1(VALU_DEP_2)
	v_sub_nc_u32_e32 v9, v9, v13
	v_mul_lo_u32 v8, v8, s38
	s_delay_alu instid0(VALU_DEP_2) | instskip(NEXT) | instid1(VALU_DEP_1)
	v_mul_lo_u32 v9, v9, s39
	v_add3_u32 v1, v8, v1, v9
	s_cbranch_scc1 .LBB111_190
; %bb.191:
	s_and_b32 s11, s11, 3
	s_delay_alu instid0(SALU_CYCLE_1)
	s_cmp_eq_u32 s11, 0
	s_cbranch_scc0 .LBB111_194
	s_branch .LBB111_196
.LBB111_192:
	s_mov_b32 s10, -1
                                        ; implicit-def: $vgpr1
	s_branch .LBB111_196
.LBB111_193:
	v_mov_b32_e32 v6, v5
	s_and_b32 s11, s11, 3
	s_delay_alu instid0(SALU_CYCLE_1)
	s_cmp_eq_u32 s11, 0
	s_cbranch_scc1 .LBB111_196
.LBB111_194:
	s_lshl_b32 s4, s12, 2
	s_mul_i32 s6, s12, 12
	s_add_u32 s4, s4, s2
	s_addc_u32 s5, 0, s3
	s_add_u32 s4, s4, 0xc4
	s_addc_u32 s5, s5, 0
	;; [unrolled: 2-line block ×3, first 2 shown]
	.p2align	6
.LBB111_195:                            ; =>This Inner Loop Header: Depth=1
	s_clause 0x1
	s_load_b64 s[12:13], s[6:7], 0x4
	s_load_b32 s14, s[6:7], 0xc
	s_add_u32 s6, s6, 12
	s_addc_u32 s7, s7, 0
	s_waitcnt lgkmcnt(0)
	v_mul_hi_u32 v7, s13, v6
	s_load_b32 s13, s[4:5], 0x0
	s_add_u32 s4, s4, 4
	s_addc_u32 s5, s5, 0
	s_add_i32 s11, s11, -1
	s_delay_alu instid0(SALU_CYCLE_1) | instskip(NEXT) | instid1(VALU_DEP_1)
	s_cmp_lg_u32 s11, 0
	v_add_nc_u32_e32 v7, v6, v7
	s_delay_alu instid0(VALU_DEP_1) | instskip(NEXT) | instid1(VALU_DEP_1)
	v_lshrrev_b32_e32 v9, s14, v7
	v_mul_lo_u32 v7, v9, s12
	s_delay_alu instid0(VALU_DEP_1) | instskip(SKIP_1) | instid1(VALU_DEP_1)
	v_sub_nc_u32_e32 v6, v6, v7
	s_waitcnt lgkmcnt(0)
	v_mad_u64_u32 v[7:8], null, v6, s13, v[1:2]
	s_delay_alu instid0(VALU_DEP_1)
	v_dual_mov_b32 v6, v9 :: v_dual_mov_b32 v1, v7
	s_cbranch_scc1 .LBB111_195
.LBB111_196:
	s_and_not1_b32 vcc_lo, exec_lo, s10
	s_cbranch_vccnz .LBB111_199
; %bb.197:
	s_load_b128 s[4:7], s[2:3], 0x4
	s_waitcnt lgkmcnt(0)
	s_load_b32 s7, s[2:3], 0xc4
	s_cmp_lt_u32 s20, 2
	v_mul_hi_u32 v1, s5, v5
	s_delay_alu instid0(VALU_DEP_1) | instskip(NEXT) | instid1(VALU_DEP_1)
	v_add_nc_u32_e32 v1, v5, v1
	v_lshrrev_b32_e32 v6, s6, v1
	s_delay_alu instid0(VALU_DEP_1) | instskip(NEXT) | instid1(VALU_DEP_1)
	v_mul_lo_u32 v1, v6, s4
	v_sub_nc_u32_e32 v1, v5, v1
	s_waitcnt lgkmcnt(0)
	s_delay_alu instid0(VALU_DEP_1)
	v_mul_lo_u32 v1, v1, s7
	s_cbranch_scc1 .LBB111_199
; %bb.198:
	s_load_b128 s[4:7], s[2:3], 0x10
	s_waitcnt lgkmcnt(0)
	s_load_b32 s7, s[2:3], 0xc8
	v_mul_hi_u32 v5, s5, v6
	s_delay_alu instid0(VALU_DEP_1) | instskip(NEXT) | instid1(VALU_DEP_1)
	v_add_nc_u32_e32 v5, v6, v5
	v_lshrrev_b32_e32 v5, s6, v5
	s_delay_alu instid0(VALU_DEP_1) | instskip(NEXT) | instid1(VALU_DEP_1)
	v_mul_lo_u32 v5, v5, s4
	v_sub_nc_u32_e32 v7, v6, v5
	s_waitcnt lgkmcnt(0)
	s_delay_alu instid0(VALU_DEP_1) | instskip(NEXT) | instid1(VALU_DEP_1)
	v_mad_u64_u32 v[5:6], null, v7, s7, v[1:2]
	v_mov_b32_e32 v1, v5
.LBB111_199:
	v_cmp_ne_u32_e32 vcc_lo, 1, v0
	s_cbranch_vccnz .LBB111_205
; %bb.200:
	v_mov_b32_e32 v0, 0
	s_cmp_eq_u32 s20, 0
	s_mov_b32 s10, 0
	s_cbranch_scc1 .LBB111_209
; %bb.201:
	s_min_u32 s11, s21, 15
	v_mov_b32_e32 v0, 0
	s_add_i32 s11, s11, 1
	s_cmp_eq_u32 s21, 2
	s_mov_b32 s12, 0
	s_cbranch_scc1 .LBB111_206
; %bb.202:
	v_dual_mov_b32 v0, 0 :: v_dual_mov_b32 v5, v4
	s_add_u32 s4, s2, 0xc4
	s_addc_u32 s5, s3, 0
	s_and_b32 s12, s11, 28
	s_mov_b32 s13, 0
	s_mov_b64 s[6:7], s[2:3]
.LBB111_203:                            ; =>This Inner Loop Header: Depth=1
	s_clause 0x1
	s_load_b256 s[24:31], s[6:7], 0x4
	s_load_b128 s[16:19], s[6:7], 0x24
	s_load_b128 s[36:39], s[4:5], 0x0
	s_add_u32 s6, s6, 48
	s_addc_u32 s7, s7, 0
	s_add_i32 s13, s13, 4
	s_add_u32 s4, s4, 16
	s_addc_u32 s5, s5, 0
	s_cmp_lg_u32 s12, s13
	s_waitcnt lgkmcnt(0)
	v_mul_hi_u32 v6, s25, v5
	s_delay_alu instid0(VALU_DEP_1) | instskip(NEXT) | instid1(VALU_DEP_1)
	v_add_nc_u32_e32 v6, v5, v6
	v_lshrrev_b32_e32 v6, s26, v6
	s_delay_alu instid0(VALU_DEP_1) | instskip(SKIP_1) | instid1(VALU_DEP_2)
	v_mul_hi_u32 v7, s28, v6
	v_mul_lo_u32 v10, v6, s24
	v_add_nc_u32_e32 v7, v6, v7
	s_delay_alu instid0(VALU_DEP_2) | instskip(NEXT) | instid1(VALU_DEP_2)
	v_sub_nc_u32_e32 v10, v5, v10
	v_lshrrev_b32_e32 v7, s29, v7
	s_delay_alu instid0(VALU_DEP_2) | instskip(NEXT) | instid1(VALU_DEP_2)
	v_mul_lo_u32 v10, v10, s36
	v_mul_hi_u32 v8, s31, v7
	v_mul_lo_u32 v11, v7, s27
	s_delay_alu instid0(VALU_DEP_2) | instskip(NEXT) | instid1(VALU_DEP_2)
	v_add_nc_u32_e32 v8, v7, v8
	v_sub_nc_u32_e32 v6, v6, v11
	s_delay_alu instid0(VALU_DEP_2) | instskip(NEXT) | instid1(VALU_DEP_2)
	v_lshrrev_b32_e32 v8, s16, v8
	v_mul_lo_u32 v6, v6, s37
	s_delay_alu instid0(VALU_DEP_2) | instskip(NEXT) | instid1(VALU_DEP_2)
	v_mul_hi_u32 v9, s18, v8
	v_add3_u32 v0, v10, v0, v6
	s_delay_alu instid0(VALU_DEP_2) | instskip(NEXT) | instid1(VALU_DEP_1)
	v_add_nc_u32_e32 v9, v8, v9
	v_lshrrev_b32_e32 v5, s19, v9
	v_mul_lo_u32 v9, v8, s30
	s_delay_alu instid0(VALU_DEP_2) | instskip(NEXT) | instid1(VALU_DEP_2)
	v_mul_lo_u32 v12, v5, s17
	v_sub_nc_u32_e32 v7, v7, v9
	s_delay_alu instid0(VALU_DEP_2) | instskip(NEXT) | instid1(VALU_DEP_2)
	v_sub_nc_u32_e32 v8, v8, v12
	v_mul_lo_u32 v7, v7, s38
	s_delay_alu instid0(VALU_DEP_2) | instskip(NEXT) | instid1(VALU_DEP_1)
	v_mul_lo_u32 v8, v8, s39
	v_add3_u32 v0, v7, v0, v8
	s_cbranch_scc1 .LBB111_203
; %bb.204:
	s_and_b32 s11, s11, 3
	s_delay_alu instid0(SALU_CYCLE_1)
	s_cmp_eq_u32 s11, 0
	s_cbranch_scc0 .LBB111_207
	s_branch .LBB111_209
.LBB111_205:
	s_mov_b32 s10, -1
                                        ; implicit-def: $vgpr0
	s_branch .LBB111_209
.LBB111_206:
	v_mov_b32_e32 v5, v4
	s_and_b32 s11, s11, 3
	s_delay_alu instid0(SALU_CYCLE_1)
	s_cmp_eq_u32 s11, 0
	s_cbranch_scc1 .LBB111_209
.LBB111_207:
	s_lshl_b32 s4, s12, 2
	s_mul_i32 s6, s12, 12
	s_add_u32 s4, s4, s2
	s_addc_u32 s5, 0, s3
	s_add_u32 s4, s4, 0xc4
	s_addc_u32 s5, s5, 0
	;; [unrolled: 2-line block ×3, first 2 shown]
	.p2align	6
.LBB111_208:                            ; =>This Inner Loop Header: Depth=1
	s_clause 0x1
	s_load_b64 s[12:13], s[6:7], 0x4
	s_load_b32 s14, s[6:7], 0xc
	s_add_u32 s6, s6, 12
	s_addc_u32 s7, s7, 0
	s_waitcnt lgkmcnt(0)
	v_mul_hi_u32 v6, s13, v5
	s_load_b32 s13, s[4:5], 0x0
	s_add_u32 s4, s4, 4
	s_addc_u32 s5, s5, 0
	s_add_i32 s11, s11, -1
	s_delay_alu instid0(SALU_CYCLE_1) | instskip(NEXT) | instid1(VALU_DEP_1)
	s_cmp_lg_u32 s11, 0
	v_add_nc_u32_e32 v6, v5, v6
	s_delay_alu instid0(VALU_DEP_1) | instskip(NEXT) | instid1(VALU_DEP_1)
	v_lshrrev_b32_e32 v8, s14, v6
	v_mul_lo_u32 v6, v8, s12
	s_delay_alu instid0(VALU_DEP_1) | instskip(SKIP_1) | instid1(VALU_DEP_1)
	v_sub_nc_u32_e32 v5, v5, v6
	s_waitcnt lgkmcnt(0)
	v_mad_u64_u32 v[6:7], null, v5, s13, v[0:1]
	s_delay_alu instid0(VALU_DEP_1)
	v_dual_mov_b32 v5, v8 :: v_dual_mov_b32 v0, v6
	s_cbranch_scc1 .LBB111_208
.LBB111_209:
	s_and_not1_b32 vcc_lo, exec_lo, s10
	s_cbranch_vccnz .LBB111_212
; %bb.210:
	s_load_b128 s[4:7], s[2:3], 0x4
	s_waitcnt lgkmcnt(0)
	s_load_b32 s7, s[2:3], 0xc4
	s_cmp_lt_u32 s20, 2
	v_mul_hi_u32 v0, s5, v4
	s_delay_alu instid0(VALU_DEP_1) | instskip(NEXT) | instid1(VALU_DEP_1)
	v_add_nc_u32_e32 v0, v4, v0
	v_lshrrev_b32_e32 v5, s6, v0
	s_delay_alu instid0(VALU_DEP_1) | instskip(NEXT) | instid1(VALU_DEP_1)
	v_mul_lo_u32 v0, v5, s4
	v_sub_nc_u32_e32 v0, v4, v0
	s_waitcnt lgkmcnt(0)
	s_delay_alu instid0(VALU_DEP_1)
	v_mul_lo_u32 v0, v0, s7
	s_cbranch_scc1 .LBB111_212
; %bb.211:
	s_load_b128 s[4:7], s[2:3], 0x10
	s_waitcnt lgkmcnt(0)
	s_load_b32 s7, s[2:3], 0xc8
	v_mul_hi_u32 v4, s5, v5
	s_delay_alu instid0(VALU_DEP_1) | instskip(NEXT) | instid1(VALU_DEP_1)
	v_add_nc_u32_e32 v4, v5, v4
	v_lshrrev_b32_e32 v4, s6, v4
	s_delay_alu instid0(VALU_DEP_1) | instskip(NEXT) | instid1(VALU_DEP_1)
	v_mul_lo_u32 v4, v4, s4
	v_sub_nc_u32_e32 v6, v5, v4
	s_waitcnt lgkmcnt(0)
	s_delay_alu instid0(VALU_DEP_1) | instskip(NEXT) | instid1(VALU_DEP_1)
	v_mad_u64_u32 v[4:5], null, v6, s7, v[0:1]
	v_mov_b32_e32 v0, v4
.LBB111_212:
	s_clause 0x2
	s_load_b32 s5, s[0:1], 0x118
	s_load_b64 s[0:1], s[2:3], 0x108
	s_load_b32 s4, s[2:3], 0x110
	s_mov_b32 s3, -1
	s_waitcnt lgkmcnt(0)
	s_lshr_b32 s2, s5, 16
	s_mov_b32 s5, 0
	v_and_b32_e64 v5, 0xff, s2
	v_add_co_u32 v3, s2, s0, v3
	s_delay_alu instid0(VALU_DEP_1) | instskip(NEXT) | instid1(VALU_DEP_3)
	v_add_co_ci_u32_e64 v4, null, s1, 0, s2
	v_cmp_gt_i16_e32 vcc_lo, 11, v5
	s_mov_b32 s2, s8
	s_cbranch_vccnz .LBB111_471
; %bb.213:
	v_cmp_lt_i16_e32 vcc_lo, 25, v5
	s_mov_b32 s6, -1
	s_mov_b32 s3, 0
	s_mov_b32 s2, 0
	s_cbranch_vccz .LBB111_306
; %bb.214:
	v_cmp_lt_i16_e32 vcc_lo, 28, v5
	s_cbranch_vccz .LBB111_229
; %bb.215:
	v_cmp_lt_i16_e32 vcc_lo, 43, v5
	s_cbranch_vccz .LBB111_225
; %bb.216:
	v_cmp_lt_i16_e32 vcc_lo, 45, v5
	s_cbranch_vccz .LBB111_219
; %bb.217:
	v_cmp_eq_u16_e32 vcc_lo, 46, v5
	s_mov_b32 s2, -1
	s_mov_b32 s6, 0
	s_cbranch_vccz .LBB111_219
; %bb.218:
	s_and_b32 s2, 0xffff, s4
	s_mov_b32 s5, -1
	v_mov_b32_e32 v6, s2
	s_mov_b32 s2, 0
	global_store_b32 v[3:4], v6, off
.LBB111_219:
	s_and_b32 vcc_lo, exec_lo, s6
	s_cbranch_vccz .LBB111_224
; %bb.220:
	v_cmp_eq_u16_e32 vcc_lo, 44, v5
	s_mov_b32 s2, -1
	s_cbranch_vccz .LBB111_224
; %bb.221:
	s_and_b32 s5, 0xffff, s4
	v_mov_b32_e32 v6, 0xff
	s_bfe_u32 s2, s5, 0x80007
	s_delay_alu instid0(SALU_CYCLE_1)
	s_cmpk_eq_i32 s2, 0xff
	s_cbranch_scc1 .LBB111_223
; %bb.222:
	s_lshr_b32 s6, s5, 7
	s_lshl_b32 s7, s5, 16
	s_bitcmp1_b32 s5, 6
	s_cselect_b32 s5, -1, 0
	s_and_b32 s7, s7, 0x3f0000
	s_delay_alu instid0(SALU_CYCLE_1) | instskip(NEXT) | instid1(SALU_CYCLE_1)
	s_or_b32 s2, s2, s7
	s_cmp_lg_u32 s2, 0
	s_cselect_b32 s2, -1, 0
	s_delay_alu instid0(SALU_CYCLE_1) | instskip(NEXT) | instid1(SALU_CYCLE_1)
	s_and_b32 s2, s5, s2
	v_cndmask_b32_e64 v6, 0, 1, s2
	s_delay_alu instid0(VALU_DEP_1)
	v_add_nc_u32_e32 v6, s6, v6
.LBB111_223:
	s_mov_b32 s2, 0
	s_mov_b32 s5, -1
	global_store_b8 v[3:4], v6, off
.LBB111_224:
	s_mov_b32 s6, 0
.LBB111_225:
	s_delay_alu instid0(SALU_CYCLE_1)
	s_and_b32 vcc_lo, exec_lo, s6
	s_cbranch_vccz .LBB111_228
; %bb.226:
	v_cmp_eq_u16_e32 vcc_lo, 29, v5
	s_mov_b32 s2, -1
	s_cbranch_vccz .LBB111_228
; %bb.227:
	s_lshl_b32 s2, s4, 16
	s_mov_b32 s5, -1
	v_trunc_f32_e32 v6, s2
	s_mov_b32 s2, 0
	s_delay_alu instid0(VALU_DEP_1) | instskip(NEXT) | instid1(VALU_DEP_1)
	v_mul_f32_e32 v7, 0x2f800000, v6
	v_floor_f32_e32 v7, v7
	s_delay_alu instid0(VALU_DEP_1) | instskip(SKIP_1) | instid1(VALU_DEP_2)
	v_fmamk_f32 v6, v7, 0xcf800000, v6
	v_cvt_u32_f32_e32 v7, v7
	v_cvt_u32_f32_e32 v6, v6
	global_store_b64 v[3:4], v[6:7], off
.LBB111_228:
	s_mov_b32 s6, 0
.LBB111_229:
	s_delay_alu instid0(SALU_CYCLE_1)
	s_and_b32 vcc_lo, exec_lo, s6
	s_cbranch_vccz .LBB111_305
; %bb.230:
	v_cmp_gt_i16_e32 vcc_lo, 27, v5
	s_mov_b32 s5, -1
	s_cbranch_vccnz .LBB111_236
; %bb.231:
	v_cmp_lt_i16_e32 vcc_lo, 27, v5
	s_cbranch_vccz .LBB111_233
; %bb.232:
	s_lshl_b32 s5, s4, 16
	s_delay_alu instid0(SALU_CYCLE_1)
	v_cvt_u32_f32_e32 v6, s5
	s_mov_b32 s5, 0
	global_store_b32 v[3:4], v6, off
.LBB111_233:
	s_and_not1_b32 vcc_lo, exec_lo, s5
	s_cbranch_vccnz .LBB111_235
; %bb.234:
	s_lshl_b32 s5, s4, 16
	s_delay_alu instid0(SALU_CYCLE_1)
	v_cvt_u32_f32_e32 v6, s5
	global_store_b16 v[3:4], v6, off
.LBB111_235:
	s_mov_b32 s5, 0
.LBB111_236:
	s_delay_alu instid0(SALU_CYCLE_1)
	s_and_not1_b32 vcc_lo, exec_lo, s5
	s_cbranch_vccnz .LBB111_304
; %bb.237:
	s_lshl_b32 s6, s4, 16
	v_mov_b32_e32 v7, 0x80
	s_and_b32 s7, s6, 0x7fffffff
	s_delay_alu instid0(SALU_CYCLE_1)
	s_cmp_gt_u32 s7, 0x437fffff
	s_cbranch_scc1 .LBB111_303
; %bb.238:
	s_and_b32 s5, 0xffff, s4
	s_cmp_gt_u32 s7, 0x3bffffff
	s_cbranch_scc0 .LBB111_298
; %bb.239:
	s_bfe_u32 s7, s5, 0x10004
	s_mov_b32 s10, 0
	s_add_i32 s7, s6, s7
	s_delay_alu instid0(SALU_CYCLE_1) | instskip(NEXT) | instid1(SALU_CYCLE_1)
	s_add_i32 s7, s7, 0x487ffff
	s_lshr_b32 s11, s7, 20
	s_mov_b32 s7, -1
	s_branch .LBB111_299
.LBB111_240:
                                        ; implicit-def: $vgpr2
	s_branch .LBB111_246
.LBB111_241:
	v_mov_b32_e32 v3, v12
.LBB111_242:
	s_and_b32 s60, s60, 3
	s_delay_alu instid0(SALU_CYCLE_1)
	s_cmp_eq_u32 s60, 0
	s_cbranch_scc1 .LBB111_245
; %bb.243:
	s_lshl_b32 s16, s58, 2
	s_mul_i32 s18, s58, 12
	s_add_u32 s16, s16, s2
	s_addc_u32 s17, s3, 0
	s_add_u32 s16, s16, 0xc4
	s_addc_u32 s17, s17, 0
	;; [unrolled: 2-line block ×3, first 2 shown]
	.p2align	6
.LBB111_244:                            ; =>This Inner Loop Header: Depth=1
	s_clause 0x1
	s_load_b64 s[62:63], s[18:19], 0x4
	s_load_b32 s58, s[18:19], 0xc
	s_load_b32 s61, s[16:17], 0x0
	s_add_u32 s18, s18, 12
	s_addc_u32 s19, s19, 0
	s_add_u32 s16, s16, 4
	s_addc_u32 s17, s17, 0
	s_add_i32 s60, s60, -1
	s_delay_alu instid0(SALU_CYCLE_1) | instskip(SKIP_2) | instid1(VALU_DEP_1)
	s_cmp_lg_u32 s60, 0
	s_waitcnt lgkmcnt(0)
	v_mul_hi_u32 v8, s63, v3
	v_add_nc_u32_e32 v8, v3, v8
	s_delay_alu instid0(VALU_DEP_1) | instskip(NEXT) | instid1(VALU_DEP_1)
	v_lshrrev_b32_e32 v17, s58, v8
	v_mul_lo_u32 v8, v17, s62
	s_delay_alu instid0(VALU_DEP_1) | instskip(NEXT) | instid1(VALU_DEP_1)
	v_sub_nc_u32_e32 v3, v3, v8
	v_mad_u64_u32 v[8:9], null, v3, s61, v[2:3]
	s_delay_alu instid0(VALU_DEP_1)
	v_dual_mov_b32 v3, v17 :: v_dual_mov_b32 v2, v8
	s_cbranch_scc1 .LBB111_244
.LBB111_245:
	s_cbranch_execnz .LBB111_248
.LBB111_246:
	s_waitcnt lgkmcnt(0)
	v_mul_hi_u32 v2, s5, v12
	s_and_not1_b32 vcc_lo, exec_lo, s52
	s_delay_alu instid0(VALU_DEP_1) | instskip(NEXT) | instid1(VALU_DEP_1)
	v_add_nc_u32_e32 v2, v12, v2
	v_lshrrev_b32_e32 v3, s6, v2
	s_delay_alu instid0(VALU_DEP_1) | instskip(NEXT) | instid1(VALU_DEP_1)
	v_mul_lo_u32 v2, v3, s4
	v_sub_nc_u32_e32 v2, v12, v2
	s_delay_alu instid0(VALU_DEP_1)
	v_mul_lo_u32 v2, v2, s10
	s_cbranch_vccnz .LBB111_248
; %bb.247:
	v_mul_hi_u32 v8, s12, v3
	s_delay_alu instid0(VALU_DEP_1) | instskip(NEXT) | instid1(VALU_DEP_1)
	v_add_nc_u32_e32 v8, v3, v8
	v_lshrrev_b32_e32 v8, s13, v8
	s_delay_alu instid0(VALU_DEP_1) | instskip(NEXT) | instid1(VALU_DEP_1)
	v_mul_lo_u32 v8, v8, s7
	v_sub_nc_u32_e32 v3, v3, v8
	s_delay_alu instid0(VALU_DEP_1) | instskip(NEXT) | instid1(VALU_DEP_1)
	v_mad_u64_u32 v[8:9], null, v3, s11, v[2:3]
	v_mov_b32_e32 v2, v8
.LBB111_248:
	v_and_b32_e64 v17, 0xff, s51
	s_delay_alu instid0(VALU_DEP_2) | instskip(NEXT) | instid1(VALU_DEP_1)
	v_add_co_u32 v8, s16, s8, v2
	v_add_co_ci_u32_e64 v9, null, s9, 0, s16
	s_delay_alu instid0(VALU_DEP_3)
	v_cmp_gt_i16_e32 vcc_lo, 11, v17
	s_mov_b32 s17, 0
	s_mov_b32 s18, -1
	s_mov_b32 s16, s56
	s_cbranch_vccnz .LBB111_255
; %bb.249:
	v_cmp_lt_i16_e32 vcc_lo, 25, v17
	s_cbranch_vccz .LBB111_295
; %bb.250:
	v_cmp_lt_i16_e32 vcc_lo, 28, v17
	s_cbranch_vccz .LBB111_296
	;; [unrolled: 3-line block ×4, first 2 shown]
; %bb.253:
	v_cmp_eq_u16_e32 vcc_lo, 46, v17
	s_mov_b32 s18, 0
	s_mov_b32 s16, -1
	s_cbranch_vccz .LBB111_314
; %bb.254:
	v_mov_b32_e32 v2, s50
	s_mov_b32 s17, -1
	s_mov_b32 s16, 0
	global_store_b32 v[8:9], v2, off
	s_branch .LBB111_314
.LBB111_255:
	s_and_b32 vcc_lo, exec_lo, s18
	s_cbranch_vccz .LBB111_359
; %bb.256:
	v_cmp_gt_i16_e32 vcc_lo, 5, v17
	s_mov_b32 s17, -1
	s_cbranch_vccnz .LBB111_277
; %bb.257:
	v_cmp_gt_i16_e32 vcc_lo, 8, v17
	s_cbranch_vccnz .LBB111_267
; %bb.258:
	v_cmp_gt_i16_e32 vcc_lo, 9, v17
	s_cbranch_vccnz .LBB111_264
; %bb.259:
	v_cmp_lt_i16_e32 vcc_lo, 9, v17
	s_cbranch_vccz .LBB111_261
; %bb.260:
	v_mov_b32_e32 v2, 0
	s_mov_b32 s17, 0
	s_delay_alu instid0(VALU_DEP_1)
	v_mov_b32_e32 v3, v2
	global_store_b128 v[8:9], v[0:3], off
.LBB111_261:
	s_and_not1_b32 vcc_lo, exec_lo, s17
	s_cbranch_vccnz .LBB111_263
; %bb.262:
	v_dual_mov_b32 v2, s25 :: v_dual_mov_b32 v3, 0
	global_store_b64 v[8:9], v[2:3], off
.LBB111_263:
	s_mov_b32 s17, 0
.LBB111_264:
	s_delay_alu instid0(SALU_CYCLE_1)
	s_and_not1_b32 vcc_lo, exec_lo, s17
	s_cbranch_vccnz .LBB111_266
; %bb.265:
	global_store_b32 v[8:9], v13, off
.LBB111_266:
	s_mov_b32 s17, 0
.LBB111_267:
	s_delay_alu instid0(SALU_CYCLE_1)
	s_and_not1_b32 vcc_lo, exec_lo, s17
	s_cbranch_vccnz .LBB111_276
; %bb.268:
	v_cmp_gt_i16_e32 vcc_lo, 6, v17
	s_mov_b32 s17, -1
	s_cbranch_vccnz .LBB111_274
; %bb.269:
	v_cmp_lt_i16_e32 vcc_lo, 6, v17
	s_cbranch_vccz .LBB111_271
; %bb.270:
	s_mov_b32 s17, 0
	global_store_b64 v[8:9], v[0:1], off
.LBB111_271:
	s_and_not1_b32 vcc_lo, exec_lo, s17
	s_cbranch_vccnz .LBB111_273
; %bb.272:
	v_mov_b32_e32 v2, s25
	global_store_b32 v[8:9], v2, off
.LBB111_273:
	s_mov_b32 s17, 0
.LBB111_274:
	s_delay_alu instid0(SALU_CYCLE_1)
	s_and_not1_b32 vcc_lo, exec_lo, s17
	s_cbranch_vccnz .LBB111_276
; %bb.275:
	global_store_b16 v[8:9], v11, off
.LBB111_276:
	s_mov_b32 s17, 0
.LBB111_277:
	s_delay_alu instid0(SALU_CYCLE_1)
	s_and_not1_b32 vcc_lo, exec_lo, s17
	s_cbranch_vccnz .LBB111_293
; %bb.278:
	v_cmp_gt_i16_e32 vcc_lo, 2, v17
	s_mov_b32 s17, -1
	s_cbranch_vccnz .LBB111_288
; %bb.279:
	v_cmp_gt_i16_e32 vcc_lo, 3, v17
	s_cbranch_vccnz .LBB111_285
; %bb.280:
	v_cmp_lt_i16_e32 vcc_lo, 3, v17
	s_cbranch_vccz .LBB111_282
; %bb.281:
	s_mov_b32 s17, 0
	global_store_b64 v[8:9], v[4:5], off
.LBB111_282:
	s_and_not1_b32 vcc_lo, exec_lo, s17
	s_cbranch_vccnz .LBB111_284
; %bb.283:
	global_store_b32 v[8:9], v10, off
.LBB111_284:
	s_mov_b32 s17, 0
.LBB111_285:
	s_delay_alu instid0(SALU_CYCLE_1)
	s_and_not1_b32 vcc_lo, exec_lo, s17
	s_cbranch_vccnz .LBB111_287
; %bb.286:
	global_store_b16 v[8:9], v10, off
.LBB111_287:
	s_mov_b32 s17, 0
.LBB111_288:
	s_delay_alu instid0(SALU_CYCLE_1)
	s_and_not1_b32 vcc_lo, exec_lo, s17
	s_cbranch_vccnz .LBB111_293
; %bb.289:
	v_cmp_lt_i16_e32 vcc_lo, 0, v17
	s_mov_b32 s17, -1
	s_cbranch_vccz .LBB111_291
; %bb.290:
	s_mov_b32 s17, 0
	global_store_b8 v[8:9], v10, off
.LBB111_291:
	s_and_not1_b32 vcc_lo, exec_lo, s17
	s_cbranch_vccnz .LBB111_293
; %bb.292:
	global_store_b8 v[8:9], v4, off
.LBB111_293:
	s_branch .LBB111_360
.LBB111_294:
	s_mov_b32 s17, 0
                                        ; implicit-def: $vgpr12
	s_branch .LBB111_361
.LBB111_295:
	s_mov_b32 s16, s56
	s_branch .LBB111_336
.LBB111_296:
	s_mov_b32 s16, s56
	s_branch .LBB111_322
.LBB111_297:
	s_mov_b32 s16, s56
	s_branch .LBB111_318
.LBB111_298:
	s_mov_b32 s10, -1
	s_mov_b32 s7, 0
                                        ; implicit-def: $sgpr11
.LBB111_299:
	v_mov_b32_e32 v6, s11
	s_and_not1_b32 vcc_lo, exec_lo, s10
                                        ; implicit-def: $sgpr10
	s_cbranch_vccnz .LBB111_301
; %bb.300:
	v_add_f32_e64 v6, 0x46000000, |s6|
	s_mov_b32 s10, 0
	s_delay_alu instid0(VALU_DEP_1) | instskip(NEXT) | instid1(VALU_DEP_1)
	v_and_b32_e32 v6, 0xff, v6
	v_cmp_ne_u32_e64 s7, 0, v6
.LBB111_301:
	v_mov_b32_e32 v7, s10
	s_delay_alu instid0(VALU_DEP_2)
	s_and_not1_b32 vcc_lo, exec_lo, s7
	s_cbranch_vccnz .LBB111_303
; %bb.302:
	s_lshr_b32 s5, s5, 8
	s_delay_alu instid0(SALU_CYCLE_1) | instskip(NEXT) | instid1(SALU_CYCLE_1)
	s_and_b32 s5, s5, 0x80
	v_or_b32_e32 v7, s5, v6
.LBB111_303:
	global_store_b8 v[3:4], v7, off
.LBB111_304:
	s_mov_b32 s5, -1
.LBB111_305:
	s_mov_b32 s6, 0
.LBB111_306:
	s_delay_alu instid0(SALU_CYCLE_1)
	s_and_b32 vcc_lo, exec_lo, s6
	s_cbranch_vccz .LBB111_467
; %bb.307:
	v_cmp_lt_i16_e32 vcc_lo, 22, v5
	s_mov_b32 s3, -1
	s_cbranch_vccz .LBB111_460
; %bb.308:
	v_cmp_gt_i16_e32 vcc_lo, 24, v5
	s_cbranch_vccnz .LBB111_447
; %bb.309:
	v_cmp_lt_i16_e32 vcc_lo, 24, v5
	s_cbranch_vccz .LBB111_434
; %bb.310:
	s_lshl_b32 s5, s4, 16
	v_mov_b32_e32 v7, 0x80
	s_and_b32 s6, s5, 0x7fffffff
	s_delay_alu instid0(SALU_CYCLE_1)
	s_cmp_gt_u32 s6, 0x477fffff
	s_cbranch_scc1 .LBB111_433
; %bb.311:
	s_and_b32 s3, 0xffff, s4
	s_cmp_gt_u32 s6, 0x37ffffff
	s_cbranch_scc0 .LBB111_428
; %bb.312:
	s_bfe_u32 s6, s3, 0x10005
	s_mov_b32 s7, 0
	s_add_i32 s6, s5, s6
	s_delay_alu instid0(SALU_CYCLE_1) | instskip(NEXT) | instid1(SALU_CYCLE_1)
	s_add_i32 s6, s6, 0x88fffff
	s_lshr_b32 s10, s6, 21
	s_mov_b32 s6, -1
	s_branch .LBB111_429
.LBB111_313:
	s_mov_b32 s16, s56
.LBB111_314:
	s_and_b32 vcc_lo, exec_lo, s18
	s_cbranch_vccz .LBB111_317
; %bb.315:
	v_cmp_eq_u16_e32 vcc_lo, 44, v17
	s_mov_b32 s16, -1
	s_cbranch_vccz .LBB111_317
; %bb.316:
	v_cndmask_b32_e64 v2, v16, 0xff, s49
	s_mov_b32 s17, -1
	s_mov_b32 s16, 0
	global_store_b8 v[8:9], v2, off
.LBB111_317:
	s_mov_b32 s18, 0
.LBB111_318:
	s_delay_alu instid0(SALU_CYCLE_1)
	s_and_b32 vcc_lo, exec_lo, s18
	s_cbranch_vccz .LBB111_321
; %bb.319:
	v_cmp_eq_u16_e32 vcc_lo, 29, v17
	s_mov_b32 s16, -1
	s_cbranch_vccz .LBB111_321
; %bb.320:
	s_mov_b32 s17, -1
	s_mov_b32 s16, 0
	global_store_b64 v[8:9], v[6:7], off
.LBB111_321:
	s_mov_b32 s18, 0
.LBB111_322:
	s_delay_alu instid0(SALU_CYCLE_1)
	s_and_b32 vcc_lo, exec_lo, s18
	s_cbranch_vccz .LBB111_335
; %bb.323:
	v_cmp_gt_i16_e32 vcc_lo, 27, v17
	s_mov_b32 s17, -1
	s_cbranch_vccnz .LBB111_329
; %bb.324:
	v_cmp_lt_i16_e32 vcc_lo, 27, v17
	s_cbranch_vccz .LBB111_326
; %bb.325:
	s_mov_b32 s17, 0
	global_store_b32 v[8:9], v15, off
.LBB111_326:
	s_and_not1_b32 vcc_lo, exec_lo, s17
	s_cbranch_vccnz .LBB111_328
; %bb.327:
	global_store_b16 v[8:9], v15, off
.LBB111_328:
	s_mov_b32 s17, 0
.LBB111_329:
	s_delay_alu instid0(SALU_CYCLE_1)
	s_and_not1_b32 vcc_lo, exec_lo, s17
	s_cbranch_vccnz .LBB111_334
; %bb.330:
	s_and_not1_b32 vcc_lo, exec_lo, s47
	s_movk_i32 s17, 0x80
	s_cbranch_vccnz .LBB111_333
; %bb.331:
	s_or_b32 s17, s44, s48
	s_delay_alu instid0(SALU_CYCLE_1)
	s_and_not1_b32 vcc_lo, exec_lo, s17
	s_mov_b32 s17, 0
	s_cbranch_vccnz .LBB111_333
; %bb.332:
	s_and_b32 s17, s44, exec_lo
	s_cselect_b32 s17, s45, s43
	s_delay_alu instid0(SALU_CYCLE_1)
	s_or_b32 s17, s17, s27
.LBB111_333:
	s_delay_alu instid0(SALU_CYCLE_1)
	v_mov_b32_e32 v2, s17
	global_store_b8 v[8:9], v2, off
.LBB111_334:
	s_mov_b32 s17, -1
.LBB111_335:
	s_mov_b32 s18, 0
.LBB111_336:
	s_delay_alu instid0(SALU_CYCLE_1)
	s_and_b32 vcc_lo, exec_lo, s18
	s_cbranch_vccz .LBB111_358
; %bb.337:
	v_cmp_lt_i16_e32 vcc_lo, 22, v17
	s_mov_b32 s18, -1
	s_cbranch_vccz .LBB111_350
; %bb.338:
	v_cmp_gt_i16_e32 vcc_lo, 24, v17
	s_mov_b32 s17, -1
	s_cbranch_vccnz .LBB111_347
; %bb.339:
	v_cmp_lt_i16_e32 vcc_lo, 24, v17
	s_cbranch_vccz .LBB111_344
; %bb.340:
	s_and_not1_b32 vcc_lo, exec_lo, s38
	s_movk_i32 s17, 0x80
	s_cbranch_vccnz .LBB111_343
; %bb.341:
	s_or_b32 s17, s33, s39
	s_delay_alu instid0(SALU_CYCLE_1)
	s_and_not1_b32 vcc_lo, exec_lo, s17
	s_mov_b32 s17, 0
	s_cbranch_vccnz .LBB111_343
; %bb.342:
	s_and_b32 s17, s33, exec_lo
	s_cselect_b32 s17, s34, s31
	s_delay_alu instid0(SALU_CYCLE_1)
	s_or_b32 s17, s17, s27
.LBB111_343:
	s_delay_alu instid0(SALU_CYCLE_1)
	v_mov_b32_e32 v2, s17
	s_mov_b32 s17, 0
	global_store_b8 v[8:9], v2, off
.LBB111_344:
	s_and_b32 vcc_lo, exec_lo, s17
	s_cbranch_vccz .LBB111_346
; %bb.345:
	s_and_b32 s17, s30, exec_lo
	s_cselect_b32 s17, s41, s40
	s_and_b32 s18, s29, exec_lo
	s_cselect_b32 s17, s46, s17
	s_delay_alu instid0(SALU_CYCLE_1) | instskip(NEXT) | instid1(SALU_CYCLE_1)
	s_or_b32 s17, s17, s27
	v_mov_b32_e32 v2, s17
	global_store_b8 v[8:9], v2, off
.LBB111_346:
	s_mov_b32 s17, 0
.LBB111_347:
	s_delay_alu instid0(SALU_CYCLE_1)
	s_and_not1_b32 vcc_lo, exec_lo, s17
	s_cbranch_vccnz .LBB111_349
; %bb.348:
	s_and_b32 s17, s35, exec_lo
	s_cselect_b32 s17, s37, s36
	s_and_b32 s18, s28, exec_lo
	s_cselect_b32 s17, s42, s17
	s_delay_alu instid0(SALU_CYCLE_1) | instskip(NEXT) | instid1(SALU_CYCLE_1)
	s_or_b32 s17, s17, s27
	v_mov_b32_e32 v2, s17
	global_store_b8 v[8:9], v2, off
.LBB111_349:
	s_mov_b32 s18, 0
	s_mov_b32 s17, -1
.LBB111_350:
	s_and_not1_b32 vcc_lo, exec_lo, s18
	s_cbranch_vccnz .LBB111_358
; %bb.351:
	v_cmp_lt_i16_e32 vcc_lo, 14, v17
	s_mov_b32 s18, -1
	s_cbranch_vccz .LBB111_355
; %bb.352:
	v_cmp_eq_u16_e32 vcc_lo, 15, v17
	s_mov_b32 s16, -1
	s_cbranch_vccz .LBB111_354
; %bb.353:
	v_mov_b32_e32 v2, s26
	s_mov_b32 s17, -1
	s_mov_b32 s16, 0
	global_store_b16 v[8:9], v2, off
.LBB111_354:
	s_mov_b32 s18, 0
.LBB111_355:
	s_delay_alu instid0(SALU_CYCLE_1)
	s_and_b32 vcc_lo, exec_lo, s18
	s_cbranch_vccz .LBB111_358
; %bb.356:
	v_cmp_eq_u16_e32 vcc_lo, 11, v17
	s_mov_b32 s16, -1
	s_cbranch_vccz .LBB111_358
; %bb.357:
	s_mov_b32 s17, -1
	s_mov_b32 s16, 0
	global_store_b8 v[8:9], v14, off
.LBB111_358:
.LBB111_359:
	s_and_not1_b32 vcc_lo, exec_lo, s17
	s_cbranch_vccnz .LBB111_294
.LBB111_360:
	v_add_nc_u32_e32 v12, 0x80, v12
	s_mov_b32 s17, -1
.LBB111_361:
	s_and_not1_b32 s18, s56, exec_lo
	s_and_b32 s16, s16, exec_lo
	s_delay_alu instid0(SALU_CYCLE_1)
	s_or_b32 s58, s18, s16
	s_or_not1_b32 s18, s17, exec_lo
.LBB111_362:
	s_or_b32 exec_lo, exec_lo, s59
	s_mov_b32 s16, 0
	s_mov_b32 s17, 0
                                        ; implicit-def: $vgpr17
                                        ; implicit-def: $vgpr8_vgpr9
	s_and_saveexec_b32 s59, s18
	s_cbranch_execz .LBB111_676
; %bb.363:
	s_mov_b32 s61, -1
	s_mov_b32 s18, s58
	s_mov_b32 s60, exec_lo
	v_cmpx_gt_i32_e64 s53, v12
	s_cbranch_execz .LBB111_607
; %bb.364:
	s_and_not1_b32 vcc_lo, exec_lo, s23
	s_cbranch_vccnz .LBB111_369
; %bb.365:
	v_mov_b32_e32 v2, 0
	s_and_not1_b32 vcc_lo, exec_lo, s55
	s_cbranch_vccnz .LBB111_374
; %bb.366:
	s_add_i32 s62, s54, 1
	s_cmp_eq_u32 s21, 2
	s_mov_b32 s61, 0
	s_cbranch_scc1 .LBB111_370
; %bb.367:
	v_dual_mov_b32 v2, 0 :: v_dual_mov_b32 v3, v12
	s_and_b32 s61, s62, 28
	s_mov_b32 s63, 0
	s_mov_b64 s[16:17], s[2:3]
	s_mov_b64 s[18:19], s[14:15]
.LBB111_368:                            ; =>This Inner Loop Header: Depth=1
	s_clause 0x1
	s_load_b256 s[64:71], s[16:17], 0x4
	s_load_b128 s[72:75], s[16:17], 0x24
	s_load_b128 s[76:79], s[18:19], 0x0
	s_add_u32 s16, s16, 48
	s_addc_u32 s17, s17, 0
	s_add_i32 s63, s63, 4
	s_add_u32 s18, s18, 16
	s_addc_u32 s19, s19, 0
	s_cmp_eq_u32 s61, s63
	s_waitcnt lgkmcnt(0)
	v_mul_hi_u32 v8, s65, v3
	s_delay_alu instid0(VALU_DEP_1) | instskip(NEXT) | instid1(VALU_DEP_1)
	v_add_nc_u32_e32 v8, v3, v8
	v_lshrrev_b32_e32 v8, s66, v8
	s_delay_alu instid0(VALU_DEP_1) | instskip(SKIP_1) | instid1(VALU_DEP_2)
	v_mul_hi_u32 v9, s68, v8
	v_mul_lo_u32 v19, v8, s64
	v_add_nc_u32_e32 v9, v8, v9
	s_delay_alu instid0(VALU_DEP_2) | instskip(NEXT) | instid1(VALU_DEP_2)
	v_sub_nc_u32_e32 v19, v3, v19
	v_lshrrev_b32_e32 v9, s69, v9
	s_delay_alu instid0(VALU_DEP_2) | instskip(NEXT) | instid1(VALU_DEP_2)
	v_mul_lo_u32 v19, v19, s76
	v_mul_hi_u32 v17, s71, v9
	v_mul_lo_u32 v20, v9, s67
	s_delay_alu instid0(VALU_DEP_2) | instskip(NEXT) | instid1(VALU_DEP_2)
	v_add_nc_u32_e32 v17, v9, v17
	v_sub_nc_u32_e32 v8, v8, v20
	s_delay_alu instid0(VALU_DEP_2) | instskip(NEXT) | instid1(VALU_DEP_2)
	v_lshrrev_b32_e32 v17, s72, v17
	v_mul_lo_u32 v8, v8, s77
	s_delay_alu instid0(VALU_DEP_2) | instskip(NEXT) | instid1(VALU_DEP_2)
	v_mul_hi_u32 v18, s74, v17
	v_add3_u32 v2, v19, v2, v8
	s_delay_alu instid0(VALU_DEP_2) | instskip(NEXT) | instid1(VALU_DEP_1)
	v_add_nc_u32_e32 v18, v17, v18
	v_lshrrev_b32_e32 v3, s75, v18
	v_mul_lo_u32 v18, v17, s70
	s_delay_alu instid0(VALU_DEP_2) | instskip(NEXT) | instid1(VALU_DEP_2)
	v_mul_lo_u32 v21, v3, s73
	v_sub_nc_u32_e32 v9, v9, v18
	s_delay_alu instid0(VALU_DEP_2) | instskip(NEXT) | instid1(VALU_DEP_2)
	v_sub_nc_u32_e32 v17, v17, v21
	v_mul_lo_u32 v9, v9, s78
	s_delay_alu instid0(VALU_DEP_2) | instskip(NEXT) | instid1(VALU_DEP_1)
	v_mul_lo_u32 v17, v17, s79
	v_add3_u32 v2, v9, v2, v17
	s_cbranch_scc0 .LBB111_368
	s_branch .LBB111_371
.LBB111_369:
	s_mov_b32 s16, -1
                                        ; implicit-def: $vgpr2
	s_branch .LBB111_375
.LBB111_370:
	v_mov_b32_e32 v3, v12
.LBB111_371:
	s_and_b32 s62, s62, 3
	s_delay_alu instid0(SALU_CYCLE_1)
	s_cmp_eq_u32 s62, 0
	s_cbranch_scc1 .LBB111_374
; %bb.372:
	s_lshl_b32 s16, s61, 2
	s_mul_i32 s18, s61, 12
	s_add_u32 s16, s16, s2
	s_addc_u32 s17, s3, 0
	s_add_u32 s16, s16, 0xc4
	s_addc_u32 s17, s17, 0
	;; [unrolled: 2-line block ×3, first 2 shown]
	.p2align	6
.LBB111_373:                            ; =>This Inner Loop Header: Depth=1
	s_clause 0x1
	s_load_b64 s[64:65], s[18:19], 0x4
	s_load_b32 s61, s[18:19], 0xc
	s_load_b32 s63, s[16:17], 0x0
	s_add_u32 s18, s18, 12
	s_addc_u32 s19, s19, 0
	s_add_u32 s16, s16, 4
	s_addc_u32 s17, s17, 0
	s_add_i32 s62, s62, -1
	s_delay_alu instid0(SALU_CYCLE_1) | instskip(SKIP_2) | instid1(VALU_DEP_1)
	s_cmp_lg_u32 s62, 0
	s_waitcnt lgkmcnt(0)
	v_mul_hi_u32 v8, s65, v3
	v_add_nc_u32_e32 v8, v3, v8
	s_delay_alu instid0(VALU_DEP_1) | instskip(NEXT) | instid1(VALU_DEP_1)
	v_lshrrev_b32_e32 v17, s61, v8
	v_mul_lo_u32 v8, v17, s64
	s_delay_alu instid0(VALU_DEP_1) | instskip(NEXT) | instid1(VALU_DEP_1)
	v_sub_nc_u32_e32 v3, v3, v8
	v_mad_u64_u32 v[8:9], null, v3, s63, v[2:3]
	s_delay_alu instid0(VALU_DEP_1)
	v_dual_mov_b32 v3, v17 :: v_dual_mov_b32 v2, v8
	s_cbranch_scc1 .LBB111_373
.LBB111_374:
	s_mov_b32 s16, 0
.LBB111_375:
	s_delay_alu instid0(SALU_CYCLE_1)
	s_and_not1_b32 vcc_lo, exec_lo, s16
	s_cbranch_vccnz .LBB111_378
; %bb.376:
	s_waitcnt lgkmcnt(0)
	v_mul_hi_u32 v2, s5, v12
	s_and_not1_b32 vcc_lo, exec_lo, s52
	s_delay_alu instid0(VALU_DEP_1) | instskip(NEXT) | instid1(VALU_DEP_1)
	v_add_nc_u32_e32 v2, v12, v2
	v_lshrrev_b32_e32 v3, s6, v2
	s_delay_alu instid0(VALU_DEP_1) | instskip(NEXT) | instid1(VALU_DEP_1)
	v_mul_lo_u32 v2, v3, s4
	v_sub_nc_u32_e32 v2, v12, v2
	s_delay_alu instid0(VALU_DEP_1)
	v_mul_lo_u32 v2, v2, s10
	s_cbranch_vccnz .LBB111_378
; %bb.377:
	v_mul_hi_u32 v8, s12, v3
	s_delay_alu instid0(VALU_DEP_1) | instskip(NEXT) | instid1(VALU_DEP_1)
	v_add_nc_u32_e32 v8, v3, v8
	v_lshrrev_b32_e32 v8, s13, v8
	s_delay_alu instid0(VALU_DEP_1) | instskip(NEXT) | instid1(VALU_DEP_1)
	v_mul_lo_u32 v8, v8, s7
	v_sub_nc_u32_e32 v3, v3, v8
	s_delay_alu instid0(VALU_DEP_1) | instskip(NEXT) | instid1(VALU_DEP_1)
	v_mad_u64_u32 v[8:9], null, v3, s11, v[2:3]
	v_mov_b32_e32 v2, v8
.LBB111_378:
	v_and_b32_e64 v17, 0xff, s51
	s_delay_alu instid0(VALU_DEP_2) | instskip(NEXT) | instid1(VALU_DEP_1)
	v_add_co_u32 v8, s16, s8, v2
	v_add_co_ci_u32_e64 v9, null, s9, 0, s16
	s_delay_alu instid0(VALU_DEP_3)
	v_cmp_gt_i16_e32 vcc_lo, 11, v17
	s_mov_b32 s17, 0
	s_mov_b32 s18, -1
	s_mov_b32 s16, s58
	s_cbranch_vccnz .LBB111_385
; %bb.379:
	v_cmp_lt_i16_e32 vcc_lo, 25, v17
	s_cbranch_vccz .LBB111_425
; %bb.380:
	v_cmp_lt_i16_e32 vcc_lo, 28, v17
	s_cbranch_vccz .LBB111_426
; %bb.381:
	v_cmp_lt_i16_e32 vcc_lo, 43, v17
	s_cbranch_vccz .LBB111_427
; %bb.382:
	v_cmp_lt_i16_e32 vcc_lo, 45, v17
	s_cbranch_vccz .LBB111_558
; %bb.383:
	v_cmp_eq_u16_e32 vcc_lo, 46, v17
	s_mov_b32 s18, 0
	s_mov_b32 s16, -1
	s_cbranch_vccz .LBB111_559
; %bb.384:
	v_mov_b32_e32 v2, s50
	s_mov_b32 s17, -1
	s_mov_b32 s16, 0
	global_store_b32 v[8:9], v2, off
	s_branch .LBB111_559
.LBB111_385:
	s_and_b32 vcc_lo, exec_lo, s18
	s_cbranch_vccz .LBB111_604
; %bb.386:
	v_cmp_gt_i16_e32 vcc_lo, 5, v17
	s_mov_b32 s17, -1
	s_cbranch_vccnz .LBB111_407
; %bb.387:
	v_cmp_gt_i16_e32 vcc_lo, 8, v17
	s_cbranch_vccnz .LBB111_397
; %bb.388:
	v_cmp_gt_i16_e32 vcc_lo, 9, v17
	s_cbranch_vccnz .LBB111_394
; %bb.389:
	v_cmp_lt_i16_e32 vcc_lo, 9, v17
	s_cbranch_vccz .LBB111_391
; %bb.390:
	v_mov_b32_e32 v2, 0
	s_mov_b32 s17, 0
	s_delay_alu instid0(VALU_DEP_1)
	v_mov_b32_e32 v3, v2
	global_store_b128 v[8:9], v[0:3], off
.LBB111_391:
	s_and_not1_b32 vcc_lo, exec_lo, s17
	s_cbranch_vccnz .LBB111_393
; %bb.392:
	v_dual_mov_b32 v2, s25 :: v_dual_mov_b32 v3, 0
	global_store_b64 v[8:9], v[2:3], off
.LBB111_393:
	s_mov_b32 s17, 0
.LBB111_394:
	s_delay_alu instid0(SALU_CYCLE_1)
	s_and_not1_b32 vcc_lo, exec_lo, s17
	s_cbranch_vccnz .LBB111_396
; %bb.395:
	global_store_b32 v[8:9], v13, off
.LBB111_396:
	s_mov_b32 s17, 0
.LBB111_397:
	s_delay_alu instid0(SALU_CYCLE_1)
	s_and_not1_b32 vcc_lo, exec_lo, s17
	s_cbranch_vccnz .LBB111_406
; %bb.398:
	v_cmp_gt_i16_e32 vcc_lo, 6, v17
	s_mov_b32 s17, -1
	s_cbranch_vccnz .LBB111_404
; %bb.399:
	v_cmp_lt_i16_e32 vcc_lo, 6, v17
	s_cbranch_vccz .LBB111_401
; %bb.400:
	s_mov_b32 s17, 0
	global_store_b64 v[8:9], v[0:1], off
.LBB111_401:
	s_and_not1_b32 vcc_lo, exec_lo, s17
	s_cbranch_vccnz .LBB111_403
; %bb.402:
	v_mov_b32_e32 v2, s25
	global_store_b32 v[8:9], v2, off
.LBB111_403:
	s_mov_b32 s17, 0
.LBB111_404:
	s_delay_alu instid0(SALU_CYCLE_1)
	s_and_not1_b32 vcc_lo, exec_lo, s17
	s_cbranch_vccnz .LBB111_406
; %bb.405:
	global_store_b16 v[8:9], v11, off
.LBB111_406:
	s_mov_b32 s17, 0
.LBB111_407:
	s_delay_alu instid0(SALU_CYCLE_1)
	s_and_not1_b32 vcc_lo, exec_lo, s17
	s_cbranch_vccnz .LBB111_423
; %bb.408:
	v_cmp_gt_i16_e32 vcc_lo, 2, v17
	s_mov_b32 s17, -1
	s_cbranch_vccnz .LBB111_418
; %bb.409:
	v_cmp_gt_i16_e32 vcc_lo, 3, v17
	s_cbranch_vccnz .LBB111_415
; %bb.410:
	v_cmp_lt_i16_e32 vcc_lo, 3, v17
	s_cbranch_vccz .LBB111_412
; %bb.411:
	s_mov_b32 s17, 0
	global_store_b64 v[8:9], v[4:5], off
.LBB111_412:
	s_and_not1_b32 vcc_lo, exec_lo, s17
	s_cbranch_vccnz .LBB111_414
; %bb.413:
	global_store_b32 v[8:9], v10, off
.LBB111_414:
	s_mov_b32 s17, 0
.LBB111_415:
	s_delay_alu instid0(SALU_CYCLE_1)
	s_and_not1_b32 vcc_lo, exec_lo, s17
	s_cbranch_vccnz .LBB111_417
; %bb.416:
	global_store_b16 v[8:9], v10, off
.LBB111_417:
	s_mov_b32 s17, 0
.LBB111_418:
	s_delay_alu instid0(SALU_CYCLE_1)
	s_and_not1_b32 vcc_lo, exec_lo, s17
	s_cbranch_vccnz .LBB111_423
; %bb.419:
	v_cmp_lt_i16_e32 vcc_lo, 0, v17
	s_mov_b32 s17, -1
	s_cbranch_vccz .LBB111_421
; %bb.420:
	s_mov_b32 s17, 0
	global_store_b8 v[8:9], v10, off
.LBB111_421:
	s_and_not1_b32 vcc_lo, exec_lo, s17
	s_cbranch_vccnz .LBB111_423
; %bb.422:
	global_store_b8 v[8:9], v4, off
.LBB111_423:
	s_branch .LBB111_605
.LBB111_424:
	s_mov_b32 s17, 0
                                        ; implicit-def: $vgpr12
	s_branch .LBB111_606
.LBB111_425:
	s_mov_b32 s16, s58
	s_branch .LBB111_581
.LBB111_426:
	s_mov_b32 s16, s58
	s_branch .LBB111_567
.LBB111_427:
	s_mov_b32 s16, s58
	s_branch .LBB111_563
.LBB111_428:
	s_mov_b32 s7, -1
	s_mov_b32 s6, 0
                                        ; implicit-def: $sgpr10
.LBB111_429:
	v_mov_b32_e32 v6, s10
	s_and_not1_b32 vcc_lo, exec_lo, s7
                                        ; implicit-def: $sgpr7
	s_cbranch_vccnz .LBB111_431
; %bb.430:
	v_add_f32_e64 v6, 0x42800000, |s5|
	s_mov_b32 s7, 0
	s_delay_alu instid0(VALU_DEP_1) | instskip(NEXT) | instid1(VALU_DEP_1)
	v_and_b32_e32 v6, 0xff, v6
	v_cmp_ne_u32_e64 s6, 0, v6
.LBB111_431:
	v_mov_b32_e32 v7, s7
	s_delay_alu instid0(VALU_DEP_2)
	s_and_not1_b32 vcc_lo, exec_lo, s6
	s_cbranch_vccnz .LBB111_433
; %bb.432:
	s_lshr_b32 s3, s3, 8
	s_delay_alu instid0(SALU_CYCLE_1) | instskip(NEXT) | instid1(SALU_CYCLE_1)
	s_and_b32 s3, s3, 0x80
	v_or_b32_e32 v7, s3, v6
.LBB111_433:
	s_mov_b32 s3, 0
	global_store_b8 v[3:4], v7, off
.LBB111_434:
	s_and_b32 vcc_lo, exec_lo, s3
	s_cbranch_vccz .LBB111_446
; %bb.435:
	s_lshl_b32 s6, s4, 16
	s_and_b32 s3, 0xffff, s4
	s_and_b32 s5, s6, 0x7fffffff
	s_delay_alu instid0(SALU_CYCLE_1)
	s_cmp_lt_u32 s5, 0x43f00000
	s_cbranch_scc0 .LBB111_438
; %bb.436:
	s_cmp_gt_u32 s5, 0x3c7fffff
	s_cbranch_scc0 .LBB111_439
; %bb.437:
	s_bfe_u32 s7, s3, 0x10004
	s_delay_alu instid0(SALU_CYCLE_1) | instskip(NEXT) | instid1(SALU_CYCLE_1)
	s_add_i32 s7, s6, s7
	s_add_i32 s7, s7, 0x407ffff
	s_delay_alu instid0(SALU_CYCLE_1)
	s_and_b32 s10, s7, 0xff00000
	s_lshr_b32 s7, s7, 20
	s_cmp_lg_u32 s10, 0x7f00000
	s_cselect_b32 s10, s7, 0x7e
	s_mov_b32 s7, 0
	s_branch .LBB111_440
.LBB111_438:
	s_mov_b32 s6, -1
                                        ; implicit-def: $vgpr6
	s_branch .LBB111_443
.LBB111_439:
	s_mov_b32 s7, -1
                                        ; implicit-def: $sgpr10
.LBB111_440:
	v_mov_b32_e32 v6, s10
	s_and_not1_b32 vcc_lo, exec_lo, s7
	s_cbranch_vccnz .LBB111_442
; %bb.441:
	v_add_f32_e64 v6, 0x46800000, |s6|
.LBB111_442:
	s_mov_b32 s6, 0
.LBB111_443:
	s_delay_alu instid0(SALU_CYCLE_1)
	s_and_not1_b32 vcc_lo, exec_lo, s6
	s_cbranch_vccnz .LBB111_445
; %bb.444:
	s_cmp_gt_u32 s5, 0x7f800000
	s_movk_i32 s5, 0x7f
	s_delay_alu instid0(SALU_CYCLE_1) | instskip(NEXT) | instid1(SALU_CYCLE_1)
	s_cselect_b32 s5, s5, 0x7e
	v_mov_b32_e32 v6, s5
.LBB111_445:
	s_lshr_b32 s3, s3, 8
	s_delay_alu instid0(SALU_CYCLE_1)
	s_and_b32 s3, s3, 0x80
	s_delay_alu instid0(VALU_DEP_1) | instid1(SALU_CYCLE_1)
	v_or_b32_e32 v6, s3, v6
	global_store_b8 v[3:4], v6, off
.LBB111_446:
	s_mov_b32 s3, 0
.LBB111_447:
	s_delay_alu instid0(SALU_CYCLE_1)
	s_and_not1_b32 vcc_lo, exec_lo, s3
	s_cbranch_vccnz .LBB111_459
; %bb.448:
	s_lshl_b32 s6, s4, 16
	s_and_b32 s3, 0xffff, s4
	s_and_b32 s5, s6, 0x7fffffff
	s_delay_alu instid0(SALU_CYCLE_1)
	s_cmp_lt_u32 s5, 0x47800000
	s_cbranch_scc0 .LBB111_451
; %bb.449:
	s_cmp_gt_u32 s5, 0x387fffff
	s_cbranch_scc0 .LBB111_452
; %bb.450:
	s_bfe_u32 s7, s3, 0x10005
	s_delay_alu instid0(SALU_CYCLE_1) | instskip(NEXT) | instid1(SALU_CYCLE_1)
	s_add_i32 s7, s6, s7
	s_add_i32 s7, s7, 0x80fffff
	s_delay_alu instid0(SALU_CYCLE_1)
	s_lshr_b32 s10, s7, 21
	s_mov_b32 s7, 0
	s_branch .LBB111_453
.LBB111_451:
	s_mov_b32 s6, -1
                                        ; implicit-def: $vgpr6
	s_branch .LBB111_456
.LBB111_452:
	s_mov_b32 s7, -1
                                        ; implicit-def: $sgpr10
.LBB111_453:
	v_mov_b32_e32 v6, s10
	s_and_not1_b32 vcc_lo, exec_lo, s7
	s_cbranch_vccnz .LBB111_455
; %bb.454:
	v_add_f32_e64 v6, 0x43000000, |s6|
.LBB111_455:
	s_mov_b32 s6, 0
.LBB111_456:
	s_delay_alu instid0(SALU_CYCLE_1)
	s_and_not1_b32 vcc_lo, exec_lo, s6
	s_cbranch_vccnz .LBB111_458
; %bb.457:
	s_cmp_gt_u32 s5, 0x7f800000
	s_movk_i32 s5, 0x7f
	s_delay_alu instid0(SALU_CYCLE_1) | instskip(NEXT) | instid1(SALU_CYCLE_1)
	s_cselect_b32 s5, s5, 0x7c
	v_mov_b32_e32 v6, s5
.LBB111_458:
	s_lshr_b32 s3, s3, 8
	s_delay_alu instid0(SALU_CYCLE_1)
	s_and_b32 s3, s3, 0x80
	s_delay_alu instid0(VALU_DEP_1) | instid1(SALU_CYCLE_1)
	v_or_b32_e32 v6, s3, v6
	global_store_b8 v[3:4], v6, off
.LBB111_459:
	s_mov_b32 s3, 0
	s_mov_b32 s5, -1
.LBB111_460:
	s_and_not1_b32 vcc_lo, exec_lo, s3
	s_mov_b32 s3, 0
	s_cbranch_vccnz .LBB111_467
; %bb.461:
	v_cmp_lt_i16_e32 vcc_lo, 14, v5
	s_mov_b32 s3, -1
	s_cbranch_vccz .LBB111_465
; %bb.462:
	v_cmp_eq_u16_e32 vcc_lo, 15, v5
	s_mov_b32 s2, -1
	s_cbranch_vccz .LBB111_464
; %bb.463:
	v_mov_b32_e32 v6, s4
	s_mov_b32 s2, 0
	s_mov_b32 s5, -1
	global_store_b16 v[3:4], v6, off
.LBB111_464:
	s_mov_b32 s3, 0
.LBB111_465:
	s_delay_alu instid0(SALU_CYCLE_1)
	s_and_b32 vcc_lo, exec_lo, s3
	s_mov_b32 s3, 0
	s_cbranch_vccz .LBB111_467
; %bb.466:
	v_cmp_ne_u16_e64 s2, 11, v5
	s_mov_b32 s3, -1
.LBB111_467:
	s_delay_alu instid0(VALU_DEP_1)
	s_and_b32 vcc_lo, exec_lo, s2
	s_mov_b32 s2, s8
	s_cbranch_vccnz .LBB111_539
; %bb.468:
	s_and_not1_b32 vcc_lo, exec_lo, s3
	s_cbranch_vccnz .LBB111_470
.LBB111_469:
	v_and_b32_e64 v6, 0x7fff, s4
	s_mov_b32 s5, -1
	s_delay_alu instid0(VALU_DEP_1)
	v_cmp_ne_u16_e32 vcc_lo, 0, v6
	v_cndmask_b32_e64 v6, 0, 1, vcc_lo
	global_store_b8 v[3:4], v6, off
.LBB111_470:
	s_mov_b32 s3, 0
.LBB111_471:
	s_delay_alu instid0(SALU_CYCLE_1)
	s_and_b32 vcc_lo, exec_lo, s3
	s_cbranch_vccz .LBB111_510
; %bb.472:
	v_cmp_gt_i16_e32 vcc_lo, 5, v5
	s_mov_b32 s3, -1
	s_cbranch_vccnz .LBB111_493
; %bb.473:
	v_cmp_gt_i16_e32 vcc_lo, 8, v5
	s_cbranch_vccnz .LBB111_483
; %bb.474:
	v_cmp_gt_i16_e32 vcc_lo, 9, v5
	s_cbranch_vccnz .LBB111_480
; %bb.475:
	v_cmp_lt_i16_e32 vcc_lo, 9, v5
	s_cbranch_vccz .LBB111_477
; %bb.476:
	s_lshl_b32 s3, s4, 16
	v_mov_b32_e32 v8, 0
	v_cvt_f64_f32_e32 v[6:7], s3
	s_mov_b32 s3, 0
	s_delay_alu instid0(VALU_DEP_2)
	v_mov_b32_e32 v9, v8
	global_store_b128 v[3:4], v[6:9], off
.LBB111_477:
	s_and_not1_b32 vcc_lo, exec_lo, s3
	s_cbranch_vccnz .LBB111_479
; %bb.478:
	s_lshl_b32 s3, s4, 16
	s_delay_alu instid0(SALU_CYCLE_1)
	v_dual_mov_b32 v7, 0 :: v_dual_mov_b32 v6, s3
	global_store_b64 v[3:4], v[6:7], off
.LBB111_479:
	s_mov_b32 s3, 0
.LBB111_480:
	s_delay_alu instid0(SALU_CYCLE_1)
	s_and_not1_b32 vcc_lo, exec_lo, s3
	s_cbranch_vccnz .LBB111_482
; %bb.481:
	s_lshl_b32 s3, s4, 16
	s_delay_alu instid0(SALU_CYCLE_1) | instskip(NEXT) | instid1(VALU_DEP_1)
	v_cvt_f16_f32_e32 v6, s3
	v_and_b32_e32 v6, 0xffff, v6
	global_store_b32 v[3:4], v6, off
.LBB111_482:
	s_mov_b32 s3, 0
.LBB111_483:
	s_delay_alu instid0(SALU_CYCLE_1)
	s_and_not1_b32 vcc_lo, exec_lo, s3
	s_cbranch_vccnz .LBB111_492
; %bb.484:
	v_cmp_gt_i16_e32 vcc_lo, 6, v5
	s_mov_b32 s3, -1
	s_cbranch_vccnz .LBB111_490
; %bb.485:
	v_cmp_lt_i16_e32 vcc_lo, 6, v5
	s_cbranch_vccz .LBB111_487
; %bb.486:
	s_lshl_b32 s3, s4, 16
	s_delay_alu instid0(SALU_CYCLE_1)
	v_cvt_f64_f32_e32 v[6:7], s3
	s_mov_b32 s3, 0
	global_store_b64 v[3:4], v[6:7], off
.LBB111_487:
	s_and_not1_b32 vcc_lo, exec_lo, s3
	s_cbranch_vccnz .LBB111_489
; %bb.488:
	s_lshl_b32 s3, s4, 16
	s_delay_alu instid0(SALU_CYCLE_1)
	v_mov_b32_e32 v6, s3
	global_store_b32 v[3:4], v6, off
.LBB111_489:
	s_mov_b32 s3, 0
.LBB111_490:
	s_delay_alu instid0(SALU_CYCLE_1)
	s_and_not1_b32 vcc_lo, exec_lo, s3
	s_cbranch_vccnz .LBB111_492
; %bb.491:
	s_lshl_b32 s3, s4, 16
	s_delay_alu instid0(SALU_CYCLE_1)
	v_cvt_f16_f32_e32 v6, s3
	global_store_b16 v[3:4], v6, off
.LBB111_492:
	s_mov_b32 s3, 0
.LBB111_493:
	s_delay_alu instid0(SALU_CYCLE_1)
	s_and_not1_b32 vcc_lo, exec_lo, s3
	s_cbranch_vccnz .LBB111_509
; %bb.494:
	v_cmp_gt_i16_e32 vcc_lo, 2, v5
	s_mov_b32 s3, -1
	s_cbranch_vccnz .LBB111_504
; %bb.495:
	v_cmp_gt_i16_e32 vcc_lo, 3, v5
	s_cbranch_vccnz .LBB111_501
; %bb.496:
	v_cmp_lt_i16_e32 vcc_lo, 3, v5
	s_cbranch_vccz .LBB111_498
; %bb.497:
	s_lshl_b32 s3, s4, 16
	s_delay_alu instid0(SALU_CYCLE_1) | instskip(SKIP_1) | instid1(VALU_DEP_1)
	v_trunc_f32_e32 v6, s3
	s_mov_b32 s3, 0
	v_mul_f32_e64 v7, 0x2f800000, |v6|
	v_ashrrev_i32_e32 v9, 31, v6
	s_delay_alu instid0(VALU_DEP_2) | instskip(NEXT) | instid1(VALU_DEP_1)
	v_floor_f32_e32 v7, v7
	v_fma_f32 v8, 0xcf800000, v7, |v6|
	v_cvt_u32_f32_e32 v7, v7
	s_delay_alu instid0(VALU_DEP_2) | instskip(NEXT) | instid1(VALU_DEP_2)
	v_cvt_u32_f32_e32 v6, v8
	v_xor_b32_e32 v7, v7, v9
	s_delay_alu instid0(VALU_DEP_2) | instskip(NEXT) | instid1(VALU_DEP_1)
	v_xor_b32_e32 v6, v6, v9
	v_sub_co_u32 v6, vcc_lo, v6, v9
	s_delay_alu instid0(VALU_DEP_3)
	v_sub_co_ci_u32_e32 v7, vcc_lo, v7, v9, vcc_lo
	global_store_b64 v[3:4], v[6:7], off
.LBB111_498:
	s_and_not1_b32 vcc_lo, exec_lo, s3
	s_cbranch_vccnz .LBB111_500
; %bb.499:
	s_lshl_b32 s3, s4, 16
	s_delay_alu instid0(SALU_CYCLE_1)
	v_cvt_i32_f32_e32 v6, s3
	global_store_b32 v[3:4], v6, off
.LBB111_500:
	s_mov_b32 s3, 0
.LBB111_501:
	s_delay_alu instid0(SALU_CYCLE_1)
	s_and_not1_b32 vcc_lo, exec_lo, s3
	s_cbranch_vccnz .LBB111_503
; %bb.502:
	s_lshl_b32 s3, s4, 16
	s_delay_alu instid0(SALU_CYCLE_1)
	v_cvt_i32_f32_e32 v6, s3
	global_store_b16 v[3:4], v6, off
.LBB111_503:
	s_mov_b32 s3, 0
.LBB111_504:
	s_delay_alu instid0(SALU_CYCLE_1)
	s_and_not1_b32 vcc_lo, exec_lo, s3
	s_cbranch_vccnz .LBB111_509
; %bb.505:
	v_cmp_lt_i16_e32 vcc_lo, 0, v5
	s_mov_b32 s3, -1
	s_cbranch_vccz .LBB111_507
; %bb.506:
	s_lshl_b32 s3, s4, 16
	s_delay_alu instid0(SALU_CYCLE_1)
	v_cvt_i32_f32_e32 v6, s3
	s_mov_b32 s3, 0
	global_store_b8 v[3:4], v6, off
.LBB111_507:
	s_and_not1_b32 vcc_lo, exec_lo, s3
	s_cbranch_vccnz .LBB111_509
; %bb.508:
	s_lshl_b32 s3, s4, 16
	s_delay_alu instid0(SALU_CYCLE_1) | instskip(NEXT) | instid1(VALU_DEP_1)
	v_trunc_f32_e32 v6, s3
	v_mul_f32_e64 v7, 0x2f800000, |v6|
	s_delay_alu instid0(VALU_DEP_1) | instskip(NEXT) | instid1(VALU_DEP_1)
	v_floor_f32_e32 v7, v7
	v_fma_f32 v7, 0xcf800000, v7, |v6|
	v_ashrrev_i32_e32 v6, 31, v6
	s_delay_alu instid0(VALU_DEP_2) | instskip(NEXT) | instid1(VALU_DEP_1)
	v_cvt_u32_f32_e32 v7, v7
	v_xor_b32_e32 v7, v7, v6
	s_delay_alu instid0(VALU_DEP_1)
	v_sub_nc_u32_e32 v6, v7, v6
	global_store_b8 v[3:4], v6, off
.LBB111_509:
	s_mov_b32 s5, -1
.LBB111_510:
	s_delay_alu instid0(SALU_CYCLE_1)
	s_and_not1_b32 vcc_lo, exec_lo, s5
	s_cbranch_vccnz .LBB111_923
; %bb.511:
	v_cmp_gt_i16_e32 vcc_lo, 11, v5
	v_add_co_u32 v2, s3, s0, v2
	s_delay_alu instid0(VALU_DEP_1)
	v_add_co_ci_u32_e64 v3, null, s1, 0, s3
	s_mov_b32 s6, 0
	s_mov_b32 s3, -1
	s_cbranch_vccnz .LBB111_724
; %bb.512:
	v_cmp_lt_i16_e32 vcc_lo, 25, v5
	s_mov_b32 s7, -1
	s_mov_b32 s5, 0
	s_mov_b32 s3, 0
	s_cbranch_vccz .LBB111_551
; %bb.513:
	v_cmp_lt_i16_e32 vcc_lo, 28, v5
	s_cbranch_vccz .LBB111_528
; %bb.514:
	v_cmp_lt_i16_e32 vcc_lo, 43, v5
	;; [unrolled: 3-line block ×3, first 2 shown]
	s_cbranch_vccz .LBB111_518
; %bb.516:
	v_cmp_eq_u16_e32 vcc_lo, 46, v5
	s_mov_b32 s3, -1
	s_mov_b32 s7, 0
	s_cbranch_vccz .LBB111_518
; %bb.517:
	s_and_b32 s3, 0xffff, s4
	s_mov_b32 s6, -1
	v_mov_b32_e32 v4, s3
	s_mov_b32 s3, 0
	global_store_b32 v[2:3], v4, off
.LBB111_518:
	s_and_b32 vcc_lo, exec_lo, s7
	s_cbranch_vccz .LBB111_523
; %bb.519:
	v_cmp_eq_u16_e32 vcc_lo, 44, v5
	s_mov_b32 s3, -1
	s_cbranch_vccz .LBB111_523
; %bb.520:
	s_and_b32 s6, 0xffff, s4
	v_mov_b32_e32 v4, 0xff
	s_bfe_u32 s3, s6, 0x80007
	s_delay_alu instid0(SALU_CYCLE_1)
	s_cmpk_eq_i32 s3, 0xff
	s_cbranch_scc1 .LBB111_522
; %bb.521:
	s_lshr_b32 s7, s6, 7
	s_lshl_b32 s10, s6, 16
	s_bitcmp1_b32 s6, 6
	s_cselect_b32 s6, -1, 0
	s_and_b32 s10, s10, 0x3f0000
	s_delay_alu instid0(SALU_CYCLE_1) | instskip(NEXT) | instid1(SALU_CYCLE_1)
	s_or_b32 s3, s3, s10
	s_cmp_lg_u32 s3, 0
	s_cselect_b32 s3, -1, 0
	s_delay_alu instid0(SALU_CYCLE_1) | instskip(NEXT) | instid1(SALU_CYCLE_1)
	s_and_b32 s3, s6, s3
	v_cndmask_b32_e64 v4, 0, 1, s3
	s_delay_alu instid0(VALU_DEP_1)
	v_add_nc_u32_e32 v4, s7, v4
.LBB111_522:
	s_mov_b32 s3, 0
	s_mov_b32 s6, -1
	global_store_b8 v[2:3], v4, off
.LBB111_523:
	s_mov_b32 s7, 0
.LBB111_524:
	s_delay_alu instid0(SALU_CYCLE_1)
	s_and_b32 vcc_lo, exec_lo, s7
	s_cbranch_vccz .LBB111_527
; %bb.525:
	v_cmp_eq_u16_e32 vcc_lo, 29, v5
	s_mov_b32 s3, -1
	s_cbranch_vccz .LBB111_527
; %bb.526:
	s_lshl_b32 s3, s4, 16
	s_mov_b32 s6, -1
	v_trunc_f32_e32 v4, s3
	s_mov_b32 s3, 0
	s_delay_alu instid0(VALU_DEP_1) | instskip(NEXT) | instid1(VALU_DEP_1)
	v_mul_f32_e32 v6, 0x2f800000, v4
	v_floor_f32_e32 v6, v6
	s_delay_alu instid0(VALU_DEP_1) | instskip(SKIP_1) | instid1(VALU_DEP_2)
	v_fmamk_f32 v4, v6, 0xcf800000, v4
	v_cvt_u32_f32_e32 v7, v6
	v_cvt_u32_f32_e32 v6, v4
	global_store_b64 v[2:3], v[6:7], off
.LBB111_527:
	s_mov_b32 s7, 0
.LBB111_528:
	s_delay_alu instid0(SALU_CYCLE_1)
	s_and_b32 vcc_lo, exec_lo, s7
	s_cbranch_vccz .LBB111_550
; %bb.529:
	v_cmp_gt_i16_e32 vcc_lo, 27, v5
	s_mov_b32 s6, -1
	s_cbranch_vccnz .LBB111_535
; %bb.530:
	v_cmp_lt_i16_e32 vcc_lo, 27, v5
	s_cbranch_vccz .LBB111_532
; %bb.531:
	s_lshl_b32 s6, s4, 16
	s_delay_alu instid0(SALU_CYCLE_1)
	v_cvt_u32_f32_e32 v4, s6
	s_mov_b32 s6, 0
	global_store_b32 v[2:3], v4, off
.LBB111_532:
	s_and_not1_b32 vcc_lo, exec_lo, s6
	s_cbranch_vccnz .LBB111_534
; %bb.533:
	s_lshl_b32 s6, s4, 16
	s_delay_alu instid0(SALU_CYCLE_1)
	v_cvt_u32_f32_e32 v4, s6
	global_store_b16 v[2:3], v4, off
.LBB111_534:
	s_mov_b32 s6, 0
.LBB111_535:
	s_delay_alu instid0(SALU_CYCLE_1)
	s_and_not1_b32 vcc_lo, exec_lo, s6
	s_cbranch_vccnz .LBB111_549
; %bb.536:
	s_lshl_b32 s7, s4, 16
	v_mov_b32_e32 v6, 0x80
	s_and_b32 s10, s7, 0x7fffffff
	s_delay_alu instid0(SALU_CYCLE_1)
	s_cmp_gt_u32 s10, 0x437fffff
	s_cbranch_scc1 .LBB111_548
; %bb.537:
	s_and_b32 s6, 0xffff, s4
	s_cmp_gt_u32 s10, 0x3bffffff
	s_cbranch_scc0 .LBB111_543
; %bb.538:
	s_bfe_u32 s10, s6, 0x10004
	s_mov_b32 s11, 0
	s_add_i32 s10, s7, s10
	s_delay_alu instid0(SALU_CYCLE_1) | instskip(NEXT) | instid1(SALU_CYCLE_1)
	s_add_i32 s10, s10, 0x487ffff
	s_lshr_b32 s12, s10, 20
	s_mov_b32 s10, -1
	s_branch .LBB111_544
.LBB111_539:
	s_cbranch_execnz .LBB111_541
; %bb.540:
	s_or_b32 s2, s8, exec_lo
	s_cbranch_execz .LBB111_469
	s_branch .LBB111_470
.LBB111_541:
	s_trap 2
	s_sendmsg_rtn_b32 s0, sendmsg(MSG_RTN_GET_DOORBELL)
	s_mov_b32 ttmp2, m0
	s_waitcnt lgkmcnt(0)
	s_and_b32 s0, s0, 0x3ff
	s_delay_alu instid0(SALU_CYCLE_1) | instskip(NEXT) | instid1(SALU_CYCLE_1)
	s_bitset1_b32 s0, 10
	s_mov_b32 m0, s0
	s_sendmsg sendmsg(MSG_INTERRUPT)
	s_mov_b32 m0, ttmp2
.LBB111_542:                            ; =>This Inner Loop Header: Depth=1
	s_sethalt 5
	s_branch .LBB111_542
.LBB111_543:
	s_mov_b32 s11, -1
	s_mov_b32 s10, 0
                                        ; implicit-def: $sgpr12
.LBB111_544:
	v_mov_b32_e32 v4, s12
	s_and_not1_b32 vcc_lo, exec_lo, s11
                                        ; implicit-def: $sgpr11
	s_cbranch_vccnz .LBB111_546
; %bb.545:
	v_add_f32_e64 v4, 0x46000000, |s7|
	s_mov_b32 s11, 0
	s_delay_alu instid0(VALU_DEP_1) | instskip(NEXT) | instid1(VALU_DEP_1)
	v_and_b32_e32 v4, 0xff, v4
	v_cmp_ne_u32_e64 s10, 0, v4
.LBB111_546:
	v_mov_b32_e32 v6, s11
	s_delay_alu instid0(VALU_DEP_2)
	s_and_not1_b32 vcc_lo, exec_lo, s10
	s_cbranch_vccnz .LBB111_548
; %bb.547:
	s_lshr_b32 s6, s6, 8
	s_delay_alu instid0(SALU_CYCLE_1) | instskip(NEXT) | instid1(SALU_CYCLE_1)
	s_and_b32 s6, s6, 0x80
	v_or_b32_e32 v6, s6, v4
.LBB111_548:
	global_store_b8 v[2:3], v6, off
.LBB111_549:
	s_mov_b32 s6, -1
.LBB111_550:
	s_mov_b32 s7, 0
.LBB111_551:
	s_delay_alu instid0(SALU_CYCLE_1)
	s_and_b32 vcc_lo, exec_lo, s7
	s_cbranch_vccz .LBB111_720
; %bb.552:
	v_cmp_lt_i16_e32 vcc_lo, 22, v5
	s_mov_b32 s5, -1
	s_cbranch_vccz .LBB111_713
; %bb.553:
	v_cmp_gt_i16_e32 vcc_lo, 24, v5
	s_cbranch_vccnz .LBB111_700
; %bb.554:
	v_cmp_lt_i16_e32 vcc_lo, 24, v5
	s_cbranch_vccz .LBB111_687
; %bb.555:
	s_lshl_b32 s6, s4, 16
	v_mov_b32_e32 v6, 0x80
	s_and_b32 s7, s6, 0x7fffffff
	s_delay_alu instid0(SALU_CYCLE_1)
	s_cmp_gt_u32 s7, 0x477fffff
	s_cbranch_scc1 .LBB111_686
; %bb.556:
	s_and_b32 s5, 0xffff, s4
	s_cmp_gt_u32 s7, 0x37ffffff
	s_cbranch_scc0 .LBB111_681
; %bb.557:
	s_bfe_u32 s7, s5, 0x10005
	s_mov_b32 s10, 0
	s_add_i32 s7, s6, s7
	s_delay_alu instid0(SALU_CYCLE_1) | instskip(NEXT) | instid1(SALU_CYCLE_1)
	s_add_i32 s7, s7, 0x88fffff
	s_lshr_b32 s11, s7, 21
	s_mov_b32 s7, -1
	s_branch .LBB111_682
.LBB111_558:
	s_mov_b32 s16, s58
.LBB111_559:
	s_and_b32 vcc_lo, exec_lo, s18
	s_cbranch_vccz .LBB111_562
; %bb.560:
	v_cmp_eq_u16_e32 vcc_lo, 44, v17
	s_mov_b32 s16, -1
	s_cbranch_vccz .LBB111_562
; %bb.561:
	v_cndmask_b32_e64 v2, v16, 0xff, s49
	s_mov_b32 s17, -1
	s_mov_b32 s16, 0
	global_store_b8 v[8:9], v2, off
.LBB111_562:
	s_mov_b32 s18, 0
.LBB111_563:
	s_delay_alu instid0(SALU_CYCLE_1)
	s_and_b32 vcc_lo, exec_lo, s18
	s_cbranch_vccz .LBB111_566
; %bb.564:
	v_cmp_eq_u16_e32 vcc_lo, 29, v17
	s_mov_b32 s16, -1
	s_cbranch_vccz .LBB111_566
; %bb.565:
	s_mov_b32 s17, -1
	s_mov_b32 s16, 0
	global_store_b64 v[8:9], v[6:7], off
.LBB111_566:
	s_mov_b32 s18, 0
.LBB111_567:
	s_delay_alu instid0(SALU_CYCLE_1)
	s_and_b32 vcc_lo, exec_lo, s18
	s_cbranch_vccz .LBB111_580
; %bb.568:
	v_cmp_gt_i16_e32 vcc_lo, 27, v17
	s_mov_b32 s17, -1
	s_cbranch_vccnz .LBB111_574
; %bb.569:
	v_cmp_lt_i16_e32 vcc_lo, 27, v17
	s_cbranch_vccz .LBB111_571
; %bb.570:
	s_mov_b32 s17, 0
	global_store_b32 v[8:9], v15, off
.LBB111_571:
	s_and_not1_b32 vcc_lo, exec_lo, s17
	s_cbranch_vccnz .LBB111_573
; %bb.572:
	global_store_b16 v[8:9], v15, off
.LBB111_573:
	s_mov_b32 s17, 0
.LBB111_574:
	s_delay_alu instid0(SALU_CYCLE_1)
	s_and_not1_b32 vcc_lo, exec_lo, s17
	s_cbranch_vccnz .LBB111_579
; %bb.575:
	s_and_not1_b32 vcc_lo, exec_lo, s47
	s_movk_i32 s17, 0x80
	s_cbranch_vccnz .LBB111_578
; %bb.576:
	s_or_b32 s17, s44, s48
	s_delay_alu instid0(SALU_CYCLE_1)
	s_and_not1_b32 vcc_lo, exec_lo, s17
	s_mov_b32 s17, 0
	s_cbranch_vccnz .LBB111_578
; %bb.577:
	s_and_b32 s17, s44, exec_lo
	s_cselect_b32 s17, s45, s43
	s_delay_alu instid0(SALU_CYCLE_1)
	s_or_b32 s17, s17, s27
.LBB111_578:
	s_delay_alu instid0(SALU_CYCLE_1)
	v_mov_b32_e32 v2, s17
	global_store_b8 v[8:9], v2, off
.LBB111_579:
	s_mov_b32 s17, -1
.LBB111_580:
	s_mov_b32 s18, 0
.LBB111_581:
	s_delay_alu instid0(SALU_CYCLE_1)
	s_and_b32 vcc_lo, exec_lo, s18
	s_cbranch_vccz .LBB111_603
; %bb.582:
	v_cmp_lt_i16_e32 vcc_lo, 22, v17
	s_mov_b32 s18, -1
	s_cbranch_vccz .LBB111_595
; %bb.583:
	v_cmp_gt_i16_e32 vcc_lo, 24, v17
	s_mov_b32 s17, -1
	s_cbranch_vccnz .LBB111_592
; %bb.584:
	v_cmp_lt_i16_e32 vcc_lo, 24, v17
	s_cbranch_vccz .LBB111_589
; %bb.585:
	s_and_not1_b32 vcc_lo, exec_lo, s38
	s_movk_i32 s17, 0x80
	s_cbranch_vccnz .LBB111_588
; %bb.586:
	s_or_b32 s17, s33, s39
	s_delay_alu instid0(SALU_CYCLE_1)
	s_and_not1_b32 vcc_lo, exec_lo, s17
	s_mov_b32 s17, 0
	s_cbranch_vccnz .LBB111_588
; %bb.587:
	s_and_b32 s17, s33, exec_lo
	s_cselect_b32 s17, s34, s31
	s_delay_alu instid0(SALU_CYCLE_1)
	s_or_b32 s17, s17, s27
.LBB111_588:
	s_delay_alu instid0(SALU_CYCLE_1)
	v_mov_b32_e32 v2, s17
	s_mov_b32 s17, 0
	global_store_b8 v[8:9], v2, off
.LBB111_589:
	s_and_b32 vcc_lo, exec_lo, s17
	s_cbranch_vccz .LBB111_591
; %bb.590:
	s_and_b32 s17, s30, exec_lo
	s_cselect_b32 s17, s41, s40
	s_and_b32 s18, s29, exec_lo
	s_cselect_b32 s17, s46, s17
	s_delay_alu instid0(SALU_CYCLE_1) | instskip(NEXT) | instid1(SALU_CYCLE_1)
	s_or_b32 s17, s17, s27
	v_mov_b32_e32 v2, s17
	global_store_b8 v[8:9], v2, off
.LBB111_591:
	s_mov_b32 s17, 0
.LBB111_592:
	s_delay_alu instid0(SALU_CYCLE_1)
	s_and_not1_b32 vcc_lo, exec_lo, s17
	s_cbranch_vccnz .LBB111_594
; %bb.593:
	s_and_b32 s17, s35, exec_lo
	s_cselect_b32 s17, s37, s36
	s_and_b32 s18, s28, exec_lo
	s_cselect_b32 s17, s42, s17
	s_delay_alu instid0(SALU_CYCLE_1) | instskip(NEXT) | instid1(SALU_CYCLE_1)
	s_or_b32 s17, s17, s27
	v_mov_b32_e32 v2, s17
	global_store_b8 v[8:9], v2, off
.LBB111_594:
	s_mov_b32 s18, 0
	s_mov_b32 s17, -1
.LBB111_595:
	s_and_not1_b32 vcc_lo, exec_lo, s18
	s_cbranch_vccnz .LBB111_603
; %bb.596:
	v_cmp_lt_i16_e32 vcc_lo, 14, v17
	s_mov_b32 s18, -1
	s_cbranch_vccz .LBB111_600
; %bb.597:
	v_cmp_eq_u16_e32 vcc_lo, 15, v17
	s_mov_b32 s16, -1
	s_cbranch_vccz .LBB111_599
; %bb.598:
	v_mov_b32_e32 v2, s26
	s_mov_b32 s17, -1
	s_mov_b32 s16, 0
	global_store_b16 v[8:9], v2, off
.LBB111_599:
	s_mov_b32 s18, 0
.LBB111_600:
	s_delay_alu instid0(SALU_CYCLE_1)
	s_and_b32 vcc_lo, exec_lo, s18
	s_cbranch_vccz .LBB111_603
; %bb.601:
	v_cmp_eq_u16_e32 vcc_lo, 11, v17
	s_mov_b32 s16, -1
	s_cbranch_vccz .LBB111_603
; %bb.602:
	s_mov_b32 s17, -1
	s_mov_b32 s16, 0
	global_store_b8 v[8:9], v14, off
.LBB111_603:
.LBB111_604:
	s_and_not1_b32 vcc_lo, exec_lo, s17
	s_cbranch_vccnz .LBB111_424
.LBB111_605:
	v_add_nc_u32_e32 v12, 0x80, v12
	s_mov_b32 s17, -1
.LBB111_606:
	s_and_not1_b32 s18, s58, exec_lo
	s_and_b32 s16, s16, exec_lo
	s_or_not1_b32 s61, s17, exec_lo
	s_or_b32 s18, s18, s16
.LBB111_607:
	s_or_b32 exec_lo, exec_lo, s60
	s_mov_b32 s16, 0
	s_mov_b32 s17, 0
                                        ; implicit-def: $vgpr17
                                        ; implicit-def: $vgpr8_vgpr9
	s_and_saveexec_b32 s19, s61
	s_cbranch_execz .LBB111_675
; %bb.608:
	v_cmp_gt_i32_e32 vcc_lo, s53, v12
	s_mov_b32 s60, s18
                                        ; implicit-def: $vgpr17
                                        ; implicit-def: $vgpr8_vgpr9
	s_and_saveexec_b32 s53, vcc_lo
	s_cbranch_execz .LBB111_674
; %bb.609:
	s_and_not1_b32 vcc_lo, exec_lo, s23
	s_cbranch_vccnz .LBB111_614
; %bb.610:
	v_mov_b32_e32 v2, 0
	s_and_not1_b32 vcc_lo, exec_lo, s55
	s_cbranch_vccnz .LBB111_619
; %bb.611:
	s_add_i32 s55, s54, 1
	s_cmp_eq_u32 s21, 2
	s_mov_b32 s54, 0
	s_cbranch_scc1 .LBB111_615
; %bb.612:
	v_dual_mov_b32 v2, 0 :: v_dual_mov_b32 v3, v12
	s_and_b32 s54, s55, 28
	s_mov_b32 s60, 0
	s_mov_b64 s[16:17], s[2:3]
.LBB111_613:                            ; =>This Inner Loop Header: Depth=1
	s_clause 0x1
	s_load_b256 s[64:71], s[16:17], 0x4
	s_load_b128 s[72:75], s[16:17], 0x24
	s_load_b128 s[76:79], s[14:15], 0x0
	s_add_u32 s16, s16, 48
	s_addc_u32 s17, s17, 0
	s_add_i32 s60, s60, 4
	s_add_u32 s14, s14, 16
	s_addc_u32 s15, s15, 0
	s_cmp_eq_u32 s54, s60
	s_waitcnt lgkmcnt(0)
	v_mul_hi_u32 v8, s65, v3
	s_delay_alu instid0(VALU_DEP_1) | instskip(NEXT) | instid1(VALU_DEP_1)
	v_add_nc_u32_e32 v8, v3, v8
	v_lshrrev_b32_e32 v8, s66, v8
	s_delay_alu instid0(VALU_DEP_1) | instskip(SKIP_1) | instid1(VALU_DEP_2)
	v_mul_hi_u32 v9, s68, v8
	v_mul_lo_u32 v19, v8, s64
	v_add_nc_u32_e32 v9, v8, v9
	s_delay_alu instid0(VALU_DEP_2) | instskip(NEXT) | instid1(VALU_DEP_2)
	v_sub_nc_u32_e32 v19, v3, v19
	v_lshrrev_b32_e32 v9, s69, v9
	s_delay_alu instid0(VALU_DEP_2) | instskip(NEXT) | instid1(VALU_DEP_2)
	v_mul_lo_u32 v19, v19, s76
	v_mul_hi_u32 v17, s71, v9
	v_mul_lo_u32 v20, v9, s67
	s_delay_alu instid0(VALU_DEP_2) | instskip(NEXT) | instid1(VALU_DEP_2)
	v_add_nc_u32_e32 v17, v9, v17
	v_sub_nc_u32_e32 v8, v8, v20
	s_delay_alu instid0(VALU_DEP_2) | instskip(NEXT) | instid1(VALU_DEP_2)
	v_lshrrev_b32_e32 v17, s72, v17
	v_mul_lo_u32 v8, v8, s77
	s_delay_alu instid0(VALU_DEP_2) | instskip(NEXT) | instid1(VALU_DEP_2)
	v_mul_hi_u32 v18, s74, v17
	v_add3_u32 v2, v19, v2, v8
	s_delay_alu instid0(VALU_DEP_2) | instskip(NEXT) | instid1(VALU_DEP_1)
	v_add_nc_u32_e32 v18, v17, v18
	v_lshrrev_b32_e32 v3, s75, v18
	v_mul_lo_u32 v18, v17, s70
	s_delay_alu instid0(VALU_DEP_2) | instskip(NEXT) | instid1(VALU_DEP_2)
	v_mul_lo_u32 v21, v3, s73
	v_sub_nc_u32_e32 v9, v9, v18
	s_delay_alu instid0(VALU_DEP_2) | instskip(NEXT) | instid1(VALU_DEP_2)
	v_sub_nc_u32_e32 v17, v17, v21
	v_mul_lo_u32 v9, v9, s78
	s_delay_alu instid0(VALU_DEP_2) | instskip(NEXT) | instid1(VALU_DEP_1)
	v_mul_lo_u32 v17, v17, s79
	v_add3_u32 v2, v9, v2, v17
	s_cbranch_scc0 .LBB111_613
	s_branch .LBB111_616
.LBB111_614:
	s_mov_b32 s14, -1
                                        ; implicit-def: $vgpr2
	s_branch .LBB111_620
.LBB111_615:
	v_mov_b32_e32 v3, v12
.LBB111_616:
	s_and_b32 s55, s55, 3
	s_delay_alu instid0(SALU_CYCLE_1)
	s_cmp_eq_u32 s55, 0
	s_cbranch_scc1 .LBB111_619
; %bb.617:
	s_lshl_b32 s14, s54, 2
	s_mul_i32 s16, s54, 12
	s_add_u32 s14, s14, s2
	s_addc_u32 s15, s3, 0
	s_add_u32 s14, s14, 0xc4
	s_addc_u32 s15, s15, 0
	;; [unrolled: 2-line block ×3, first 2 shown]
.LBB111_618:                            ; =>This Inner Loop Header: Depth=1
	s_clause 0x1
	s_load_b64 s[60:61], s[16:17], 0x4
	s_load_b32 s54, s[16:17], 0xc
	s_add_u32 s16, s16, 12
	s_addc_u32 s17, s17, 0
	s_waitcnt lgkmcnt(0)
	v_mul_hi_u32 v8, s61, v3
	s_load_b32 s61, s[14:15], 0x0
	s_add_u32 s14, s14, 4
	s_addc_u32 s15, s15, 0
	s_add_i32 s55, s55, -1
	s_delay_alu instid0(SALU_CYCLE_1) | instskip(NEXT) | instid1(VALU_DEP_1)
	s_cmp_lg_u32 s55, 0
	v_add_nc_u32_e32 v8, v3, v8
	s_delay_alu instid0(VALU_DEP_1) | instskip(NEXT) | instid1(VALU_DEP_1)
	v_lshrrev_b32_e32 v17, s54, v8
	v_mul_lo_u32 v8, v17, s60
	s_delay_alu instid0(VALU_DEP_1) | instskip(SKIP_1) | instid1(VALU_DEP_1)
	v_sub_nc_u32_e32 v3, v3, v8
	s_waitcnt lgkmcnt(0)
	v_mad_u64_u32 v[8:9], null, v3, s61, v[2:3]
	s_delay_alu instid0(VALU_DEP_1)
	v_dual_mov_b32 v3, v17 :: v_dual_mov_b32 v2, v8
	s_cbranch_scc1 .LBB111_618
.LBB111_619:
	s_mov_b32 s14, 0
.LBB111_620:
	s_delay_alu instid0(SALU_CYCLE_1)
	s_and_not1_b32 vcc_lo, exec_lo, s14
	s_cbranch_vccnz .LBB111_623
; %bb.621:
	s_waitcnt lgkmcnt(0)
	v_mul_hi_u32 v2, s5, v12
	s_and_not1_b32 vcc_lo, exec_lo, s52
	s_delay_alu instid0(VALU_DEP_1) | instskip(NEXT) | instid1(VALU_DEP_1)
	v_add_nc_u32_e32 v2, v12, v2
	v_lshrrev_b32_e32 v3, s6, v2
	s_delay_alu instid0(VALU_DEP_1) | instskip(NEXT) | instid1(VALU_DEP_1)
	v_mul_lo_u32 v2, v3, s4
	v_sub_nc_u32_e32 v2, v12, v2
	s_delay_alu instid0(VALU_DEP_1)
	v_mul_lo_u32 v2, v2, s10
	s_cbranch_vccnz .LBB111_623
; %bb.622:
	v_mul_hi_u32 v8, s12, v3
	s_delay_alu instid0(VALU_DEP_1) | instskip(NEXT) | instid1(VALU_DEP_1)
	v_add_nc_u32_e32 v8, v3, v8
	v_lshrrev_b32_e32 v8, s13, v8
	s_delay_alu instid0(VALU_DEP_1) | instskip(NEXT) | instid1(VALU_DEP_1)
	v_mul_lo_u32 v8, v8, s7
	v_sub_nc_u32_e32 v3, v3, v8
	s_delay_alu instid0(VALU_DEP_1) | instskip(NEXT) | instid1(VALU_DEP_1)
	v_mad_u64_u32 v[8:9], null, v3, s11, v[2:3]
	v_mov_b32_e32 v2, v8
.LBB111_623:
	v_and_b32_e64 v17, 0xff, s51
	s_waitcnt lgkmcnt(0)
	s_delay_alu instid0(VALU_DEP_2) | instskip(NEXT) | instid1(VALU_DEP_1)
	v_add_co_u32 v8, s4, s8, v2
	v_add_co_ci_u32_e64 v9, null, s9, 0, s4
	s_delay_alu instid0(VALU_DEP_3)
	v_cmp_gt_i16_e32 vcc_lo, 11, v17
	s_mov_b32 s6, 0
	s_mov_b32 s5, -1
	s_mov_b32 s4, s18
	s_cbranch_vccnz .LBB111_673
; %bb.624:
	v_cmp_lt_i16_e32 vcc_lo, 25, v17
	s_mov_b32 s4, s18
	s_cbranch_vccz .LBB111_652
; %bb.625:
	v_cmp_lt_i16_e32 vcc_lo, 28, v17
	s_mov_b32 s4, s18
	s_cbranch_vccz .LBB111_639
	;; [unrolled: 4-line block ×4, first 2 shown]
; %bb.628:
	v_cmp_eq_u16_e32 vcc_lo, 46, v17
	s_mov_b32 s4, -1
	s_cbranch_vccz .LBB111_630
; %bb.629:
	v_mov_b32_e32 v2, s50
	s_mov_b32 s4, 0
	global_store_b32 v[8:9], v2, off
.LBB111_630:
	s_mov_b32 s5, 0
.LBB111_631:
	s_delay_alu instid0(SALU_CYCLE_1)
	s_and_b32 vcc_lo, exec_lo, s5
	s_cbranch_vccz .LBB111_634
; %bb.632:
	v_cmp_eq_u16_e32 vcc_lo, 44, v17
	s_mov_b32 s4, -1
	s_cbranch_vccz .LBB111_634
; %bb.633:
	v_cndmask_b32_e64 v2, v16, 0xff, s49
	s_mov_b32 s4, 0
	global_store_b8 v[8:9], v2, off
.LBB111_634:
	s_mov_b32 s5, 0
.LBB111_635:
	s_delay_alu instid0(SALU_CYCLE_1)
	s_and_b32 vcc_lo, exec_lo, s5
	s_cbranch_vccz .LBB111_638
; %bb.636:
	v_cmp_eq_u16_e32 vcc_lo, 29, v17
	s_mov_b32 s4, -1
	s_cbranch_vccz .LBB111_638
; %bb.637:
	s_mov_b32 s4, 0
	global_store_b64 v[8:9], v[6:7], off
.LBB111_638:
	s_mov_b32 s5, 0
.LBB111_639:
	s_delay_alu instid0(SALU_CYCLE_1)
	s_and_b32 vcc_lo, exec_lo, s5
	s_cbranch_vccz .LBB111_651
; %bb.640:
	v_cmp_gt_i16_e32 vcc_lo, 27, v17
	s_mov_b32 s5, -1
	s_cbranch_vccnz .LBB111_646
; %bb.641:
	v_cmp_lt_i16_e32 vcc_lo, 27, v17
	s_cbranch_vccz .LBB111_643
; %bb.642:
	s_mov_b32 s5, 0
	global_store_b32 v[8:9], v15, off
.LBB111_643:
	s_and_not1_b32 vcc_lo, exec_lo, s5
	s_cbranch_vccnz .LBB111_645
; %bb.644:
	global_store_b16 v[8:9], v15, off
.LBB111_645:
	s_mov_b32 s5, 0
.LBB111_646:
	s_delay_alu instid0(SALU_CYCLE_1)
	s_and_not1_b32 vcc_lo, exec_lo, s5
	s_cbranch_vccnz .LBB111_651
; %bb.647:
	s_and_not1_b32 vcc_lo, exec_lo, s47
	s_movk_i32 s5, 0x80
	s_cbranch_vccnz .LBB111_650
; %bb.648:
	s_or_b32 s5, s44, s48
	s_delay_alu instid0(SALU_CYCLE_1)
	s_and_not1_b32 vcc_lo, exec_lo, s5
	s_mov_b32 s5, 0
	s_cbranch_vccnz .LBB111_650
; %bb.649:
	s_and_b32 s5, s44, exec_lo
	s_cselect_b32 s5, s45, s43
	s_delay_alu instid0(SALU_CYCLE_1)
	s_or_b32 s5, s5, s27
.LBB111_650:
	s_delay_alu instid0(SALU_CYCLE_1)
	v_mov_b32_e32 v2, s5
	global_store_b8 v[8:9], v2, off
.LBB111_651:
	s_mov_b32 s5, 0
.LBB111_652:
	s_delay_alu instid0(SALU_CYCLE_1)
	s_and_b32 vcc_lo, exec_lo, s5
	s_mov_b32 s5, 0
	s_cbranch_vccz .LBB111_673
; %bb.653:
	v_cmp_lt_i16_e32 vcc_lo, 22, v17
	s_mov_b32 s6, -1
	s_cbranch_vccz .LBB111_666
; %bb.654:
	v_cmp_gt_i16_e32 vcc_lo, 24, v17
	s_cbranch_vccnz .LBB111_663
; %bb.655:
	v_cmp_lt_i16_e32 vcc_lo, 24, v17
	s_cbranch_vccz .LBB111_660
; %bb.656:
	s_and_not1_b32 vcc_lo, exec_lo, s38
	s_movk_i32 s6, 0x80
	s_cbranch_vccnz .LBB111_659
; %bb.657:
	s_or_b32 s6, s33, s39
	s_delay_alu instid0(SALU_CYCLE_1)
	s_and_not1_b32 vcc_lo, exec_lo, s6
	s_mov_b32 s6, 0
	s_cbranch_vccnz .LBB111_659
; %bb.658:
	s_and_b32 s6, s33, exec_lo
	s_cselect_b32 s6, s34, s31
	s_delay_alu instid0(SALU_CYCLE_1)
	s_or_b32 s6, s6, s27
.LBB111_659:
	s_delay_alu instid0(SALU_CYCLE_1)
	v_mov_b32_e32 v2, s6
	s_mov_b32 s6, 0
	global_store_b8 v[8:9], v2, off
.LBB111_660:
	s_and_b32 vcc_lo, exec_lo, s6
	s_cbranch_vccz .LBB111_662
; %bb.661:
	s_and_b32 s6, s30, exec_lo
	s_cselect_b32 s6, s41, s40
	s_and_b32 s7, s29, exec_lo
	s_cselect_b32 s6, s46, s6
	s_delay_alu instid0(SALU_CYCLE_1) | instskip(NEXT) | instid1(SALU_CYCLE_1)
	s_or_b32 s6, s6, s27
	v_mov_b32_e32 v2, s6
	global_store_b8 v[8:9], v2, off
.LBB111_662:
	s_mov_b32 s6, 0
.LBB111_663:
	s_delay_alu instid0(SALU_CYCLE_1)
	s_and_not1_b32 vcc_lo, exec_lo, s6
	s_cbranch_vccnz .LBB111_665
; %bb.664:
	s_and_b32 s6, s35, exec_lo
	s_cselect_b32 s6, s37, s36
	s_and_b32 s7, s28, exec_lo
	s_cselect_b32 s6, s42, s6
	s_delay_alu instid0(SALU_CYCLE_1) | instskip(NEXT) | instid1(SALU_CYCLE_1)
	s_or_b32 s6, s6, s27
	v_mov_b32_e32 v2, s6
	global_store_b8 v[8:9], v2, off
.LBB111_665:
	s_mov_b32 s6, 0
.LBB111_666:
	s_delay_alu instid0(SALU_CYCLE_1)
	s_and_not1_b32 vcc_lo, exec_lo, s6
	s_mov_b32 s6, 0
	s_cbranch_vccnz .LBB111_673
; %bb.667:
	v_cmp_lt_i16_e32 vcc_lo, 14, v17
	s_mov_b32 s6, -1
	s_cbranch_vccz .LBB111_671
; %bb.668:
	v_cmp_eq_u16_e32 vcc_lo, 15, v17
	s_mov_b32 s4, -1
	s_cbranch_vccz .LBB111_670
; %bb.669:
	v_mov_b32_e32 v2, s26
	s_mov_b32 s4, 0
	global_store_b16 v[8:9], v2, off
.LBB111_670:
	s_mov_b32 s6, 0
.LBB111_671:
	s_delay_alu instid0(SALU_CYCLE_1)
	s_and_b32 vcc_lo, exec_lo, s6
	s_mov_b32 s6, 0
	s_cbranch_vccz .LBB111_673
; %bb.672:
	v_cmp_ne_u16_e32 vcc_lo, 11, v17
	s_and_not1_b32 s4, s4, exec_lo
	s_mov_b32 s6, -1
	s_and_b32 s7, vcc_lo, exec_lo
	s_delay_alu instid0(SALU_CYCLE_1)
	s_or_b32 s4, s4, s7
.LBB111_673:
	s_and_b32 s17, s5, exec_lo
	s_and_not1_b32 s5, s18, exec_lo
	s_and_b32 s4, s4, exec_lo
	s_and_b32 s16, s6, exec_lo
	s_or_b32 s60, s5, s4
.LBB111_674:
	s_or_b32 exec_lo, exec_lo, s53
	s_waitcnt lgkmcnt(0)
	s_and_not1_b32 s4, s18, exec_lo
	s_and_b32 s5, s60, exec_lo
	s_and_b32 s17, s17, exec_lo
	;; [unrolled: 1-line block ×3, first 2 shown]
	s_or_b32 s18, s4, s5
.LBB111_675:
	s_or_b32 exec_lo, exec_lo, s19
	s_waitcnt lgkmcnt(0)
	s_and_not1_b32 s4, s58, exec_lo
	s_and_b32 s5, s18, exec_lo
	s_and_b32 s17, s17, exec_lo
	;; [unrolled: 1-line block ×3, first 2 shown]
	s_or_b32 s58, s4, s5
.LBB111_676:
	s_or_b32 exec_lo, exec_lo, s59
	s_waitcnt lgkmcnt(0)
	s_and_not1_b32 s4, s56, exec_lo
	s_and_b32 s5, s58, exec_lo
	s_and_b32 s17, s17, exec_lo
	;; [unrolled: 1-line block ×3, first 2 shown]
	s_or_b32 s56, s4, s5
	s_or_b32 exec_lo, exec_lo, s57
	s_mov_b32 s4, 0
	s_and_saveexec_b32 s5, s56
	s_cbranch_execz .LBB111_118
.LBB111_677:
	s_cbranch_execnz .LBB111_679
; %bb.678:
	s_mov_b32 s4, exec_lo
	s_and_not1_b32 s58, s58, exec_lo
	s_or_b32 exec_lo, exec_lo, s5
	s_and_saveexec_b32 s5, s58
	s_delay_alu instid0(SALU_CYCLE_1)
	s_xor_b32 s5, exec_lo, s5
	s_cbranch_execnz .LBB111_119
	s_branch .LBB111_120
.LBB111_679:
	s_trap 2
	s_sendmsg_rtn_b32 s0, sendmsg(MSG_RTN_GET_DOORBELL)
	s_mov_b32 ttmp2, m0
	s_waitcnt lgkmcnt(0)
	s_and_b32 s0, s0, 0x3ff
	s_delay_alu instid0(SALU_CYCLE_1) | instskip(NEXT) | instid1(SALU_CYCLE_1)
	s_bitset1_b32 s0, 10
	s_mov_b32 m0, s0
	s_sendmsg sendmsg(MSG_INTERRUPT)
	s_mov_b32 m0, ttmp2
.LBB111_680:                            ; =>This Inner Loop Header: Depth=1
	s_sethalt 5
	s_branch .LBB111_680
.LBB111_681:
	s_mov_b32 s10, -1
	s_mov_b32 s7, 0
                                        ; implicit-def: $sgpr11
.LBB111_682:
	v_mov_b32_e32 v4, s11
	s_and_not1_b32 vcc_lo, exec_lo, s10
                                        ; implicit-def: $sgpr10
	s_cbranch_vccnz .LBB111_684
; %bb.683:
	v_add_f32_e64 v4, 0x42800000, |s6|
	s_mov_b32 s10, 0
	s_delay_alu instid0(VALU_DEP_1) | instskip(NEXT) | instid1(VALU_DEP_1)
	v_and_b32_e32 v4, 0xff, v4
	v_cmp_ne_u32_e64 s7, 0, v4
.LBB111_684:
	v_mov_b32_e32 v6, s10
	s_delay_alu instid0(VALU_DEP_2)
	s_and_not1_b32 vcc_lo, exec_lo, s7
	s_cbranch_vccnz .LBB111_686
; %bb.685:
	s_lshr_b32 s5, s5, 8
	s_delay_alu instid0(SALU_CYCLE_1) | instskip(NEXT) | instid1(SALU_CYCLE_1)
	s_and_b32 s5, s5, 0x80
	v_or_b32_e32 v6, s5, v4
.LBB111_686:
	s_mov_b32 s5, 0
	global_store_b8 v[2:3], v6, off
.LBB111_687:
	s_and_b32 vcc_lo, exec_lo, s5
	s_cbranch_vccz .LBB111_699
; %bb.688:
	s_lshl_b32 s7, s4, 16
	s_and_b32 s5, 0xffff, s4
	s_and_b32 s6, s7, 0x7fffffff
	s_delay_alu instid0(SALU_CYCLE_1)
	s_cmp_lt_u32 s6, 0x43f00000
	s_cbranch_scc0 .LBB111_691
; %bb.689:
	s_cmp_gt_u32 s6, 0x3c7fffff
	s_cbranch_scc0 .LBB111_692
; %bb.690:
	s_bfe_u32 s10, s5, 0x10004
	s_delay_alu instid0(SALU_CYCLE_1) | instskip(NEXT) | instid1(SALU_CYCLE_1)
	s_add_i32 s10, s7, s10
	s_add_i32 s10, s10, 0x407ffff
	s_delay_alu instid0(SALU_CYCLE_1)
	s_and_b32 s11, s10, 0xff00000
	s_lshr_b32 s10, s10, 20
	s_cmp_lg_u32 s11, 0x7f00000
	s_cselect_b32 s11, s10, 0x7e
	s_mov_b32 s10, 0
	s_branch .LBB111_693
.LBB111_691:
	s_mov_b32 s7, -1
                                        ; implicit-def: $vgpr4
	s_branch .LBB111_696
.LBB111_692:
	s_mov_b32 s10, -1
                                        ; implicit-def: $sgpr11
.LBB111_693:
	v_mov_b32_e32 v4, s11
	s_and_not1_b32 vcc_lo, exec_lo, s10
	s_cbranch_vccnz .LBB111_695
; %bb.694:
	v_add_f32_e64 v4, 0x46800000, |s7|
.LBB111_695:
	s_mov_b32 s7, 0
.LBB111_696:
	s_delay_alu instid0(SALU_CYCLE_1)
	s_and_not1_b32 vcc_lo, exec_lo, s7
	s_cbranch_vccnz .LBB111_698
; %bb.697:
	s_cmp_gt_u32 s6, 0x7f800000
	s_movk_i32 s6, 0x7f
	s_delay_alu instid0(SALU_CYCLE_1) | instskip(NEXT) | instid1(SALU_CYCLE_1)
	s_cselect_b32 s6, s6, 0x7e
	v_mov_b32_e32 v4, s6
.LBB111_698:
	s_lshr_b32 s5, s5, 8
	s_delay_alu instid0(SALU_CYCLE_1)
	s_and_b32 s5, s5, 0x80
	s_delay_alu instid0(VALU_DEP_1) | instid1(SALU_CYCLE_1)
	v_or_b32_e32 v4, s5, v4
	global_store_b8 v[2:3], v4, off
.LBB111_699:
	s_mov_b32 s5, 0
.LBB111_700:
	s_delay_alu instid0(SALU_CYCLE_1)
	s_and_not1_b32 vcc_lo, exec_lo, s5
	s_cbranch_vccnz .LBB111_712
; %bb.701:
	s_lshl_b32 s7, s4, 16
	s_and_b32 s5, 0xffff, s4
	s_and_b32 s6, s7, 0x7fffffff
	s_delay_alu instid0(SALU_CYCLE_1)
	s_cmp_lt_u32 s6, 0x47800000
	s_cbranch_scc0 .LBB111_704
; %bb.702:
	s_cmp_gt_u32 s6, 0x387fffff
	s_cbranch_scc0 .LBB111_705
; %bb.703:
	s_bfe_u32 s10, s5, 0x10005
	s_delay_alu instid0(SALU_CYCLE_1) | instskip(NEXT) | instid1(SALU_CYCLE_1)
	s_add_i32 s10, s7, s10
	s_add_i32 s10, s10, 0x80fffff
	s_delay_alu instid0(SALU_CYCLE_1)
	s_lshr_b32 s11, s10, 21
	s_mov_b32 s10, 0
	s_branch .LBB111_706
.LBB111_704:
	s_mov_b32 s7, -1
                                        ; implicit-def: $vgpr4
	s_branch .LBB111_709
.LBB111_705:
	s_mov_b32 s10, -1
                                        ; implicit-def: $sgpr11
.LBB111_706:
	v_mov_b32_e32 v4, s11
	s_and_not1_b32 vcc_lo, exec_lo, s10
	s_cbranch_vccnz .LBB111_708
; %bb.707:
	v_add_f32_e64 v4, 0x43000000, |s7|
.LBB111_708:
	s_mov_b32 s7, 0
.LBB111_709:
	s_delay_alu instid0(SALU_CYCLE_1)
	s_and_not1_b32 vcc_lo, exec_lo, s7
	s_cbranch_vccnz .LBB111_711
; %bb.710:
	s_cmp_gt_u32 s6, 0x7f800000
	s_movk_i32 s6, 0x7f
	s_delay_alu instid0(SALU_CYCLE_1) | instskip(NEXT) | instid1(SALU_CYCLE_1)
	s_cselect_b32 s6, s6, 0x7c
	v_mov_b32_e32 v4, s6
.LBB111_711:
	s_lshr_b32 s5, s5, 8
	s_delay_alu instid0(SALU_CYCLE_1)
	s_and_b32 s5, s5, 0x80
	s_delay_alu instid0(VALU_DEP_1) | instid1(SALU_CYCLE_1)
	v_or_b32_e32 v4, s5, v4
	global_store_b8 v[2:3], v4, off
.LBB111_712:
	s_mov_b32 s5, 0
	s_mov_b32 s6, -1
.LBB111_713:
	s_and_not1_b32 vcc_lo, exec_lo, s5
	s_mov_b32 s5, 0
	s_cbranch_vccnz .LBB111_720
; %bb.714:
	v_cmp_lt_i16_e32 vcc_lo, 14, v5
	s_mov_b32 s5, -1
	s_cbranch_vccz .LBB111_718
; %bb.715:
	v_cmp_eq_u16_e32 vcc_lo, 15, v5
	s_mov_b32 s3, -1
	s_cbranch_vccz .LBB111_717
; %bb.716:
	v_mov_b32_e32 v4, s4
	s_mov_b32 s3, 0
	s_mov_b32 s6, -1
	global_store_b16 v[2:3], v4, off
.LBB111_717:
	s_mov_b32 s5, 0
.LBB111_718:
	s_delay_alu instid0(SALU_CYCLE_1)
	s_and_b32 vcc_lo, exec_lo, s5
	s_mov_b32 s5, 0
	s_cbranch_vccz .LBB111_720
; %bb.719:
	v_cmp_ne_u16_e64 s3, 11, v5
	s_mov_b32 s5, -1
.LBB111_720:
	s_delay_alu instid0(VALU_DEP_1)
	s_and_b32 vcc_lo, exec_lo, s3
	s_cbranch_vccnz .LBB111_792
; %bb.721:
	s_and_not1_b32 vcc_lo, exec_lo, s5
	s_cbranch_vccnz .LBB111_723
.LBB111_722:
	v_and_b32_e64 v4, 0x7fff, s4
	s_mov_b32 s6, -1
	s_delay_alu instid0(VALU_DEP_1)
	v_cmp_ne_u16_e32 vcc_lo, 0, v4
	v_cndmask_b32_e64 v4, 0, 1, vcc_lo
	global_store_b8 v[2:3], v4, off
.LBB111_723:
	s_mov_b32 s3, 0
.LBB111_724:
	s_delay_alu instid0(SALU_CYCLE_1)
	s_and_b32 vcc_lo, exec_lo, s3
	s_cbranch_vccz .LBB111_763
; %bb.725:
	v_cmp_gt_i16_e32 vcc_lo, 5, v5
	s_mov_b32 s3, -1
	s_cbranch_vccnz .LBB111_746
; %bb.726:
	v_cmp_gt_i16_e32 vcc_lo, 8, v5
	s_cbranch_vccnz .LBB111_736
; %bb.727:
	v_cmp_gt_i16_e32 vcc_lo, 9, v5
	s_cbranch_vccnz .LBB111_733
; %bb.728:
	v_cmp_lt_i16_e32 vcc_lo, 9, v5
	s_cbranch_vccz .LBB111_730
; %bb.729:
	s_lshl_b32 s3, s4, 16
	v_mov_b32_e32 v8, 0
	v_cvt_f64_f32_e32 v[6:7], s3
	s_mov_b32 s3, 0
	s_delay_alu instid0(VALU_DEP_2)
	v_mov_b32_e32 v9, v8
	global_store_b128 v[2:3], v[6:9], off
.LBB111_730:
	s_and_not1_b32 vcc_lo, exec_lo, s3
	s_cbranch_vccnz .LBB111_732
; %bb.731:
	s_lshl_b32 s3, s4, 16
	s_delay_alu instid0(SALU_CYCLE_1)
	v_dual_mov_b32 v7, 0 :: v_dual_mov_b32 v6, s3
	global_store_b64 v[2:3], v[6:7], off
.LBB111_732:
	s_mov_b32 s3, 0
.LBB111_733:
	s_delay_alu instid0(SALU_CYCLE_1)
	s_and_not1_b32 vcc_lo, exec_lo, s3
	s_cbranch_vccnz .LBB111_735
; %bb.734:
	s_lshl_b32 s3, s4, 16
	s_delay_alu instid0(SALU_CYCLE_1) | instskip(NEXT) | instid1(VALU_DEP_1)
	v_cvt_f16_f32_e32 v4, s3
	v_and_b32_e32 v4, 0xffff, v4
	global_store_b32 v[2:3], v4, off
.LBB111_735:
	s_mov_b32 s3, 0
.LBB111_736:
	s_delay_alu instid0(SALU_CYCLE_1)
	s_and_not1_b32 vcc_lo, exec_lo, s3
	s_cbranch_vccnz .LBB111_745
; %bb.737:
	v_cmp_gt_i16_e32 vcc_lo, 6, v5
	s_mov_b32 s3, -1
	s_cbranch_vccnz .LBB111_743
; %bb.738:
	v_cmp_lt_i16_e32 vcc_lo, 6, v5
	s_cbranch_vccz .LBB111_740
; %bb.739:
	s_lshl_b32 s3, s4, 16
	s_delay_alu instid0(SALU_CYCLE_1)
	v_cvt_f64_f32_e32 v[6:7], s3
	s_mov_b32 s3, 0
	global_store_b64 v[2:3], v[6:7], off
.LBB111_740:
	s_and_not1_b32 vcc_lo, exec_lo, s3
	s_cbranch_vccnz .LBB111_742
; %bb.741:
	s_lshl_b32 s3, s4, 16
	s_delay_alu instid0(SALU_CYCLE_1)
	v_mov_b32_e32 v4, s3
	global_store_b32 v[2:3], v4, off
.LBB111_742:
	s_mov_b32 s3, 0
.LBB111_743:
	s_delay_alu instid0(SALU_CYCLE_1)
	s_and_not1_b32 vcc_lo, exec_lo, s3
	s_cbranch_vccnz .LBB111_745
; %bb.744:
	s_lshl_b32 s3, s4, 16
	s_delay_alu instid0(SALU_CYCLE_1)
	v_cvt_f16_f32_e32 v4, s3
	global_store_b16 v[2:3], v4, off
.LBB111_745:
	s_mov_b32 s3, 0
.LBB111_746:
	s_delay_alu instid0(SALU_CYCLE_1)
	s_and_not1_b32 vcc_lo, exec_lo, s3
	s_cbranch_vccnz .LBB111_762
; %bb.747:
	v_cmp_gt_i16_e32 vcc_lo, 2, v5
	s_mov_b32 s3, -1
	s_cbranch_vccnz .LBB111_757
; %bb.748:
	v_cmp_gt_i16_e32 vcc_lo, 3, v5
	s_cbranch_vccnz .LBB111_754
; %bb.749:
	v_cmp_lt_i16_e32 vcc_lo, 3, v5
	s_cbranch_vccz .LBB111_751
; %bb.750:
	s_lshl_b32 s3, s4, 16
	s_delay_alu instid0(SALU_CYCLE_1) | instskip(SKIP_1) | instid1(VALU_DEP_1)
	v_trunc_f32_e32 v4, s3
	s_mov_b32 s3, 0
	v_mul_f32_e64 v6, 0x2f800000, |v4|
	s_delay_alu instid0(VALU_DEP_1) | instskip(NEXT) | instid1(VALU_DEP_1)
	v_floor_f32_e32 v6, v6
	v_fma_f32 v7, 0xcf800000, v6, |v4|
	v_ashrrev_i32_e32 v4, 31, v4
	v_cvt_u32_f32_e32 v6, v6
	s_delay_alu instid0(VALU_DEP_3) | instskip(NEXT) | instid1(VALU_DEP_2)
	v_cvt_u32_f32_e32 v7, v7
	v_xor_b32_e32 v8, v6, v4
	s_delay_alu instid0(VALU_DEP_2) | instskip(NEXT) | instid1(VALU_DEP_1)
	v_xor_b32_e32 v7, v7, v4
	v_sub_co_u32 v6, vcc_lo, v7, v4
	s_delay_alu instid0(VALU_DEP_3)
	v_sub_co_ci_u32_e32 v7, vcc_lo, v8, v4, vcc_lo
	global_store_b64 v[2:3], v[6:7], off
.LBB111_751:
	s_and_not1_b32 vcc_lo, exec_lo, s3
	s_cbranch_vccnz .LBB111_753
; %bb.752:
	s_lshl_b32 s3, s4, 16
	s_delay_alu instid0(SALU_CYCLE_1)
	v_cvt_i32_f32_e32 v4, s3
	global_store_b32 v[2:3], v4, off
.LBB111_753:
	s_mov_b32 s3, 0
.LBB111_754:
	s_delay_alu instid0(SALU_CYCLE_1)
	s_and_not1_b32 vcc_lo, exec_lo, s3
	s_cbranch_vccnz .LBB111_756
; %bb.755:
	s_lshl_b32 s3, s4, 16
	s_delay_alu instid0(SALU_CYCLE_1)
	v_cvt_i32_f32_e32 v4, s3
	global_store_b16 v[2:3], v4, off
.LBB111_756:
	s_mov_b32 s3, 0
.LBB111_757:
	s_delay_alu instid0(SALU_CYCLE_1)
	s_and_not1_b32 vcc_lo, exec_lo, s3
	s_cbranch_vccnz .LBB111_762
; %bb.758:
	v_cmp_lt_i16_e32 vcc_lo, 0, v5
	s_mov_b32 s3, -1
	s_cbranch_vccz .LBB111_760
; %bb.759:
	s_lshl_b32 s3, s4, 16
	s_delay_alu instid0(SALU_CYCLE_1)
	v_cvt_i32_f32_e32 v4, s3
	s_mov_b32 s3, 0
	global_store_b8 v[2:3], v4, off
.LBB111_760:
	s_and_not1_b32 vcc_lo, exec_lo, s3
	s_cbranch_vccnz .LBB111_762
; %bb.761:
	s_lshl_b32 s3, s4, 16
	s_delay_alu instid0(SALU_CYCLE_1) | instskip(NEXT) | instid1(VALU_DEP_1)
	v_trunc_f32_e32 v4, s3
	v_mul_f32_e64 v6, 0x2f800000, |v4|
	s_delay_alu instid0(VALU_DEP_1) | instskip(NEXT) | instid1(VALU_DEP_1)
	v_floor_f32_e32 v6, v6
	v_fma_f32 v6, 0xcf800000, v6, |v4|
	v_ashrrev_i32_e32 v4, 31, v4
	s_delay_alu instid0(VALU_DEP_2) | instskip(NEXT) | instid1(VALU_DEP_1)
	v_cvt_u32_f32_e32 v6, v6
	v_xor_b32_e32 v6, v6, v4
	s_delay_alu instid0(VALU_DEP_1)
	v_sub_nc_u32_e32 v4, v6, v4
	global_store_b8 v[2:3], v4, off
.LBB111_762:
	s_mov_b32 s6, -1
.LBB111_763:
	s_delay_alu instid0(SALU_CYCLE_1)
	s_and_not1_b32 vcc_lo, exec_lo, s6
	s_cbranch_vccnz .LBB111_923
; %bb.764:
	v_cmp_gt_i16_e32 vcc_lo, 11, v5
	v_add_co_u32 v1, s3, s0, v1
	s_delay_alu instid0(VALU_DEP_1)
	v_add_co_ci_u32_e64 v2, null, s1, 0, s3
	s_mov_b32 s6, 0
	s_mov_b32 s3, -1
	s_cbranch_vccnz .LBB111_854
; %bb.765:
	v_cmp_lt_i16_e32 vcc_lo, 25, v5
	s_mov_b32 s7, -1
	s_mov_b32 s5, 0
	s_mov_b32 s3, 0
	s_cbranch_vccz .LBB111_804
; %bb.766:
	v_cmp_lt_i16_e32 vcc_lo, 28, v5
	s_cbranch_vccz .LBB111_781
; %bb.767:
	v_cmp_lt_i16_e32 vcc_lo, 43, v5
	;; [unrolled: 3-line block ×3, first 2 shown]
	s_cbranch_vccz .LBB111_771
; %bb.769:
	v_cmp_eq_u16_e32 vcc_lo, 46, v5
	s_mov_b32 s3, -1
	s_mov_b32 s7, 0
	s_cbranch_vccz .LBB111_771
; %bb.770:
	s_and_b32 s3, 0xffff, s4
	s_mov_b32 s6, -1
	v_mov_b32_e32 v3, s3
	s_mov_b32 s3, 0
	global_store_b32 v[1:2], v3, off
.LBB111_771:
	s_and_b32 vcc_lo, exec_lo, s7
	s_cbranch_vccz .LBB111_776
; %bb.772:
	v_cmp_eq_u16_e32 vcc_lo, 44, v5
	s_mov_b32 s3, -1
	s_cbranch_vccz .LBB111_776
; %bb.773:
	s_and_b32 s6, 0xffff, s4
	v_mov_b32_e32 v3, 0xff
	s_bfe_u32 s3, s6, 0x80007
	s_delay_alu instid0(SALU_CYCLE_1)
	s_cmpk_eq_i32 s3, 0xff
	s_cbranch_scc1 .LBB111_775
; %bb.774:
	s_lshr_b32 s7, s6, 7
	s_lshl_b32 s10, s6, 16
	s_bitcmp1_b32 s6, 6
	s_cselect_b32 s6, -1, 0
	s_and_b32 s10, s10, 0x3f0000
	s_delay_alu instid0(SALU_CYCLE_1) | instskip(NEXT) | instid1(SALU_CYCLE_1)
	s_or_b32 s3, s3, s10
	s_cmp_lg_u32 s3, 0
	s_cselect_b32 s3, -1, 0
	s_delay_alu instid0(SALU_CYCLE_1) | instskip(NEXT) | instid1(SALU_CYCLE_1)
	s_and_b32 s3, s6, s3
	v_cndmask_b32_e64 v3, 0, 1, s3
	s_delay_alu instid0(VALU_DEP_1)
	v_add_nc_u32_e32 v3, s7, v3
.LBB111_775:
	s_mov_b32 s3, 0
	s_mov_b32 s6, -1
	global_store_b8 v[1:2], v3, off
.LBB111_776:
	s_mov_b32 s7, 0
.LBB111_777:
	s_delay_alu instid0(SALU_CYCLE_1)
	s_and_b32 vcc_lo, exec_lo, s7
	s_cbranch_vccz .LBB111_780
; %bb.778:
	v_cmp_eq_u16_e32 vcc_lo, 29, v5
	s_mov_b32 s3, -1
	s_cbranch_vccz .LBB111_780
; %bb.779:
	s_lshl_b32 s3, s4, 16
	s_mov_b32 s6, -1
	v_trunc_f32_e32 v3, s3
	s_mov_b32 s3, 0
	s_delay_alu instid0(VALU_DEP_1) | instskip(NEXT) | instid1(VALU_DEP_1)
	v_mul_f32_e32 v4, 0x2f800000, v3
	v_floor_f32_e32 v4, v4
	s_delay_alu instid0(VALU_DEP_1) | instskip(SKIP_1) | instid1(VALU_DEP_2)
	v_fmamk_f32 v3, v4, 0xcf800000, v3
	v_cvt_u32_f32_e32 v4, v4
	v_cvt_u32_f32_e32 v3, v3
	global_store_b64 v[1:2], v[3:4], off
.LBB111_780:
	s_mov_b32 s7, 0
.LBB111_781:
	s_delay_alu instid0(SALU_CYCLE_1)
	s_and_b32 vcc_lo, exec_lo, s7
	s_cbranch_vccz .LBB111_803
; %bb.782:
	v_cmp_gt_i16_e32 vcc_lo, 27, v5
	s_mov_b32 s6, -1
	s_cbranch_vccnz .LBB111_788
; %bb.783:
	v_cmp_lt_i16_e32 vcc_lo, 27, v5
	s_cbranch_vccz .LBB111_785
; %bb.784:
	s_lshl_b32 s6, s4, 16
	s_delay_alu instid0(SALU_CYCLE_1)
	v_cvt_u32_f32_e32 v3, s6
	s_mov_b32 s6, 0
	global_store_b32 v[1:2], v3, off
.LBB111_785:
	s_and_not1_b32 vcc_lo, exec_lo, s6
	s_cbranch_vccnz .LBB111_787
; %bb.786:
	s_lshl_b32 s6, s4, 16
	s_delay_alu instid0(SALU_CYCLE_1)
	v_cvt_u32_f32_e32 v3, s6
	global_store_b16 v[1:2], v3, off
.LBB111_787:
	s_mov_b32 s6, 0
.LBB111_788:
	s_delay_alu instid0(SALU_CYCLE_1)
	s_and_not1_b32 vcc_lo, exec_lo, s6
	s_cbranch_vccnz .LBB111_802
; %bb.789:
	s_lshl_b32 s7, s4, 16
	v_mov_b32_e32 v4, 0x80
	s_and_b32 s10, s7, 0x7fffffff
	s_delay_alu instid0(SALU_CYCLE_1)
	s_cmp_gt_u32 s10, 0x437fffff
	s_cbranch_scc1 .LBB111_801
; %bb.790:
	s_and_b32 s6, 0xffff, s4
	s_cmp_gt_u32 s10, 0x3bffffff
	s_cbranch_scc0 .LBB111_796
; %bb.791:
	s_bfe_u32 s10, s6, 0x10004
	s_mov_b32 s11, 0
	s_add_i32 s10, s7, s10
	s_delay_alu instid0(SALU_CYCLE_1) | instskip(NEXT) | instid1(SALU_CYCLE_1)
	s_add_i32 s10, s10, 0x487ffff
	s_lshr_b32 s12, s10, 20
	s_mov_b32 s10, -1
	s_branch .LBB111_797
.LBB111_792:
	s_cbranch_execnz .LBB111_794
; %bb.793:
	s_or_b32 s2, s2, exec_lo
	s_cbranch_execz .LBB111_722
	s_branch .LBB111_723
.LBB111_794:
	s_trap 2
	s_sendmsg_rtn_b32 s0, sendmsg(MSG_RTN_GET_DOORBELL)
	s_mov_b32 ttmp2, m0
	s_waitcnt lgkmcnt(0)
	s_and_b32 s0, s0, 0x3ff
	s_delay_alu instid0(SALU_CYCLE_1) | instskip(NEXT) | instid1(SALU_CYCLE_1)
	s_bitset1_b32 s0, 10
	s_mov_b32 m0, s0
	s_sendmsg sendmsg(MSG_INTERRUPT)
	s_mov_b32 m0, ttmp2
.LBB111_795:                            ; =>This Inner Loop Header: Depth=1
	s_sethalt 5
	s_branch .LBB111_795
.LBB111_796:
	s_mov_b32 s11, -1
	s_mov_b32 s10, 0
                                        ; implicit-def: $sgpr12
.LBB111_797:
	v_mov_b32_e32 v3, s12
	s_and_not1_b32 vcc_lo, exec_lo, s11
                                        ; implicit-def: $sgpr11
	s_cbranch_vccnz .LBB111_799
; %bb.798:
	v_add_f32_e64 v3, 0x46000000, |s7|
	s_mov_b32 s11, 0
	s_delay_alu instid0(VALU_DEP_1) | instskip(NEXT) | instid1(VALU_DEP_1)
	v_and_b32_e32 v3, 0xff, v3
	v_cmp_ne_u32_e64 s10, 0, v3
.LBB111_799:
	v_mov_b32_e32 v4, s11
	s_delay_alu instid0(VALU_DEP_2)
	s_and_not1_b32 vcc_lo, exec_lo, s10
	s_cbranch_vccnz .LBB111_801
; %bb.800:
	s_lshr_b32 s6, s6, 8
	s_delay_alu instid0(SALU_CYCLE_1) | instskip(NEXT) | instid1(SALU_CYCLE_1)
	s_and_b32 s6, s6, 0x80
	v_or_b32_e32 v4, s6, v3
.LBB111_801:
	global_store_b8 v[1:2], v4, off
.LBB111_802:
	s_mov_b32 s6, -1
.LBB111_803:
	s_mov_b32 s7, 0
.LBB111_804:
	s_delay_alu instid0(SALU_CYCLE_1)
	s_and_b32 vcc_lo, exec_lo, s7
	s_cbranch_vccz .LBB111_850
; %bb.805:
	v_cmp_lt_i16_e32 vcc_lo, 22, v5
	s_mov_b32 s5, -1
	s_cbranch_vccz .LBB111_843
; %bb.806:
	v_cmp_gt_i16_e32 vcc_lo, 24, v5
	s_cbranch_vccnz .LBB111_830
; %bb.807:
	v_cmp_lt_i16_e32 vcc_lo, 24, v5
	s_cbranch_vccz .LBB111_817
; %bb.808:
	s_lshl_b32 s6, s4, 16
	v_mov_b32_e32 v4, 0x80
	s_and_b32 s7, s6, 0x7fffffff
	s_delay_alu instid0(SALU_CYCLE_1)
	s_cmp_gt_u32 s7, 0x477fffff
	s_cbranch_scc1 .LBB111_816
; %bb.809:
	s_and_b32 s5, 0xffff, s4
	s_cmp_gt_u32 s7, 0x37ffffff
	s_cbranch_scc0 .LBB111_811
; %bb.810:
	s_bfe_u32 s7, s5, 0x10005
	s_mov_b32 s10, 0
	s_add_i32 s7, s6, s7
	s_delay_alu instid0(SALU_CYCLE_1) | instskip(NEXT) | instid1(SALU_CYCLE_1)
	s_add_i32 s7, s7, 0x88fffff
	s_lshr_b32 s11, s7, 21
	s_mov_b32 s7, -1
	s_branch .LBB111_812
.LBB111_811:
	s_mov_b32 s10, -1
	s_mov_b32 s7, 0
                                        ; implicit-def: $sgpr11
.LBB111_812:
	v_mov_b32_e32 v3, s11
	s_and_not1_b32 vcc_lo, exec_lo, s10
                                        ; implicit-def: $sgpr10
	s_cbranch_vccnz .LBB111_814
; %bb.813:
	v_add_f32_e64 v3, 0x42800000, |s6|
	s_mov_b32 s10, 0
	s_delay_alu instid0(VALU_DEP_1) | instskip(NEXT) | instid1(VALU_DEP_1)
	v_and_b32_e32 v3, 0xff, v3
	v_cmp_ne_u32_e64 s7, 0, v3
.LBB111_814:
	v_mov_b32_e32 v4, s10
	s_delay_alu instid0(VALU_DEP_2)
	s_and_not1_b32 vcc_lo, exec_lo, s7
	s_cbranch_vccnz .LBB111_816
; %bb.815:
	s_lshr_b32 s5, s5, 8
	s_delay_alu instid0(SALU_CYCLE_1) | instskip(NEXT) | instid1(SALU_CYCLE_1)
	s_and_b32 s5, s5, 0x80
	v_or_b32_e32 v4, s5, v3
.LBB111_816:
	s_mov_b32 s5, 0
	global_store_b8 v[1:2], v4, off
.LBB111_817:
	s_and_b32 vcc_lo, exec_lo, s5
	s_cbranch_vccz .LBB111_829
; %bb.818:
	s_lshl_b32 s7, s4, 16
	s_and_b32 s5, 0xffff, s4
	s_and_b32 s6, s7, 0x7fffffff
	s_delay_alu instid0(SALU_CYCLE_1)
	s_cmp_lt_u32 s6, 0x43f00000
	s_cbranch_scc0 .LBB111_821
; %bb.819:
	s_cmp_gt_u32 s6, 0x3c7fffff
	s_cbranch_scc0 .LBB111_822
; %bb.820:
	s_bfe_u32 s10, s5, 0x10004
	s_delay_alu instid0(SALU_CYCLE_1) | instskip(NEXT) | instid1(SALU_CYCLE_1)
	s_add_i32 s10, s7, s10
	s_add_i32 s10, s10, 0x407ffff
	s_delay_alu instid0(SALU_CYCLE_1)
	s_and_b32 s11, s10, 0xff00000
	s_lshr_b32 s10, s10, 20
	s_cmp_lg_u32 s11, 0x7f00000
	s_cselect_b32 s11, s10, 0x7e
	s_mov_b32 s10, 0
	s_branch .LBB111_823
.LBB111_821:
	s_mov_b32 s7, -1
                                        ; implicit-def: $vgpr3
	s_branch .LBB111_826
.LBB111_822:
	s_mov_b32 s10, -1
                                        ; implicit-def: $sgpr11
.LBB111_823:
	v_mov_b32_e32 v3, s11
	s_and_not1_b32 vcc_lo, exec_lo, s10
	s_cbranch_vccnz .LBB111_825
; %bb.824:
	v_add_f32_e64 v3, 0x46800000, |s7|
.LBB111_825:
	s_mov_b32 s7, 0
.LBB111_826:
	s_delay_alu instid0(SALU_CYCLE_1)
	s_and_not1_b32 vcc_lo, exec_lo, s7
	s_cbranch_vccnz .LBB111_828
; %bb.827:
	s_cmp_gt_u32 s6, 0x7f800000
	s_movk_i32 s6, 0x7f
	s_delay_alu instid0(SALU_CYCLE_1) | instskip(NEXT) | instid1(SALU_CYCLE_1)
	s_cselect_b32 s6, s6, 0x7e
	v_mov_b32_e32 v3, s6
.LBB111_828:
	s_lshr_b32 s5, s5, 8
	s_delay_alu instid0(SALU_CYCLE_1)
	s_and_b32 s5, s5, 0x80
	s_delay_alu instid0(VALU_DEP_1) | instid1(SALU_CYCLE_1)
	v_or_b32_e32 v3, s5, v3
	global_store_b8 v[1:2], v3, off
.LBB111_829:
	s_mov_b32 s5, 0
.LBB111_830:
	s_delay_alu instid0(SALU_CYCLE_1)
	s_and_not1_b32 vcc_lo, exec_lo, s5
	s_cbranch_vccnz .LBB111_842
; %bb.831:
	s_lshl_b32 s7, s4, 16
	s_and_b32 s5, 0xffff, s4
	s_and_b32 s6, s7, 0x7fffffff
	s_delay_alu instid0(SALU_CYCLE_1)
	s_cmp_lt_u32 s6, 0x47800000
	s_cbranch_scc0 .LBB111_834
; %bb.832:
	s_cmp_gt_u32 s6, 0x387fffff
	s_cbranch_scc0 .LBB111_835
; %bb.833:
	s_bfe_u32 s10, s5, 0x10005
	s_delay_alu instid0(SALU_CYCLE_1) | instskip(NEXT) | instid1(SALU_CYCLE_1)
	s_add_i32 s10, s7, s10
	s_add_i32 s10, s10, 0x80fffff
	s_delay_alu instid0(SALU_CYCLE_1)
	s_lshr_b32 s11, s10, 21
	s_mov_b32 s10, 0
	s_branch .LBB111_836
.LBB111_834:
	s_mov_b32 s7, -1
                                        ; implicit-def: $vgpr3
	s_branch .LBB111_839
.LBB111_835:
	s_mov_b32 s10, -1
                                        ; implicit-def: $sgpr11
.LBB111_836:
	v_mov_b32_e32 v3, s11
	s_and_not1_b32 vcc_lo, exec_lo, s10
	s_cbranch_vccnz .LBB111_838
; %bb.837:
	v_add_f32_e64 v3, 0x43000000, |s7|
.LBB111_838:
	s_mov_b32 s7, 0
.LBB111_839:
	s_delay_alu instid0(SALU_CYCLE_1)
	s_and_not1_b32 vcc_lo, exec_lo, s7
	s_cbranch_vccnz .LBB111_841
; %bb.840:
	s_cmp_gt_u32 s6, 0x7f800000
	s_movk_i32 s6, 0x7f
	s_delay_alu instid0(SALU_CYCLE_1) | instskip(NEXT) | instid1(SALU_CYCLE_1)
	s_cselect_b32 s6, s6, 0x7c
	v_mov_b32_e32 v3, s6
.LBB111_841:
	s_lshr_b32 s5, s5, 8
	s_delay_alu instid0(SALU_CYCLE_1)
	s_and_b32 s5, s5, 0x80
	s_delay_alu instid0(VALU_DEP_1) | instid1(SALU_CYCLE_1)
	v_or_b32_e32 v3, s5, v3
	global_store_b8 v[1:2], v3, off
.LBB111_842:
	s_mov_b32 s5, 0
	s_mov_b32 s6, -1
.LBB111_843:
	s_and_not1_b32 vcc_lo, exec_lo, s5
	s_mov_b32 s5, 0
	s_cbranch_vccnz .LBB111_850
; %bb.844:
	v_cmp_lt_i16_e32 vcc_lo, 14, v5
	s_mov_b32 s5, -1
	s_cbranch_vccz .LBB111_848
; %bb.845:
	v_cmp_eq_u16_e32 vcc_lo, 15, v5
	s_mov_b32 s3, -1
	s_cbranch_vccz .LBB111_847
; %bb.846:
	v_mov_b32_e32 v3, s4
	s_mov_b32 s3, 0
	s_mov_b32 s6, -1
	global_store_b16 v[1:2], v3, off
.LBB111_847:
	s_mov_b32 s5, 0
.LBB111_848:
	s_delay_alu instid0(SALU_CYCLE_1)
	s_and_b32 vcc_lo, exec_lo, s5
	s_mov_b32 s5, 0
	s_cbranch_vccz .LBB111_850
; %bb.849:
	v_cmp_ne_u16_e64 s3, 11, v5
	s_mov_b32 s5, -1
.LBB111_850:
	s_delay_alu instid0(VALU_DEP_1)
	s_and_b32 vcc_lo, exec_lo, s3
	s_cbranch_vccnz .LBB111_968
; %bb.851:
	s_and_not1_b32 vcc_lo, exec_lo, s5
	s_cbranch_vccnz .LBB111_853
.LBB111_852:
	v_and_b32_e64 v3, 0x7fff, s4
	s_mov_b32 s6, -1
	s_delay_alu instid0(VALU_DEP_1)
	v_cmp_ne_u16_e32 vcc_lo, 0, v3
	v_cndmask_b32_e64 v3, 0, 1, vcc_lo
	global_store_b8 v[1:2], v3, off
.LBB111_853:
	s_mov_b32 s3, 0
.LBB111_854:
	s_delay_alu instid0(SALU_CYCLE_1)
	s_and_b32 vcc_lo, exec_lo, s3
	s_cbranch_vccz .LBB111_893
; %bb.855:
	v_cmp_gt_i16_e32 vcc_lo, 5, v5
	s_mov_b32 s3, -1
	s_cbranch_vccnz .LBB111_876
; %bb.856:
	v_cmp_gt_i16_e32 vcc_lo, 8, v5
	s_cbranch_vccnz .LBB111_866
; %bb.857:
	v_cmp_gt_i16_e32 vcc_lo, 9, v5
	s_cbranch_vccnz .LBB111_863
; %bb.858:
	v_cmp_lt_i16_e32 vcc_lo, 9, v5
	s_cbranch_vccz .LBB111_860
; %bb.859:
	s_lshl_b32 s3, s4, 16
	v_mov_b32_e32 v8, 0
	v_cvt_f64_f32_e32 v[6:7], s3
	s_mov_b32 s3, 0
	s_delay_alu instid0(VALU_DEP_2)
	v_mov_b32_e32 v9, v8
	global_store_b128 v[1:2], v[6:9], off
.LBB111_860:
	s_and_not1_b32 vcc_lo, exec_lo, s3
	s_cbranch_vccnz .LBB111_862
; %bb.861:
	s_lshl_b32 s3, s4, 16
	s_delay_alu instid0(SALU_CYCLE_1)
	v_dual_mov_b32 v4, 0 :: v_dual_mov_b32 v3, s3
	global_store_b64 v[1:2], v[3:4], off
.LBB111_862:
	s_mov_b32 s3, 0
.LBB111_863:
	s_delay_alu instid0(SALU_CYCLE_1)
	s_and_not1_b32 vcc_lo, exec_lo, s3
	s_cbranch_vccnz .LBB111_865
; %bb.864:
	s_lshl_b32 s3, s4, 16
	s_delay_alu instid0(SALU_CYCLE_1) | instskip(NEXT) | instid1(VALU_DEP_1)
	v_cvt_f16_f32_e32 v3, s3
	v_and_b32_e32 v3, 0xffff, v3
	global_store_b32 v[1:2], v3, off
.LBB111_865:
	s_mov_b32 s3, 0
.LBB111_866:
	s_delay_alu instid0(SALU_CYCLE_1)
	s_and_not1_b32 vcc_lo, exec_lo, s3
	s_cbranch_vccnz .LBB111_875
; %bb.867:
	v_cmp_gt_i16_e32 vcc_lo, 6, v5
	s_mov_b32 s3, -1
	s_cbranch_vccnz .LBB111_873
; %bb.868:
	v_cmp_lt_i16_e32 vcc_lo, 6, v5
	s_cbranch_vccz .LBB111_870
; %bb.869:
	s_lshl_b32 s3, s4, 16
	s_delay_alu instid0(SALU_CYCLE_1)
	v_cvt_f64_f32_e32 v[3:4], s3
	s_mov_b32 s3, 0
	global_store_b64 v[1:2], v[3:4], off
.LBB111_870:
	s_and_not1_b32 vcc_lo, exec_lo, s3
	s_cbranch_vccnz .LBB111_872
; %bb.871:
	s_lshl_b32 s3, s4, 16
	s_delay_alu instid0(SALU_CYCLE_1)
	v_mov_b32_e32 v3, s3
	global_store_b32 v[1:2], v3, off
.LBB111_872:
	s_mov_b32 s3, 0
.LBB111_873:
	s_delay_alu instid0(SALU_CYCLE_1)
	s_and_not1_b32 vcc_lo, exec_lo, s3
	s_cbranch_vccnz .LBB111_875
; %bb.874:
	s_lshl_b32 s3, s4, 16
	s_delay_alu instid0(SALU_CYCLE_1)
	v_cvt_f16_f32_e32 v3, s3
	global_store_b16 v[1:2], v3, off
.LBB111_875:
	s_mov_b32 s3, 0
.LBB111_876:
	s_delay_alu instid0(SALU_CYCLE_1)
	s_and_not1_b32 vcc_lo, exec_lo, s3
	s_cbranch_vccnz .LBB111_892
; %bb.877:
	v_cmp_gt_i16_e32 vcc_lo, 2, v5
	s_mov_b32 s3, -1
	s_cbranch_vccnz .LBB111_887
; %bb.878:
	v_cmp_gt_i16_e32 vcc_lo, 3, v5
	s_cbranch_vccnz .LBB111_884
; %bb.879:
	v_cmp_lt_i16_e32 vcc_lo, 3, v5
	s_cbranch_vccz .LBB111_881
; %bb.880:
	s_lshl_b32 s3, s4, 16
	s_delay_alu instid0(SALU_CYCLE_1) | instskip(SKIP_1) | instid1(VALU_DEP_1)
	v_trunc_f32_e32 v3, s3
	s_mov_b32 s3, 0
	v_mul_f32_e64 v4, 0x2f800000, |v3|
	v_ashrrev_i32_e32 v7, 31, v3
	s_delay_alu instid0(VALU_DEP_2) | instskip(NEXT) | instid1(VALU_DEP_1)
	v_floor_f32_e32 v4, v4
	v_fma_f32 v6, 0xcf800000, v4, |v3|
	v_cvt_u32_f32_e32 v4, v4
	s_delay_alu instid0(VALU_DEP_2) | instskip(NEXT) | instid1(VALU_DEP_2)
	v_cvt_u32_f32_e32 v3, v6
	v_xor_b32_e32 v4, v4, v7
	s_delay_alu instid0(VALU_DEP_2) | instskip(NEXT) | instid1(VALU_DEP_1)
	v_xor_b32_e32 v3, v3, v7
	v_sub_co_u32 v3, vcc_lo, v3, v7
	s_delay_alu instid0(VALU_DEP_3)
	v_sub_co_ci_u32_e32 v4, vcc_lo, v4, v7, vcc_lo
	global_store_b64 v[1:2], v[3:4], off
.LBB111_881:
	s_and_not1_b32 vcc_lo, exec_lo, s3
	s_cbranch_vccnz .LBB111_883
; %bb.882:
	s_lshl_b32 s3, s4, 16
	s_delay_alu instid0(SALU_CYCLE_1)
	v_cvt_i32_f32_e32 v3, s3
	global_store_b32 v[1:2], v3, off
.LBB111_883:
	s_mov_b32 s3, 0
.LBB111_884:
	s_delay_alu instid0(SALU_CYCLE_1)
	s_and_not1_b32 vcc_lo, exec_lo, s3
	s_cbranch_vccnz .LBB111_886
; %bb.885:
	s_lshl_b32 s3, s4, 16
	s_delay_alu instid0(SALU_CYCLE_1)
	v_cvt_i32_f32_e32 v3, s3
	global_store_b16 v[1:2], v3, off
.LBB111_886:
	s_mov_b32 s3, 0
.LBB111_887:
	s_delay_alu instid0(SALU_CYCLE_1)
	s_and_not1_b32 vcc_lo, exec_lo, s3
	s_cbranch_vccnz .LBB111_892
; %bb.888:
	v_cmp_lt_i16_e32 vcc_lo, 0, v5
	s_mov_b32 s3, -1
	s_cbranch_vccz .LBB111_890
; %bb.889:
	s_lshl_b32 s3, s4, 16
	s_delay_alu instid0(SALU_CYCLE_1)
	v_cvt_i32_f32_e32 v3, s3
	s_mov_b32 s3, 0
	global_store_b8 v[1:2], v3, off
.LBB111_890:
	s_and_not1_b32 vcc_lo, exec_lo, s3
	s_cbranch_vccnz .LBB111_892
; %bb.891:
	s_lshl_b32 s3, s4, 16
	s_delay_alu instid0(SALU_CYCLE_1) | instskip(NEXT) | instid1(VALU_DEP_1)
	v_trunc_f32_e32 v3, s3
	v_mul_f32_e64 v4, 0x2f800000, |v3|
	s_delay_alu instid0(VALU_DEP_1) | instskip(NEXT) | instid1(VALU_DEP_1)
	v_floor_f32_e32 v4, v4
	v_fma_f32 v4, 0xcf800000, v4, |v3|
	v_ashrrev_i32_e32 v3, 31, v3
	s_delay_alu instid0(VALU_DEP_2) | instskip(NEXT) | instid1(VALU_DEP_1)
	v_cvt_u32_f32_e32 v4, v4
	v_xor_b32_e32 v4, v4, v3
	s_delay_alu instid0(VALU_DEP_1)
	v_sub_nc_u32_e32 v3, v4, v3
	global_store_b8 v[1:2], v3, off
.LBB111_892:
	s_mov_b32 s6, -1
.LBB111_893:
	s_delay_alu instid0(SALU_CYCLE_1)
	s_and_not1_b32 vcc_lo, exec_lo, s6
	s_cbranch_vccnz .LBB111_923
; %bb.894:
	v_cmp_gt_i16_e32 vcc_lo, 11, v5
	v_add_co_u32 v0, s0, s0, v0
	s_delay_alu instid0(VALU_DEP_1)
	v_add_co_ci_u32_e64 v1, null, s1, 0, s0
	s_mov_b32 s3, 0
	s_mov_b32 s0, -1
	s_cbranch_vccnz .LBB111_924
; %bb.895:
	v_cmp_lt_i16_e32 vcc_lo, 25, v5
	s_mov_b32 s1, -1
	s_mov_b32 s0, 0
	s_cbranch_vccz .LBB111_979
; %bb.896:
	v_cmp_lt_i16_e32 vcc_lo, 28, v5
	s_cbranch_vccz .LBB111_912
; %bb.897:
	v_cmp_lt_i16_e32 vcc_lo, 43, v5
	s_cbranch_vccz .LBB111_908
; %bb.898:
	v_cmp_lt_i16_e32 vcc_lo, 45, v5
	s_cbranch_vccz .LBB111_902
; %bb.899:
	v_cmp_eq_u16_e32 vcc_lo, 46, v5
	s_mov_b32 s0, -1
	s_cbranch_vccz .LBB111_901
; %bb.900:
	s_and_b32 s0, 0xffff, s4
	s_delay_alu instid0(SALU_CYCLE_1)
	v_mov_b32_e32 v2, s0
	s_mov_b32 s0, 0
	global_store_b32 v[0:1], v2, off
.LBB111_901:
	s_mov_b32 s1, 0
.LBB111_902:
	s_delay_alu instid0(SALU_CYCLE_1)
	s_and_b32 vcc_lo, exec_lo, s1
	s_cbranch_vccz .LBB111_907
; %bb.903:
	v_cmp_eq_u16_e32 vcc_lo, 44, v5
	s_mov_b32 s0, -1
	s_cbranch_vccz .LBB111_907
; %bb.904:
	s_and_b32 s1, 0xffff, s4
	v_mov_b32_e32 v2, 0xff
	s_bfe_u32 s0, s1, 0x80007
	s_delay_alu instid0(SALU_CYCLE_1)
	s_cmpk_eq_i32 s0, 0xff
	s_cbranch_scc1 .LBB111_906
; %bb.905:
	s_lshr_b32 s5, s1, 7
	s_lshl_b32 s6, s1, 16
	s_bitcmp1_b32 s1, 6
	s_cselect_b32 s1, -1, 0
	s_and_b32 s6, s6, 0x3f0000
	s_delay_alu instid0(SALU_CYCLE_1) | instskip(NEXT) | instid1(SALU_CYCLE_1)
	s_or_b32 s0, s0, s6
	s_cmp_lg_u32 s0, 0
	s_cselect_b32 s0, -1, 0
	s_delay_alu instid0(SALU_CYCLE_1) | instskip(NEXT) | instid1(SALU_CYCLE_1)
	s_and_b32 s0, s1, s0
	v_cndmask_b32_e64 v2, 0, 1, s0
	s_delay_alu instid0(VALU_DEP_1)
	v_add_nc_u32_e32 v2, s5, v2
.LBB111_906:
	s_mov_b32 s0, 0
	global_store_b8 v[0:1], v2, off
.LBB111_907:
	s_mov_b32 s1, 0
.LBB111_908:
	s_delay_alu instid0(SALU_CYCLE_1)
	s_and_b32 vcc_lo, exec_lo, s1
	s_cbranch_vccz .LBB111_911
; %bb.909:
	v_cmp_eq_u16_e32 vcc_lo, 29, v5
	s_mov_b32 s0, -1
	s_cbranch_vccz .LBB111_911
; %bb.910:
	s_lshl_b32 s0, s4, 16
	s_delay_alu instid0(SALU_CYCLE_1) | instskip(SKIP_1) | instid1(VALU_DEP_1)
	v_trunc_f32_e32 v2, s0
	s_mov_b32 s0, 0
	v_mul_f32_e32 v3, 0x2f800000, v2
	s_delay_alu instid0(VALU_DEP_1) | instskip(NEXT) | instid1(VALU_DEP_1)
	v_floor_f32_e32 v3, v3
	v_fmamk_f32 v2, v3, 0xcf800000, v2
	v_cvt_u32_f32_e32 v3, v3
	s_delay_alu instid0(VALU_DEP_2)
	v_cvt_u32_f32_e32 v2, v2
	global_store_b64 v[0:1], v[2:3], off
.LBB111_911:
	s_mov_b32 s1, 0
.LBB111_912:
	s_delay_alu instid0(SALU_CYCLE_1)
	s_and_b32 vcc_lo, exec_lo, s1
	s_cbranch_vccz .LBB111_978
; %bb.913:
	v_cmp_gt_i16_e32 vcc_lo, 27, v5
	s_mov_b32 s1, -1
	s_cbranch_vccnz .LBB111_919
; %bb.914:
	v_cmp_lt_i16_e32 vcc_lo, 27, v5
	s_cbranch_vccz .LBB111_916
; %bb.915:
	s_lshl_b32 s1, s4, 16
	s_delay_alu instid0(SALU_CYCLE_1)
	v_cvt_u32_f32_e32 v2, s1
	s_mov_b32 s1, 0
	global_store_b32 v[0:1], v2, off
.LBB111_916:
	s_and_not1_b32 vcc_lo, exec_lo, s1
	s_cbranch_vccnz .LBB111_918
; %bb.917:
	s_lshl_b32 s1, s4, 16
	s_delay_alu instid0(SALU_CYCLE_1)
	v_cvt_u32_f32_e32 v2, s1
	global_store_b16 v[0:1], v2, off
.LBB111_918:
	s_mov_b32 s1, 0
.LBB111_919:
	s_delay_alu instid0(SALU_CYCLE_1)
	s_and_not1_b32 vcc_lo, exec_lo, s1
	s_cbranch_vccnz .LBB111_978
; %bb.920:
	s_lshl_b32 s5, s4, 16
	v_mov_b32_e32 v3, 0x80
	s_and_b32 s6, s5, 0x7fffffff
	s_delay_alu instid0(SALU_CYCLE_1)
	s_cmp_gt_u32 s6, 0x437fffff
	s_cbranch_scc1 .LBB111_977
; %bb.921:
	s_and_b32 s1, 0xffff, s4
	s_cmp_gt_u32 s6, 0x3bffffff
	s_cbranch_scc0 .LBB111_972
; %bb.922:
	s_bfe_u32 s6, s1, 0x10004
	s_mov_b32 s7, 0
	s_add_i32 s6, s5, s6
	s_delay_alu instid0(SALU_CYCLE_1) | instskip(NEXT) | instid1(SALU_CYCLE_1)
	s_add_i32 s6, s6, 0x487ffff
	s_lshr_b32 s10, s6, 20
	s_mov_b32 s6, -1
	s_branch .LBB111_973
.LBB111_923:
	s_mov_b32 s0, 0
	s_mov_b32 s3, 0
                                        ; implicit-def: $vgpr5
                                        ; implicit-def: $vgpr0_vgpr1
.LBB111_924:
	s_and_b32 s5, s0, exec_lo
	s_and_not1_b32 s0, s8, exec_lo
	s_and_b32 s1, s2, exec_lo
	s_and_b32 s22, s3, exec_lo
	s_or_b32 s8, s0, s1
.LBB111_925:
	s_or_b32 exec_lo, exec_lo, s9
	s_and_saveexec_b32 s0, s8
	s_cbranch_execz .LBB111_928
; %bb.926:
	; divergent unreachable
	s_or_b32 exec_lo, exec_lo, s0
	s_and_saveexec_b32 s0, s22
	s_delay_alu instid0(SALU_CYCLE_1)
	s_xor_b32 s0, exec_lo, s0
	s_cbranch_execnz .LBB111_929
.LBB111_927:
	s_or_b32 exec_lo, exec_lo, s0
	s_and_saveexec_b32 s0, s5
	s_cbranch_execnz .LBB111_930
	s_branch .LBB111_967
.LBB111_928:
	s_or_b32 exec_lo, exec_lo, s0
	s_and_saveexec_b32 s0, s22
	s_delay_alu instid0(SALU_CYCLE_1)
	s_xor_b32 s0, exec_lo, s0
	s_cbranch_execz .LBB111_927
.LBB111_929:
	v_and_b32_e64 v2, 0x7fff, s4
	s_delay_alu instid0(VALU_DEP_1)
	v_cmp_ne_u16_e32 vcc_lo, 0, v2
	v_cndmask_b32_e64 v2, 0, 1, vcc_lo
	global_store_b8 v[0:1], v2, off
	s_or_b32 exec_lo, exec_lo, s0
	s_and_saveexec_b32 s0, s5
	s_cbranch_execz .LBB111_967
.LBB111_930:
	v_cmp_gt_i16_e32 vcc_lo, 5, v5
	s_mov_b32 s0, -1
	s_cbranch_vccnz .LBB111_951
; %bb.931:
	v_cmp_gt_i16_e32 vcc_lo, 8, v5
	s_cbranch_vccnz .LBB111_941
; %bb.932:
	v_cmp_gt_i16_e32 vcc_lo, 9, v5
	s_cbranch_vccnz .LBB111_938
; %bb.933:
	v_cmp_lt_i16_e32 vcc_lo, 9, v5
	s_cbranch_vccz .LBB111_935
; %bb.934:
	s_lshl_b32 s0, s4, 16
	v_mov_b32_e32 v8, 0
	v_cvt_f64_f32_e32 v[6:7], s0
	s_mov_b32 s0, 0
	s_delay_alu instid0(VALU_DEP_2)
	v_mov_b32_e32 v9, v8
	global_store_b128 v[0:1], v[6:9], off
.LBB111_935:
	s_and_not1_b32 vcc_lo, exec_lo, s0
	s_cbranch_vccnz .LBB111_937
; %bb.936:
	s_lshl_b32 s0, s4, 16
	s_delay_alu instid0(SALU_CYCLE_1)
	v_dual_mov_b32 v3, 0 :: v_dual_mov_b32 v2, s0
	global_store_b64 v[0:1], v[2:3], off
.LBB111_937:
	s_mov_b32 s0, 0
.LBB111_938:
	s_delay_alu instid0(SALU_CYCLE_1)
	s_and_not1_b32 vcc_lo, exec_lo, s0
	s_cbranch_vccnz .LBB111_940
; %bb.939:
	s_lshl_b32 s0, s4, 16
	s_delay_alu instid0(SALU_CYCLE_1) | instskip(NEXT) | instid1(VALU_DEP_1)
	v_cvt_f16_f32_e32 v2, s0
	v_and_b32_e32 v2, 0xffff, v2
	global_store_b32 v[0:1], v2, off
.LBB111_940:
	s_mov_b32 s0, 0
.LBB111_941:
	s_delay_alu instid0(SALU_CYCLE_1)
	s_and_not1_b32 vcc_lo, exec_lo, s0
	s_cbranch_vccnz .LBB111_950
; %bb.942:
	v_cmp_gt_i16_e32 vcc_lo, 6, v5
	s_mov_b32 s0, -1
	s_cbranch_vccnz .LBB111_948
; %bb.943:
	v_cmp_lt_i16_e32 vcc_lo, 6, v5
	s_cbranch_vccz .LBB111_945
; %bb.944:
	s_lshl_b32 s0, s4, 16
	s_delay_alu instid0(SALU_CYCLE_1)
	v_cvt_f64_f32_e32 v[2:3], s0
	s_mov_b32 s0, 0
	global_store_b64 v[0:1], v[2:3], off
.LBB111_945:
	s_and_not1_b32 vcc_lo, exec_lo, s0
	s_cbranch_vccnz .LBB111_947
; %bb.946:
	s_lshl_b32 s0, s4, 16
	s_delay_alu instid0(SALU_CYCLE_1)
	v_mov_b32_e32 v2, s0
	global_store_b32 v[0:1], v2, off
.LBB111_947:
	s_mov_b32 s0, 0
.LBB111_948:
	s_delay_alu instid0(SALU_CYCLE_1)
	s_and_not1_b32 vcc_lo, exec_lo, s0
	s_cbranch_vccnz .LBB111_950
; %bb.949:
	s_lshl_b32 s0, s4, 16
	s_delay_alu instid0(SALU_CYCLE_1)
	v_cvt_f16_f32_e32 v2, s0
	global_store_b16 v[0:1], v2, off
.LBB111_950:
	s_mov_b32 s0, 0
.LBB111_951:
	s_delay_alu instid0(SALU_CYCLE_1)
	s_and_not1_b32 vcc_lo, exec_lo, s0
	s_cbranch_vccnz .LBB111_967
; %bb.952:
	v_cmp_gt_i16_e32 vcc_lo, 2, v5
	s_mov_b32 s0, -1
	s_cbranch_vccnz .LBB111_962
; %bb.953:
	v_cmp_gt_i16_e32 vcc_lo, 3, v5
	s_cbranch_vccnz .LBB111_959
; %bb.954:
	v_cmp_lt_i16_e32 vcc_lo, 3, v5
	s_cbranch_vccz .LBB111_956
; %bb.955:
	s_lshl_b32 s0, s4, 16
	s_delay_alu instid0(SALU_CYCLE_1) | instskip(SKIP_1) | instid1(VALU_DEP_1)
	v_trunc_f32_e32 v2, s0
	s_mov_b32 s0, 0
	v_mul_f32_e64 v3, 0x2f800000, |v2|
	v_ashrrev_i32_e32 v6, 31, v2
	s_delay_alu instid0(VALU_DEP_2) | instskip(NEXT) | instid1(VALU_DEP_1)
	v_floor_f32_e32 v3, v3
	v_fma_f32 v4, 0xcf800000, v3, |v2|
	v_cvt_u32_f32_e32 v3, v3
	s_delay_alu instid0(VALU_DEP_2) | instskip(NEXT) | instid1(VALU_DEP_2)
	v_cvt_u32_f32_e32 v2, v4
	v_xor_b32_e32 v3, v3, v6
	s_delay_alu instid0(VALU_DEP_2) | instskip(NEXT) | instid1(VALU_DEP_1)
	v_xor_b32_e32 v2, v2, v6
	v_sub_co_u32 v2, vcc_lo, v2, v6
	s_delay_alu instid0(VALU_DEP_3)
	v_sub_co_ci_u32_e32 v3, vcc_lo, v3, v6, vcc_lo
	global_store_b64 v[0:1], v[2:3], off
.LBB111_956:
	s_and_not1_b32 vcc_lo, exec_lo, s0
	s_cbranch_vccnz .LBB111_958
; %bb.957:
	s_lshl_b32 s0, s4, 16
	s_delay_alu instid0(SALU_CYCLE_1)
	v_cvt_i32_f32_e32 v2, s0
	global_store_b32 v[0:1], v2, off
.LBB111_958:
	s_mov_b32 s0, 0
.LBB111_959:
	s_delay_alu instid0(SALU_CYCLE_1)
	s_and_not1_b32 vcc_lo, exec_lo, s0
	s_cbranch_vccnz .LBB111_961
; %bb.960:
	s_lshl_b32 s0, s4, 16
	s_delay_alu instid0(SALU_CYCLE_1)
	v_cvt_i32_f32_e32 v2, s0
	global_store_b16 v[0:1], v2, off
.LBB111_961:
	s_mov_b32 s0, 0
.LBB111_962:
	s_delay_alu instid0(SALU_CYCLE_1)
	s_and_not1_b32 vcc_lo, exec_lo, s0
	s_cbranch_vccnz .LBB111_967
; %bb.963:
	v_cmp_lt_i16_e32 vcc_lo, 0, v5
	s_mov_b32 s0, -1
	s_cbranch_vccz .LBB111_965
; %bb.964:
	s_lshl_b32 s0, s4, 16
	s_delay_alu instid0(SALU_CYCLE_1)
	v_cvt_i32_f32_e32 v2, s0
	s_mov_b32 s0, 0
	global_store_b8 v[0:1], v2, off
.LBB111_965:
	s_and_not1_b32 vcc_lo, exec_lo, s0
	s_cbranch_vccnz .LBB111_967
; %bb.966:
	s_lshl_b32 s0, s4, 16
	s_delay_alu instid0(SALU_CYCLE_1) | instskip(NEXT) | instid1(VALU_DEP_1)
	v_trunc_f32_e32 v2, s0
	v_mul_f32_e64 v3, 0x2f800000, |v2|
	s_delay_alu instid0(VALU_DEP_1) | instskip(NEXT) | instid1(VALU_DEP_1)
	v_floor_f32_e32 v3, v3
	v_fma_f32 v3, 0xcf800000, v3, |v2|
	v_ashrrev_i32_e32 v2, 31, v2
	s_delay_alu instid0(VALU_DEP_2) | instskip(NEXT) | instid1(VALU_DEP_1)
	v_cvt_u32_f32_e32 v3, v3
	v_xor_b32_e32 v3, v3, v2
	s_delay_alu instid0(VALU_DEP_1)
	v_sub_nc_u32_e32 v2, v3, v2
	global_store_b8 v[0:1], v2, off
	s_nop 0
	s_sendmsg sendmsg(MSG_DEALLOC_VGPRS)
	s_endpgm
.LBB111_967:
	s_nop 0
	s_sendmsg sendmsg(MSG_DEALLOC_VGPRS)
	s_endpgm
.LBB111_968:
	s_cbranch_execnz .LBB111_970
; %bb.969:
	s_or_b32 s2, s2, exec_lo
	s_cbranch_execz .LBB111_852
	s_branch .LBB111_853
.LBB111_970:
	s_trap 2
	s_sendmsg_rtn_b32 s0, sendmsg(MSG_RTN_GET_DOORBELL)
	s_mov_b32 ttmp2, m0
	s_waitcnt lgkmcnt(0)
	s_and_b32 s0, s0, 0x3ff
	s_delay_alu instid0(SALU_CYCLE_1) | instskip(NEXT) | instid1(SALU_CYCLE_1)
	s_bitset1_b32 s0, 10
	s_mov_b32 m0, s0
	s_sendmsg sendmsg(MSG_INTERRUPT)
	s_mov_b32 m0, ttmp2
.LBB111_971:                            ; =>This Inner Loop Header: Depth=1
	s_sethalt 5
	s_branch .LBB111_971
.LBB111_972:
	s_mov_b32 s7, -1
	s_mov_b32 s6, 0
                                        ; implicit-def: $sgpr10
.LBB111_973:
	v_mov_b32_e32 v2, s10
	s_and_not1_b32 vcc_lo, exec_lo, s7
                                        ; implicit-def: $sgpr7
	s_cbranch_vccnz .LBB111_975
; %bb.974:
	v_add_f32_e64 v2, 0x46000000, |s5|
	s_mov_b32 s7, 0
	s_delay_alu instid0(VALU_DEP_1) | instskip(NEXT) | instid1(VALU_DEP_1)
	v_and_b32_e32 v2, 0xff, v2
	v_cmp_ne_u32_e64 s6, 0, v2
.LBB111_975:
	v_mov_b32_e32 v3, s7
	s_delay_alu instid0(VALU_DEP_2)
	s_and_not1_b32 vcc_lo, exec_lo, s6
	s_cbranch_vccnz .LBB111_977
; %bb.976:
	s_lshr_b32 s1, s1, 8
	s_delay_alu instid0(SALU_CYCLE_1) | instskip(NEXT) | instid1(SALU_CYCLE_1)
	s_and_b32 s1, s1, 0x80
	v_or_b32_e32 v3, s1, v2
.LBB111_977:
	global_store_b8 v[0:1], v3, off
.LBB111_978:
	s_mov_b32 s1, 0
.LBB111_979:
	s_delay_alu instid0(SALU_CYCLE_1)
	s_and_b32 vcc_lo, exec_lo, s1
	s_cbranch_vccz .LBB111_1025
; %bb.980:
	v_cmp_lt_i16_e32 vcc_lo, 22, v5
	s_mov_b32 s1, -1
	s_cbranch_vccz .LBB111_1018
; %bb.981:
	v_cmp_gt_i16_e32 vcc_lo, 24, v5
	s_cbranch_vccnz .LBB111_1005
; %bb.982:
	v_cmp_lt_i16_e32 vcc_lo, 24, v5
	s_cbranch_vccz .LBB111_992
; %bb.983:
	s_lshl_b32 s3, s4, 16
	v_mov_b32_e32 v3, 0x80
	s_and_b32 s5, s3, 0x7fffffff
	s_delay_alu instid0(SALU_CYCLE_1)
	s_cmp_gt_u32 s5, 0x477fffff
	s_cbranch_scc1 .LBB111_991
; %bb.984:
	s_and_b32 s1, 0xffff, s4
	s_cmp_gt_u32 s5, 0x37ffffff
	s_cbranch_scc0 .LBB111_986
; %bb.985:
	s_bfe_u32 s5, s1, 0x10005
	s_mov_b32 s6, 0
	s_add_i32 s5, s3, s5
	s_delay_alu instid0(SALU_CYCLE_1) | instskip(NEXT) | instid1(SALU_CYCLE_1)
	s_add_i32 s5, s5, 0x88fffff
	s_lshr_b32 s7, s5, 21
	s_mov_b32 s5, -1
	s_branch .LBB111_987
.LBB111_986:
	s_mov_b32 s6, -1
	s_mov_b32 s5, 0
                                        ; implicit-def: $sgpr7
.LBB111_987:
	v_mov_b32_e32 v2, s7
	s_and_not1_b32 vcc_lo, exec_lo, s6
                                        ; implicit-def: $sgpr6
	s_cbranch_vccnz .LBB111_989
; %bb.988:
	v_add_f32_e64 v2, 0x42800000, |s3|
	s_mov_b32 s6, 0
	s_delay_alu instid0(VALU_DEP_1) | instskip(NEXT) | instid1(VALU_DEP_1)
	v_and_b32_e32 v2, 0xff, v2
	v_cmp_ne_u32_e64 s5, 0, v2
.LBB111_989:
	v_mov_b32_e32 v3, s6
	s_delay_alu instid0(VALU_DEP_2)
	s_and_not1_b32 vcc_lo, exec_lo, s5
	s_cbranch_vccnz .LBB111_991
; %bb.990:
	s_lshr_b32 s1, s1, 8
	s_delay_alu instid0(SALU_CYCLE_1) | instskip(NEXT) | instid1(SALU_CYCLE_1)
	s_and_b32 s1, s1, 0x80
	v_or_b32_e32 v3, s1, v2
.LBB111_991:
	s_mov_b32 s1, 0
	global_store_b8 v[0:1], v3, off
.LBB111_992:
	s_and_b32 vcc_lo, exec_lo, s1
	s_cbranch_vccz .LBB111_1004
; %bb.993:
	s_lshl_b32 s5, s4, 16
	s_and_b32 s1, 0xffff, s4
	s_and_b32 s3, s5, 0x7fffffff
	s_delay_alu instid0(SALU_CYCLE_1)
	s_cmp_lt_u32 s3, 0x43f00000
	s_cbranch_scc0 .LBB111_996
; %bb.994:
	s_cmp_gt_u32 s3, 0x3c7fffff
	s_cbranch_scc0 .LBB111_997
; %bb.995:
	s_bfe_u32 s6, s1, 0x10004
	s_delay_alu instid0(SALU_CYCLE_1) | instskip(NEXT) | instid1(SALU_CYCLE_1)
	s_add_i32 s6, s5, s6
	s_add_i32 s6, s6, 0x407ffff
	s_delay_alu instid0(SALU_CYCLE_1)
	s_and_b32 s7, s6, 0xff00000
	s_lshr_b32 s6, s6, 20
	s_cmp_lg_u32 s7, 0x7f00000
	s_cselect_b32 s7, s6, 0x7e
	s_mov_b32 s6, 0
	s_branch .LBB111_998
.LBB111_996:
	s_mov_b32 s5, -1
                                        ; implicit-def: $vgpr2
	s_branch .LBB111_1001
.LBB111_997:
	s_mov_b32 s6, -1
                                        ; implicit-def: $sgpr7
.LBB111_998:
	v_mov_b32_e32 v2, s7
	s_and_not1_b32 vcc_lo, exec_lo, s6
	s_cbranch_vccnz .LBB111_1000
; %bb.999:
	v_add_f32_e64 v2, 0x46800000, |s5|
.LBB111_1000:
	s_mov_b32 s5, 0
.LBB111_1001:
	s_delay_alu instid0(SALU_CYCLE_1)
	s_and_not1_b32 vcc_lo, exec_lo, s5
	s_cbranch_vccnz .LBB111_1003
; %bb.1002:
	s_cmp_gt_u32 s3, 0x7f800000
	s_movk_i32 s3, 0x7f
	s_delay_alu instid0(SALU_CYCLE_1) | instskip(NEXT) | instid1(SALU_CYCLE_1)
	s_cselect_b32 s3, s3, 0x7e
	v_mov_b32_e32 v2, s3
.LBB111_1003:
	s_lshr_b32 s1, s1, 8
	s_delay_alu instid0(SALU_CYCLE_1)
	s_and_b32 s1, s1, 0x80
	s_delay_alu instid0(VALU_DEP_1) | instid1(SALU_CYCLE_1)
	v_or_b32_e32 v2, s1, v2
	global_store_b8 v[0:1], v2, off
.LBB111_1004:
	s_mov_b32 s1, 0
.LBB111_1005:
	s_delay_alu instid0(SALU_CYCLE_1)
	s_and_not1_b32 vcc_lo, exec_lo, s1
	s_cbranch_vccnz .LBB111_1017
; %bb.1006:
	s_lshl_b32 s5, s4, 16
	s_and_b32 s1, 0xffff, s4
	s_and_b32 s3, s5, 0x7fffffff
	s_delay_alu instid0(SALU_CYCLE_1)
	s_cmp_lt_u32 s3, 0x47800000
	s_cbranch_scc0 .LBB111_1009
; %bb.1007:
	s_cmp_gt_u32 s3, 0x387fffff
	s_cbranch_scc0 .LBB111_1010
; %bb.1008:
	s_bfe_u32 s6, s1, 0x10005
	s_delay_alu instid0(SALU_CYCLE_1) | instskip(NEXT) | instid1(SALU_CYCLE_1)
	s_add_i32 s6, s5, s6
	s_add_i32 s6, s6, 0x80fffff
	s_delay_alu instid0(SALU_CYCLE_1)
	s_lshr_b32 s7, s6, 21
	s_mov_b32 s6, 0
	s_branch .LBB111_1011
.LBB111_1009:
	s_mov_b32 s5, -1
                                        ; implicit-def: $vgpr2
	s_branch .LBB111_1014
.LBB111_1010:
	s_mov_b32 s6, -1
                                        ; implicit-def: $sgpr7
.LBB111_1011:
	v_mov_b32_e32 v2, s7
	s_and_not1_b32 vcc_lo, exec_lo, s6
	s_cbranch_vccnz .LBB111_1013
; %bb.1012:
	v_add_f32_e64 v2, 0x43000000, |s5|
.LBB111_1013:
	s_mov_b32 s5, 0
.LBB111_1014:
	s_delay_alu instid0(SALU_CYCLE_1)
	s_and_not1_b32 vcc_lo, exec_lo, s5
	s_cbranch_vccnz .LBB111_1016
; %bb.1015:
	s_cmp_gt_u32 s3, 0x7f800000
	s_movk_i32 s3, 0x7f
	s_delay_alu instid0(SALU_CYCLE_1) | instskip(NEXT) | instid1(SALU_CYCLE_1)
	s_cselect_b32 s3, s3, 0x7c
	v_mov_b32_e32 v2, s3
.LBB111_1016:
	s_lshr_b32 s1, s1, 8
	s_delay_alu instid0(SALU_CYCLE_1)
	s_and_b32 s1, s1, 0x80
	s_delay_alu instid0(VALU_DEP_1) | instid1(SALU_CYCLE_1)
	v_or_b32_e32 v2, s1, v2
	global_store_b8 v[0:1], v2, off
.LBB111_1017:
	s_mov_b32 s1, 0
.LBB111_1018:
	s_delay_alu instid0(SALU_CYCLE_1)
	s_and_not1_b32 vcc_lo, exec_lo, s1
	s_mov_b32 s3, 0
	s_cbranch_vccnz .LBB111_1025
; %bb.1019:
	v_cmp_lt_i16_e32 vcc_lo, 14, v5
	s_mov_b32 s1, -1
	s_cbranch_vccz .LBB111_1023
; %bb.1020:
	v_cmp_eq_u16_e32 vcc_lo, 15, v5
	s_mov_b32 s0, -1
	s_cbranch_vccz .LBB111_1022
; %bb.1021:
	v_mov_b32_e32 v2, s4
	s_mov_b32 s0, 0
	global_store_b16 v[0:1], v2, off
.LBB111_1022:
	s_mov_b32 s1, 0
.LBB111_1023:
	s_delay_alu instid0(SALU_CYCLE_1)
	s_and_b32 vcc_lo, exec_lo, s1
	s_cbranch_vccz .LBB111_1025
; %bb.1024:
	v_cmp_ne_u16_e64 s0, 11, v5
	s_mov_b32 s3, -1
.LBB111_1025:
	s_delay_alu instid0(VALU_DEP_1)
	s_and_b32 vcc_lo, exec_lo, s0
	s_cbranch_vccnz .LBB111_1027
.LBB111_1026:
	s_mov_b32 s0, 0
	s_branch .LBB111_924
.LBB111_1027:
	s_cbranch_execnz .LBB111_1029
; %bb.1028:
	s_mov_b32 s3, 0
	s_or_b32 s2, s2, exec_lo
	s_branch .LBB111_1026
.LBB111_1029:
	s_trap 2
	s_sendmsg_rtn_b32 s0, sendmsg(MSG_RTN_GET_DOORBELL)
	s_mov_b32 ttmp2, m0
	s_waitcnt lgkmcnt(0)
	s_and_b32 s0, s0, 0x3ff
	s_delay_alu instid0(SALU_CYCLE_1) | instskip(NEXT) | instid1(SALU_CYCLE_1)
	s_bitset1_b32 s0, 10
	s_mov_b32 m0, s0
	s_sendmsg sendmsg(MSG_INTERRUPT)
	s_mov_b32 m0, ttmp2
.LBB111_1030:                           ; =>This Inner Loop Header: Depth=1
	s_sethalt 5
	s_branch .LBB111_1030
	.section	.rodata,"a",@progbits
	.p2align	6, 0x0
	.amdhsa_kernel _ZN2at6native32elementwise_kernel_manual_unrollILi128ELi4EZNS0_15gpu_kernel_implINS0_11FillFunctorIN3c108BFloat16EEEEEvRNS_18TensorIteratorBaseERKT_EUlibE0_EEviT1_
		.amdhsa_group_segment_fixed_size 0
		.amdhsa_private_segment_fixed_size 0
		.amdhsa_kernarg_size 288
		.amdhsa_user_sgpr_count 15
		.amdhsa_user_sgpr_dispatch_ptr 0
		.amdhsa_user_sgpr_queue_ptr 0
		.amdhsa_user_sgpr_kernarg_segment_ptr 1
		.amdhsa_user_sgpr_dispatch_id 0
		.amdhsa_user_sgpr_private_segment_size 0
		.amdhsa_wavefront_size32 1
		.amdhsa_uses_dynamic_stack 0
		.amdhsa_enable_private_segment 0
		.amdhsa_system_sgpr_workgroup_id_x 1
		.amdhsa_system_sgpr_workgroup_id_y 0
		.amdhsa_system_sgpr_workgroup_id_z 0
		.amdhsa_system_sgpr_workgroup_info 0
		.amdhsa_system_vgpr_workitem_id 0
		.amdhsa_next_free_vgpr 22
		.amdhsa_next_free_sgpr 80
		.amdhsa_reserve_vcc 1
		.amdhsa_float_round_mode_32 0
		.amdhsa_float_round_mode_16_64 0
		.amdhsa_float_denorm_mode_32 3
		.amdhsa_float_denorm_mode_16_64 3
		.amdhsa_dx10_clamp 1
		.amdhsa_ieee_mode 1
		.amdhsa_fp16_overflow 0
		.amdhsa_workgroup_processor_mode 1
		.amdhsa_memory_ordered 1
		.amdhsa_forward_progress 0
		.amdhsa_shared_vgpr_count 0
		.amdhsa_exception_fp_ieee_invalid_op 0
		.amdhsa_exception_fp_denorm_src 0
		.amdhsa_exception_fp_ieee_div_zero 0
		.amdhsa_exception_fp_ieee_overflow 0
		.amdhsa_exception_fp_ieee_underflow 0
		.amdhsa_exception_fp_ieee_inexact 0
		.amdhsa_exception_int_div_zero 0
	.end_amdhsa_kernel
	.section	.text._ZN2at6native32elementwise_kernel_manual_unrollILi128ELi4EZNS0_15gpu_kernel_implINS0_11FillFunctorIN3c108BFloat16EEEEEvRNS_18TensorIteratorBaseERKT_EUlibE0_EEviT1_,"axG",@progbits,_ZN2at6native32elementwise_kernel_manual_unrollILi128ELi4EZNS0_15gpu_kernel_implINS0_11FillFunctorIN3c108BFloat16EEEEEvRNS_18TensorIteratorBaseERKT_EUlibE0_EEviT1_,comdat
.Lfunc_end111:
	.size	_ZN2at6native32elementwise_kernel_manual_unrollILi128ELi4EZNS0_15gpu_kernel_implINS0_11FillFunctorIN3c108BFloat16EEEEEvRNS_18TensorIteratorBaseERKT_EUlibE0_EEviT1_, .Lfunc_end111-_ZN2at6native32elementwise_kernel_manual_unrollILi128ELi4EZNS0_15gpu_kernel_implINS0_11FillFunctorIN3c108BFloat16EEEEEvRNS_18TensorIteratorBaseERKT_EUlibE0_EEviT1_
                                        ; -- End function
	.section	.AMDGPU.csdata,"",@progbits
; Kernel info:
; codeLenInByte = 19976
; NumSgprs: 82
; NumVgprs: 22
; ScratchSize: 0
; MemoryBound: 0
; FloatMode: 240
; IeeeMode: 1
; LDSByteSize: 0 bytes/workgroup (compile time only)
; SGPRBlocks: 10
; VGPRBlocks: 2
; NumSGPRsForWavesPerEU: 82
; NumVGPRsForWavesPerEU: 22
; Occupancy: 16
; WaveLimiterHint : 1
; COMPUTE_PGM_RSRC2:SCRATCH_EN: 0
; COMPUTE_PGM_RSRC2:USER_SGPR: 15
; COMPUTE_PGM_RSRC2:TRAP_HANDLER: 0
; COMPUTE_PGM_RSRC2:TGID_X_EN: 1
; COMPUTE_PGM_RSRC2:TGID_Y_EN: 0
; COMPUTE_PGM_RSRC2:TGID_Z_EN: 0
; COMPUTE_PGM_RSRC2:TIDIG_COMP_CNT: 0
	.section	.text._ZN2at6native29vectorized_elementwise_kernelILi16ENS0_11FillFunctorIN3c1011Float8_e5m2EEESt5arrayIPcLm1EEEEviT0_T1_,"axG",@progbits,_ZN2at6native29vectorized_elementwise_kernelILi16ENS0_11FillFunctorIN3c1011Float8_e5m2EEESt5arrayIPcLm1EEEEviT0_T1_,comdat
	.protected	_ZN2at6native29vectorized_elementwise_kernelILi16ENS0_11FillFunctorIN3c1011Float8_e5m2EEESt5arrayIPcLm1EEEEviT0_T1_ ; -- Begin function _ZN2at6native29vectorized_elementwise_kernelILi16ENS0_11FillFunctorIN3c1011Float8_e5m2EEESt5arrayIPcLm1EEEEviT0_T1_
	.globl	_ZN2at6native29vectorized_elementwise_kernelILi16ENS0_11FillFunctorIN3c1011Float8_e5m2EEESt5arrayIPcLm1EEEEviT0_T1_
	.p2align	8
	.type	_ZN2at6native29vectorized_elementwise_kernelILi16ENS0_11FillFunctorIN3c1011Float8_e5m2EEESt5arrayIPcLm1EEEEviT0_T1_,@function
_ZN2at6native29vectorized_elementwise_kernelILi16ENS0_11FillFunctorIN3c1011Float8_e5m2EEESt5arrayIPcLm1EEEEviT0_T1_: ; @_ZN2at6native29vectorized_elementwise_kernelILi16ENS0_11FillFunctorIN3c1011Float8_e5m2EEESt5arrayIPcLm1EEEEviT0_T1_
; %bb.0:
	s_load_b128 s[0:3], s[0:1], 0x0
	s_lshl_b32 s4, s15, 12
	s_waitcnt lgkmcnt(0)
	s_sub_i32 s0, s0, s4
	s_delay_alu instid0(SALU_CYCLE_1)
	s_cmpk_gt_i32 s0, 0xfff
	s_cbranch_scc0 .LBB112_4
; %bb.1:
	v_lshlrev_b16 v1, 8, s1
	v_and_b32_e64 v2, 0xff, s1
	v_dual_mov_b32 v8, s1 :: v_dual_lshlrev_b32 v7, 4, v0
	s_ashr_i32 s5, s4, 31
	s_add_u32 s8, s2, s4
	s_delay_alu instid0(VALU_DEP_2) | instskip(SKIP_1) | instid1(VALU_DEP_1)
	v_or_b32_e32 v6, v2, v1
	s_addc_u32 s9, s3, s5
	v_and_b32_e32 v1, 0xffff, v6
	v_lshlrev_b32_e32 v2, 16, v6
	s_delay_alu instid0(VALU_DEP_1) | instskip(SKIP_1) | instid1(VALU_DEP_1)
	v_or_b32_e32 v3, v1, v2
	v_add_co_u32 v1, s5, s8, v7
	v_add_co_ci_u32_e64 v2, null, s9, 0, s5
	s_delay_alu instid0(VALU_DEP_3) | instskip(SKIP_1) | instid1(VALU_DEP_4)
	v_mov_b32_e32 v5, v3
	v_mov_b32_e32 v4, v3
	v_add_co_u32 v1, vcc_lo, v1, 15
	s_delay_alu instid0(VALU_DEP_4)
	v_add_co_ci_u32_e32 v2, vcc_lo, 0, v2, vcc_lo
	s_mov_b32 s5, -1
	s_clause 0x2
	global_store_b8 v7, v8, s[8:9] offset:14
	global_store_b16 v7, v6, s[8:9] offset:12
	global_store_b96 v7, v[3:5], s[8:9]
	s_cbranch_execz .LBB112_5
; %bb.2:
	s_and_saveexec_b32 s0, s5
	s_cbranch_execz .LBB112_24
.LBB112_3:
	v_mov_b32_e32 v0, s1
	global_store_b8 v[1:2], v0, off
	s_nop 0
	s_sendmsg sendmsg(MSG_DEALLOC_VGPRS)
	s_endpgm
.LBB112_4:
	s_mov_b32 s5, 0
                                        ; implicit-def: $vgpr1_vgpr2
.LBB112_5:
	s_mov_b32 s6, exec_lo
	v_cmpx_gt_i32_e64 s0, v0
	s_cbranch_execz .LBB112_25
; %bb.6:
	v_or_b32_e32 v1, 0x100, v0
	v_or_b32_e32 v2, s4, v0
	s_delay_alu instid0(VALU_DEP_2) | instskip(SKIP_2) | instid1(SALU_CYCLE_1)
	v_dual_mov_b32 v3, s1 :: v_dual_mov_b32 v0, v1
	global_store_b8 v2, v3, s[2:3]
	s_or_b32 exec_lo, exec_lo, s6
	s_mov_b32 s6, exec_lo
	v_cmpx_gt_i32_e64 s0, v0
	s_cbranch_execnz .LBB112_26
.LBB112_7:
	s_or_b32 exec_lo, exec_lo, s6
	s_delay_alu instid0(SALU_CYCLE_1)
	s_mov_b32 s6, exec_lo
	v_cmpx_gt_i32_e64 s0, v0
	s_cbranch_execz .LBB112_27
.LBB112_8:
	v_dual_mov_b32 v2, s1 :: v_dual_add_nc_u32 v1, s4, v0
	v_add_nc_u32_e32 v0, 0x100, v0
	global_store_b8 v1, v2, s[2:3]
	s_or_b32 exec_lo, exec_lo, s6
	s_delay_alu instid0(SALU_CYCLE_1)
	s_mov_b32 s6, exec_lo
	v_cmpx_gt_i32_e64 s0, v0
	s_cbranch_execnz .LBB112_28
.LBB112_9:
	s_or_b32 exec_lo, exec_lo, s6
	s_delay_alu instid0(SALU_CYCLE_1)
	s_mov_b32 s6, exec_lo
	v_cmpx_gt_i32_e64 s0, v0
	s_cbranch_execz .LBB112_29
.LBB112_10:
	v_dual_mov_b32 v2, s1 :: v_dual_add_nc_u32 v1, s4, v0
	v_add_nc_u32_e32 v0, 0x100, v0
	global_store_b8 v1, v2, s[2:3]
	s_or_b32 exec_lo, exec_lo, s6
	s_delay_alu instid0(SALU_CYCLE_1)
	s_mov_b32 s6, exec_lo
	v_cmpx_gt_i32_e64 s0, v0
	s_cbranch_execnz .LBB112_30
.LBB112_11:
	s_or_b32 exec_lo, exec_lo, s6
	s_delay_alu instid0(SALU_CYCLE_1)
	s_mov_b32 s6, exec_lo
	v_cmpx_gt_i32_e64 s0, v0
	s_cbranch_execz .LBB112_31
.LBB112_12:
	v_dual_mov_b32 v2, s1 :: v_dual_add_nc_u32 v1, s4, v0
	v_add_nc_u32_e32 v0, 0x100, v0
	global_store_b8 v1, v2, s[2:3]
	s_or_b32 exec_lo, exec_lo, s6
	s_delay_alu instid0(SALU_CYCLE_1)
	s_mov_b32 s6, exec_lo
	v_cmpx_gt_i32_e64 s0, v0
	s_cbranch_execnz .LBB112_32
.LBB112_13:
	s_or_b32 exec_lo, exec_lo, s6
	s_delay_alu instid0(SALU_CYCLE_1)
	s_mov_b32 s6, exec_lo
	v_cmpx_gt_i32_e64 s0, v0
	s_cbranch_execz .LBB112_33
.LBB112_14:
	v_dual_mov_b32 v2, s1 :: v_dual_add_nc_u32 v1, s4, v0
	v_add_nc_u32_e32 v0, 0x100, v0
	global_store_b8 v1, v2, s[2:3]
	s_or_b32 exec_lo, exec_lo, s6
	s_delay_alu instid0(SALU_CYCLE_1)
	s_mov_b32 s6, exec_lo
	v_cmpx_gt_i32_e64 s0, v0
	s_cbranch_execnz .LBB112_34
.LBB112_15:
	s_or_b32 exec_lo, exec_lo, s6
	s_delay_alu instid0(SALU_CYCLE_1)
	s_mov_b32 s6, exec_lo
	v_cmpx_gt_i32_e64 s0, v0
	s_cbranch_execz .LBB112_35
.LBB112_16:
	v_dual_mov_b32 v2, s1 :: v_dual_add_nc_u32 v1, s4, v0
	v_add_nc_u32_e32 v0, 0x100, v0
	global_store_b8 v1, v2, s[2:3]
	s_or_b32 exec_lo, exec_lo, s6
	s_delay_alu instid0(SALU_CYCLE_1)
	s_mov_b32 s6, exec_lo
	v_cmpx_gt_i32_e64 s0, v0
	s_cbranch_execnz .LBB112_36
.LBB112_17:
	s_or_b32 exec_lo, exec_lo, s6
	s_delay_alu instid0(SALU_CYCLE_1)
	s_mov_b32 s6, exec_lo
	v_cmpx_gt_i32_e64 s0, v0
	s_cbranch_execz .LBB112_37
.LBB112_18:
	v_dual_mov_b32 v2, s1 :: v_dual_add_nc_u32 v1, s4, v0
	v_add_nc_u32_e32 v0, 0x100, v0
	global_store_b8 v1, v2, s[2:3]
	s_or_b32 exec_lo, exec_lo, s6
	s_delay_alu instid0(SALU_CYCLE_1)
	s_mov_b32 s6, exec_lo
	v_cmpx_gt_i32_e64 s0, v0
	s_cbranch_execnz .LBB112_38
.LBB112_19:
	s_or_b32 exec_lo, exec_lo, s6
	s_delay_alu instid0(SALU_CYCLE_1)
	s_mov_b32 s6, exec_lo
	v_cmpx_gt_i32_e64 s0, v0
	s_cbranch_execz .LBB112_21
.LBB112_20:
	v_dual_mov_b32 v2, s1 :: v_dual_add_nc_u32 v1, s4, v0
	v_add_nc_u32_e32 v0, 0x100, v0
	global_store_b8 v1, v2, s[2:3]
.LBB112_21:
	s_or_b32 exec_lo, exec_lo, s6
	v_cmp_gt_i32_e32 vcc_lo, s0, v0
                                        ; implicit-def: $vgpr1_vgpr2
	s_and_saveexec_b32 s0, vcc_lo
; %bb.22:
	v_add_nc_u32_e32 v0, s4, v0
	s_or_b32 s5, s5, exec_lo
	s_delay_alu instid0(VALU_DEP_1) | instskip(NEXT) | instid1(VALU_DEP_1)
	v_add_co_u32 v1, s2, s2, v0
	v_add_co_ci_u32_e64 v2, null, s3, 0, s2
; %bb.23:
	s_or_b32 exec_lo, exec_lo, s0
	s_and_saveexec_b32 s0, s5
	s_cbranch_execnz .LBB112_3
.LBB112_24:
	s_nop 0
	s_sendmsg sendmsg(MSG_DEALLOC_VGPRS)
	s_endpgm
.LBB112_25:
	s_or_b32 exec_lo, exec_lo, s6
	s_delay_alu instid0(SALU_CYCLE_1)
	s_mov_b32 s6, exec_lo
	v_cmpx_gt_i32_e64 s0, v0
	s_cbranch_execz .LBB112_7
.LBB112_26:
	v_dual_mov_b32 v2, s1 :: v_dual_add_nc_u32 v1, s4, v0
	v_add_nc_u32_e32 v0, 0x100, v0
	global_store_b8 v1, v2, s[2:3]
	s_or_b32 exec_lo, exec_lo, s6
	s_delay_alu instid0(SALU_CYCLE_1)
	s_mov_b32 s6, exec_lo
	v_cmpx_gt_i32_e64 s0, v0
	s_cbranch_execnz .LBB112_8
.LBB112_27:
	s_or_b32 exec_lo, exec_lo, s6
	s_delay_alu instid0(SALU_CYCLE_1)
	s_mov_b32 s6, exec_lo
	v_cmpx_gt_i32_e64 s0, v0
	s_cbranch_execz .LBB112_9
.LBB112_28:
	v_dual_mov_b32 v2, s1 :: v_dual_add_nc_u32 v1, s4, v0
	v_add_nc_u32_e32 v0, 0x100, v0
	global_store_b8 v1, v2, s[2:3]
	s_or_b32 exec_lo, exec_lo, s6
	s_delay_alu instid0(SALU_CYCLE_1)
	s_mov_b32 s6, exec_lo
	v_cmpx_gt_i32_e64 s0, v0
	s_cbranch_execnz .LBB112_10
.LBB112_29:
	s_or_b32 exec_lo, exec_lo, s6
	s_delay_alu instid0(SALU_CYCLE_1)
	s_mov_b32 s6, exec_lo
	v_cmpx_gt_i32_e64 s0, v0
	s_cbranch_execz .LBB112_11
.LBB112_30:
	v_dual_mov_b32 v2, s1 :: v_dual_add_nc_u32 v1, s4, v0
	v_add_nc_u32_e32 v0, 0x100, v0
	global_store_b8 v1, v2, s[2:3]
	s_or_b32 exec_lo, exec_lo, s6
	s_delay_alu instid0(SALU_CYCLE_1)
	s_mov_b32 s6, exec_lo
	v_cmpx_gt_i32_e64 s0, v0
	s_cbranch_execnz .LBB112_12
.LBB112_31:
	s_or_b32 exec_lo, exec_lo, s6
	s_delay_alu instid0(SALU_CYCLE_1)
	s_mov_b32 s6, exec_lo
	v_cmpx_gt_i32_e64 s0, v0
	s_cbranch_execz .LBB112_13
.LBB112_32:
	v_dual_mov_b32 v2, s1 :: v_dual_add_nc_u32 v1, s4, v0
	v_add_nc_u32_e32 v0, 0x100, v0
	global_store_b8 v1, v2, s[2:3]
	s_or_b32 exec_lo, exec_lo, s6
	s_delay_alu instid0(SALU_CYCLE_1)
	s_mov_b32 s6, exec_lo
	v_cmpx_gt_i32_e64 s0, v0
	s_cbranch_execnz .LBB112_14
.LBB112_33:
	s_or_b32 exec_lo, exec_lo, s6
	s_delay_alu instid0(SALU_CYCLE_1)
	s_mov_b32 s6, exec_lo
	v_cmpx_gt_i32_e64 s0, v0
	s_cbranch_execz .LBB112_15
.LBB112_34:
	v_dual_mov_b32 v2, s1 :: v_dual_add_nc_u32 v1, s4, v0
	v_add_nc_u32_e32 v0, 0x100, v0
	global_store_b8 v1, v2, s[2:3]
	s_or_b32 exec_lo, exec_lo, s6
	s_delay_alu instid0(SALU_CYCLE_1)
	s_mov_b32 s6, exec_lo
	v_cmpx_gt_i32_e64 s0, v0
	s_cbranch_execnz .LBB112_16
.LBB112_35:
	s_or_b32 exec_lo, exec_lo, s6
	s_delay_alu instid0(SALU_CYCLE_1)
	s_mov_b32 s6, exec_lo
	v_cmpx_gt_i32_e64 s0, v0
	s_cbranch_execz .LBB112_17
.LBB112_36:
	v_dual_mov_b32 v2, s1 :: v_dual_add_nc_u32 v1, s4, v0
	v_add_nc_u32_e32 v0, 0x100, v0
	global_store_b8 v1, v2, s[2:3]
	s_or_b32 exec_lo, exec_lo, s6
	s_delay_alu instid0(SALU_CYCLE_1)
	s_mov_b32 s6, exec_lo
	v_cmpx_gt_i32_e64 s0, v0
	s_cbranch_execnz .LBB112_18
.LBB112_37:
	s_or_b32 exec_lo, exec_lo, s6
	s_delay_alu instid0(SALU_CYCLE_1)
	s_mov_b32 s6, exec_lo
	v_cmpx_gt_i32_e64 s0, v0
	s_cbranch_execz .LBB112_19
.LBB112_38:
	v_dual_mov_b32 v2, s1 :: v_dual_add_nc_u32 v1, s4, v0
	v_add_nc_u32_e32 v0, 0x100, v0
	global_store_b8 v1, v2, s[2:3]
	s_or_b32 exec_lo, exec_lo, s6
	s_delay_alu instid0(SALU_CYCLE_1)
	s_mov_b32 s6, exec_lo
	v_cmpx_gt_i32_e64 s0, v0
	s_cbranch_execz .LBB112_21
	s_branch .LBB112_20
	.section	.rodata,"a",@progbits
	.p2align	6, 0x0
	.amdhsa_kernel _ZN2at6native29vectorized_elementwise_kernelILi16ENS0_11FillFunctorIN3c1011Float8_e5m2EEESt5arrayIPcLm1EEEEviT0_T1_
		.amdhsa_group_segment_fixed_size 0
		.amdhsa_private_segment_fixed_size 0
		.amdhsa_kernarg_size 16
		.amdhsa_user_sgpr_count 15
		.amdhsa_user_sgpr_dispatch_ptr 0
		.amdhsa_user_sgpr_queue_ptr 0
		.amdhsa_user_sgpr_kernarg_segment_ptr 1
		.amdhsa_user_sgpr_dispatch_id 0
		.amdhsa_user_sgpr_private_segment_size 0
		.amdhsa_wavefront_size32 1
		.amdhsa_uses_dynamic_stack 0
		.amdhsa_enable_private_segment 0
		.amdhsa_system_sgpr_workgroup_id_x 1
		.amdhsa_system_sgpr_workgroup_id_y 0
		.amdhsa_system_sgpr_workgroup_id_z 0
		.amdhsa_system_sgpr_workgroup_info 0
		.amdhsa_system_vgpr_workitem_id 0
		.amdhsa_next_free_vgpr 9
		.amdhsa_next_free_sgpr 16
		.amdhsa_reserve_vcc 1
		.amdhsa_float_round_mode_32 0
		.amdhsa_float_round_mode_16_64 0
		.amdhsa_float_denorm_mode_32 3
		.amdhsa_float_denorm_mode_16_64 3
		.amdhsa_dx10_clamp 1
		.amdhsa_ieee_mode 1
		.amdhsa_fp16_overflow 0
		.amdhsa_workgroup_processor_mode 1
		.amdhsa_memory_ordered 1
		.amdhsa_forward_progress 0
		.amdhsa_shared_vgpr_count 0
		.amdhsa_exception_fp_ieee_invalid_op 0
		.amdhsa_exception_fp_denorm_src 0
		.amdhsa_exception_fp_ieee_div_zero 0
		.amdhsa_exception_fp_ieee_overflow 0
		.amdhsa_exception_fp_ieee_underflow 0
		.amdhsa_exception_fp_ieee_inexact 0
		.amdhsa_exception_int_div_zero 0
	.end_amdhsa_kernel
	.section	.text._ZN2at6native29vectorized_elementwise_kernelILi16ENS0_11FillFunctorIN3c1011Float8_e5m2EEESt5arrayIPcLm1EEEEviT0_T1_,"axG",@progbits,_ZN2at6native29vectorized_elementwise_kernelILi16ENS0_11FillFunctorIN3c1011Float8_e5m2EEESt5arrayIPcLm1EEEEviT0_T1_,comdat
.Lfunc_end112:
	.size	_ZN2at6native29vectorized_elementwise_kernelILi16ENS0_11FillFunctorIN3c1011Float8_e5m2EEESt5arrayIPcLm1EEEEviT0_T1_, .Lfunc_end112-_ZN2at6native29vectorized_elementwise_kernelILi16ENS0_11FillFunctorIN3c1011Float8_e5m2EEESt5arrayIPcLm1EEEEviT0_T1_
                                        ; -- End function
	.section	.AMDGPU.csdata,"",@progbits
; Kernel info:
; codeLenInByte = 1336
; NumSgprs: 18
; NumVgprs: 9
; ScratchSize: 0
; MemoryBound: 0
; FloatMode: 240
; IeeeMode: 1
; LDSByteSize: 0 bytes/workgroup (compile time only)
; SGPRBlocks: 2
; VGPRBlocks: 1
; NumSGPRsForWavesPerEU: 18
; NumVGPRsForWavesPerEU: 9
; Occupancy: 16
; WaveLimiterHint : 0
; COMPUTE_PGM_RSRC2:SCRATCH_EN: 0
; COMPUTE_PGM_RSRC2:USER_SGPR: 15
; COMPUTE_PGM_RSRC2:TRAP_HANDLER: 0
; COMPUTE_PGM_RSRC2:TGID_X_EN: 1
; COMPUTE_PGM_RSRC2:TGID_Y_EN: 0
; COMPUTE_PGM_RSRC2:TGID_Z_EN: 0
; COMPUTE_PGM_RSRC2:TIDIG_COMP_CNT: 0
	.section	.text._ZN2at6native29vectorized_elementwise_kernelILi8ENS0_11FillFunctorIN3c1011Float8_e5m2EEESt5arrayIPcLm1EEEEviT0_T1_,"axG",@progbits,_ZN2at6native29vectorized_elementwise_kernelILi8ENS0_11FillFunctorIN3c1011Float8_e5m2EEESt5arrayIPcLm1EEEEviT0_T1_,comdat
	.protected	_ZN2at6native29vectorized_elementwise_kernelILi8ENS0_11FillFunctorIN3c1011Float8_e5m2EEESt5arrayIPcLm1EEEEviT0_T1_ ; -- Begin function _ZN2at6native29vectorized_elementwise_kernelILi8ENS0_11FillFunctorIN3c1011Float8_e5m2EEESt5arrayIPcLm1EEEEviT0_T1_
	.globl	_ZN2at6native29vectorized_elementwise_kernelILi8ENS0_11FillFunctorIN3c1011Float8_e5m2EEESt5arrayIPcLm1EEEEviT0_T1_
	.p2align	8
	.type	_ZN2at6native29vectorized_elementwise_kernelILi8ENS0_11FillFunctorIN3c1011Float8_e5m2EEESt5arrayIPcLm1EEEEviT0_T1_,@function
_ZN2at6native29vectorized_elementwise_kernelILi8ENS0_11FillFunctorIN3c1011Float8_e5m2EEESt5arrayIPcLm1EEEEviT0_T1_: ; @_ZN2at6native29vectorized_elementwise_kernelILi8ENS0_11FillFunctorIN3c1011Float8_e5m2EEESt5arrayIPcLm1EEEEviT0_T1_
; %bb.0:
	s_load_b128 s[0:3], s[0:1], 0x0
	s_lshl_b32 s4, s15, 12
	s_mov_b32 s5, -1
	s_waitcnt lgkmcnt(0)
	s_sub_i32 s0, s0, s4
	s_delay_alu instid0(SALU_CYCLE_1)
	s_cmpk_gt_i32 s0, 0xfff
	s_cbranch_scc0 .LBB113_2
; %bb.1:
	s_ashr_i32 s5, s4, 31
	s_add_u32 s6, s2, s4
	s_addc_u32 s7, s3, s5
	s_and_b32 s5, s1, 0xff
	s_delay_alu instid0(SALU_CYCLE_1)
	s_mul_i32 s8, s5, 0x1010101
	s_mov_b32 s5, 0
	s_mov_b32 s9, s8
	v_mov_b32_e32 v1, s8
	v_dual_mov_b32 v2, s9 :: v_dual_lshlrev_b32 v3, 3, v0
	s_clause 0x1
	global_store_b64 v3, v[1:2], s[6:7]
	global_store_b64 v3, v[1:2], s[6:7] offset:2048
.LBB113_2:
	s_and_not1_b32 vcc_lo, exec_lo, s5
	s_cbranch_vccnz .LBB113_20
; %bb.3:
	s_mov_b32 s5, exec_lo
	v_cmpx_gt_i32_e64 s0, v0
	s_cbranch_execnz .LBB113_21
; %bb.4:
	s_or_b32 exec_lo, exec_lo, s5
	s_delay_alu instid0(SALU_CYCLE_1)
	s_mov_b32 s5, exec_lo
	v_cmpx_gt_i32_e64 s0, v0
	s_cbranch_execnz .LBB113_22
.LBB113_5:
	s_or_b32 exec_lo, exec_lo, s5
	s_delay_alu instid0(SALU_CYCLE_1)
	s_mov_b32 s5, exec_lo
	v_cmpx_gt_i32_e64 s0, v0
	s_cbranch_execnz .LBB113_23
.LBB113_6:
	s_or_b32 exec_lo, exec_lo, s5
	s_delay_alu instid0(SALU_CYCLE_1)
	s_mov_b32 s5, exec_lo
	v_cmpx_gt_i32_e64 s0, v0
	s_cbranch_execnz .LBB113_24
.LBB113_7:
	s_or_b32 exec_lo, exec_lo, s5
	s_delay_alu instid0(SALU_CYCLE_1)
	s_mov_b32 s5, exec_lo
	v_cmpx_gt_i32_e64 s0, v0
	s_cbranch_execnz .LBB113_25
.LBB113_8:
	s_or_b32 exec_lo, exec_lo, s5
	s_delay_alu instid0(SALU_CYCLE_1)
	s_mov_b32 s5, exec_lo
	v_cmpx_gt_i32_e64 s0, v0
	s_cbranch_execnz .LBB113_26
.LBB113_9:
	s_or_b32 exec_lo, exec_lo, s5
	s_delay_alu instid0(SALU_CYCLE_1)
	s_mov_b32 s5, exec_lo
	v_cmpx_gt_i32_e64 s0, v0
	s_cbranch_execnz .LBB113_27
.LBB113_10:
	s_or_b32 exec_lo, exec_lo, s5
	s_delay_alu instid0(SALU_CYCLE_1)
	s_mov_b32 s5, exec_lo
	v_cmpx_gt_i32_e64 s0, v0
	s_cbranch_execnz .LBB113_28
.LBB113_11:
	s_or_b32 exec_lo, exec_lo, s5
	s_delay_alu instid0(SALU_CYCLE_1)
	s_mov_b32 s5, exec_lo
	v_cmpx_gt_i32_e64 s0, v0
	s_cbranch_execnz .LBB113_29
.LBB113_12:
	s_or_b32 exec_lo, exec_lo, s5
	s_delay_alu instid0(SALU_CYCLE_1)
	s_mov_b32 s5, exec_lo
	v_cmpx_gt_i32_e64 s0, v0
	s_cbranch_execnz .LBB113_30
.LBB113_13:
	s_or_b32 exec_lo, exec_lo, s5
	s_delay_alu instid0(SALU_CYCLE_1)
	s_mov_b32 s5, exec_lo
	v_cmpx_gt_i32_e64 s0, v0
	s_cbranch_execnz .LBB113_31
.LBB113_14:
	s_or_b32 exec_lo, exec_lo, s5
	s_delay_alu instid0(SALU_CYCLE_1)
	s_mov_b32 s5, exec_lo
	v_cmpx_gt_i32_e64 s0, v0
	s_cbranch_execnz .LBB113_32
.LBB113_15:
	s_or_b32 exec_lo, exec_lo, s5
	s_delay_alu instid0(SALU_CYCLE_1)
	s_mov_b32 s5, exec_lo
	v_cmpx_gt_i32_e64 s0, v0
	s_cbranch_execnz .LBB113_33
.LBB113_16:
	s_or_b32 exec_lo, exec_lo, s5
	s_delay_alu instid0(SALU_CYCLE_1)
	s_mov_b32 s5, exec_lo
	v_cmpx_gt_i32_e64 s0, v0
	s_cbranch_execnz .LBB113_34
.LBB113_17:
	s_or_b32 exec_lo, exec_lo, s5
	s_delay_alu instid0(SALU_CYCLE_1)
	s_mov_b32 s5, exec_lo
	v_cmpx_gt_i32_e64 s0, v0
	s_cbranch_execnz .LBB113_35
.LBB113_18:
	s_or_b32 exec_lo, exec_lo, s5
	v_cmp_gt_i32_e32 vcc_lo, s0, v0
	s_and_saveexec_b32 s0, vcc_lo
	s_cbranch_execz .LBB113_20
.LBB113_19:
	v_dual_mov_b32 v1, s1 :: v_dual_add_nc_u32 v0, s4, v0
	global_store_b8 v0, v1, s[2:3]
.LBB113_20:
	s_nop 0
	s_sendmsg sendmsg(MSG_DEALLOC_VGPRS)
	s_endpgm
.LBB113_21:
	v_or_b32_e32 v1, 0x100, v0
	v_or_b32_e32 v2, s4, v0
	s_delay_alu instid0(VALU_DEP_2) | instskip(SKIP_2) | instid1(SALU_CYCLE_1)
	v_dual_mov_b32 v3, s1 :: v_dual_mov_b32 v0, v1
	global_store_b8 v2, v3, s[2:3]
	s_or_b32 exec_lo, exec_lo, s5
	s_mov_b32 s5, exec_lo
	v_cmpx_gt_i32_e64 s0, v0
	s_cbranch_execz .LBB113_5
.LBB113_22:
	v_dual_mov_b32 v2, s1 :: v_dual_add_nc_u32 v1, s4, v0
	v_add_nc_u32_e32 v0, 0x100, v0
	global_store_b8 v1, v2, s[2:3]
	s_or_b32 exec_lo, exec_lo, s5
	s_delay_alu instid0(SALU_CYCLE_1)
	s_mov_b32 s5, exec_lo
	v_cmpx_gt_i32_e64 s0, v0
	s_cbranch_execz .LBB113_6
.LBB113_23:
	v_dual_mov_b32 v2, s1 :: v_dual_add_nc_u32 v1, s4, v0
	v_add_nc_u32_e32 v0, 0x100, v0
	global_store_b8 v1, v2, s[2:3]
	s_or_b32 exec_lo, exec_lo, s5
	s_delay_alu instid0(SALU_CYCLE_1)
	s_mov_b32 s5, exec_lo
	v_cmpx_gt_i32_e64 s0, v0
	s_cbranch_execz .LBB113_7
.LBB113_24:
	v_dual_mov_b32 v2, s1 :: v_dual_add_nc_u32 v1, s4, v0
	v_add_nc_u32_e32 v0, 0x100, v0
	global_store_b8 v1, v2, s[2:3]
	s_or_b32 exec_lo, exec_lo, s5
	s_delay_alu instid0(SALU_CYCLE_1)
	s_mov_b32 s5, exec_lo
	v_cmpx_gt_i32_e64 s0, v0
	s_cbranch_execz .LBB113_8
.LBB113_25:
	v_dual_mov_b32 v2, s1 :: v_dual_add_nc_u32 v1, s4, v0
	v_add_nc_u32_e32 v0, 0x100, v0
	global_store_b8 v1, v2, s[2:3]
	s_or_b32 exec_lo, exec_lo, s5
	s_delay_alu instid0(SALU_CYCLE_1)
	s_mov_b32 s5, exec_lo
	v_cmpx_gt_i32_e64 s0, v0
	s_cbranch_execz .LBB113_9
.LBB113_26:
	v_dual_mov_b32 v2, s1 :: v_dual_add_nc_u32 v1, s4, v0
	v_add_nc_u32_e32 v0, 0x100, v0
	global_store_b8 v1, v2, s[2:3]
	s_or_b32 exec_lo, exec_lo, s5
	s_delay_alu instid0(SALU_CYCLE_1)
	s_mov_b32 s5, exec_lo
	v_cmpx_gt_i32_e64 s0, v0
	s_cbranch_execz .LBB113_10
.LBB113_27:
	v_dual_mov_b32 v2, s1 :: v_dual_add_nc_u32 v1, s4, v0
	v_add_nc_u32_e32 v0, 0x100, v0
	global_store_b8 v1, v2, s[2:3]
	s_or_b32 exec_lo, exec_lo, s5
	s_delay_alu instid0(SALU_CYCLE_1)
	s_mov_b32 s5, exec_lo
	v_cmpx_gt_i32_e64 s0, v0
	s_cbranch_execz .LBB113_11
.LBB113_28:
	v_dual_mov_b32 v2, s1 :: v_dual_add_nc_u32 v1, s4, v0
	v_add_nc_u32_e32 v0, 0x100, v0
	global_store_b8 v1, v2, s[2:3]
	s_or_b32 exec_lo, exec_lo, s5
	s_delay_alu instid0(SALU_CYCLE_1)
	s_mov_b32 s5, exec_lo
	v_cmpx_gt_i32_e64 s0, v0
	s_cbranch_execz .LBB113_12
.LBB113_29:
	v_dual_mov_b32 v2, s1 :: v_dual_add_nc_u32 v1, s4, v0
	v_add_nc_u32_e32 v0, 0x100, v0
	global_store_b8 v1, v2, s[2:3]
	s_or_b32 exec_lo, exec_lo, s5
	s_delay_alu instid0(SALU_CYCLE_1)
	s_mov_b32 s5, exec_lo
	v_cmpx_gt_i32_e64 s0, v0
	s_cbranch_execz .LBB113_13
.LBB113_30:
	v_dual_mov_b32 v2, s1 :: v_dual_add_nc_u32 v1, s4, v0
	v_add_nc_u32_e32 v0, 0x100, v0
	global_store_b8 v1, v2, s[2:3]
	s_or_b32 exec_lo, exec_lo, s5
	s_delay_alu instid0(SALU_CYCLE_1)
	s_mov_b32 s5, exec_lo
	v_cmpx_gt_i32_e64 s0, v0
	s_cbranch_execz .LBB113_14
.LBB113_31:
	v_dual_mov_b32 v2, s1 :: v_dual_add_nc_u32 v1, s4, v0
	v_add_nc_u32_e32 v0, 0x100, v0
	global_store_b8 v1, v2, s[2:3]
	s_or_b32 exec_lo, exec_lo, s5
	s_delay_alu instid0(SALU_CYCLE_1)
	s_mov_b32 s5, exec_lo
	v_cmpx_gt_i32_e64 s0, v0
	s_cbranch_execz .LBB113_15
.LBB113_32:
	v_dual_mov_b32 v2, s1 :: v_dual_add_nc_u32 v1, s4, v0
	v_add_nc_u32_e32 v0, 0x100, v0
	global_store_b8 v1, v2, s[2:3]
	s_or_b32 exec_lo, exec_lo, s5
	s_delay_alu instid0(SALU_CYCLE_1)
	s_mov_b32 s5, exec_lo
	v_cmpx_gt_i32_e64 s0, v0
	s_cbranch_execz .LBB113_16
.LBB113_33:
	v_dual_mov_b32 v2, s1 :: v_dual_add_nc_u32 v1, s4, v0
	v_add_nc_u32_e32 v0, 0x100, v0
	global_store_b8 v1, v2, s[2:3]
	s_or_b32 exec_lo, exec_lo, s5
	s_delay_alu instid0(SALU_CYCLE_1)
	s_mov_b32 s5, exec_lo
	v_cmpx_gt_i32_e64 s0, v0
	s_cbranch_execz .LBB113_17
.LBB113_34:
	v_dual_mov_b32 v2, s1 :: v_dual_add_nc_u32 v1, s4, v0
	v_add_nc_u32_e32 v0, 0x100, v0
	global_store_b8 v1, v2, s[2:3]
	s_or_b32 exec_lo, exec_lo, s5
	s_delay_alu instid0(SALU_CYCLE_1)
	s_mov_b32 s5, exec_lo
	v_cmpx_gt_i32_e64 s0, v0
	s_cbranch_execz .LBB113_18
.LBB113_35:
	v_dual_mov_b32 v2, s1 :: v_dual_add_nc_u32 v1, s4, v0
	v_add_nc_u32_e32 v0, 0x100, v0
	global_store_b8 v1, v2, s[2:3]
	s_or_b32 exec_lo, exec_lo, s5
	v_cmp_gt_i32_e32 vcc_lo, s0, v0
	s_and_saveexec_b32 s0, vcc_lo
	s_cbranch_execnz .LBB113_19
	s_branch .LBB113_20
	.section	.rodata,"a",@progbits
	.p2align	6, 0x0
	.amdhsa_kernel _ZN2at6native29vectorized_elementwise_kernelILi8ENS0_11FillFunctorIN3c1011Float8_e5m2EEESt5arrayIPcLm1EEEEviT0_T1_
		.amdhsa_group_segment_fixed_size 0
		.amdhsa_private_segment_fixed_size 0
		.amdhsa_kernarg_size 16
		.amdhsa_user_sgpr_count 15
		.amdhsa_user_sgpr_dispatch_ptr 0
		.amdhsa_user_sgpr_queue_ptr 0
		.amdhsa_user_sgpr_kernarg_segment_ptr 1
		.amdhsa_user_sgpr_dispatch_id 0
		.amdhsa_user_sgpr_private_segment_size 0
		.amdhsa_wavefront_size32 1
		.amdhsa_uses_dynamic_stack 0
		.amdhsa_enable_private_segment 0
		.amdhsa_system_sgpr_workgroup_id_x 1
		.amdhsa_system_sgpr_workgroup_id_y 0
		.amdhsa_system_sgpr_workgroup_id_z 0
		.amdhsa_system_sgpr_workgroup_info 0
		.amdhsa_system_vgpr_workitem_id 0
		.amdhsa_next_free_vgpr 4
		.amdhsa_next_free_sgpr 16
		.amdhsa_reserve_vcc 1
		.amdhsa_float_round_mode_32 0
		.amdhsa_float_round_mode_16_64 0
		.amdhsa_float_denorm_mode_32 3
		.amdhsa_float_denorm_mode_16_64 3
		.amdhsa_dx10_clamp 1
		.amdhsa_ieee_mode 1
		.amdhsa_fp16_overflow 0
		.amdhsa_workgroup_processor_mode 1
		.amdhsa_memory_ordered 1
		.amdhsa_forward_progress 0
		.amdhsa_shared_vgpr_count 0
		.amdhsa_exception_fp_ieee_invalid_op 0
		.amdhsa_exception_fp_denorm_src 0
		.amdhsa_exception_fp_ieee_div_zero 0
		.amdhsa_exception_fp_ieee_overflow 0
		.amdhsa_exception_fp_ieee_underflow 0
		.amdhsa_exception_fp_ieee_inexact 0
		.amdhsa_exception_int_div_zero 0
	.end_amdhsa_kernel
	.section	.text._ZN2at6native29vectorized_elementwise_kernelILi8ENS0_11FillFunctorIN3c1011Float8_e5m2EEESt5arrayIPcLm1EEEEviT0_T1_,"axG",@progbits,_ZN2at6native29vectorized_elementwise_kernelILi8ENS0_11FillFunctorIN3c1011Float8_e5m2EEESt5arrayIPcLm1EEEEviT0_T1_,comdat
.Lfunc_end113:
	.size	_ZN2at6native29vectorized_elementwise_kernelILi8ENS0_11FillFunctorIN3c1011Float8_e5m2EEESt5arrayIPcLm1EEEEviT0_T1_, .Lfunc_end113-_ZN2at6native29vectorized_elementwise_kernelILi8ENS0_11FillFunctorIN3c1011Float8_e5m2EEESt5arrayIPcLm1EEEEviT0_T1_
                                        ; -- End function
	.section	.AMDGPU.csdata,"",@progbits
; Kernel info:
; codeLenInByte = 1232
; NumSgprs: 18
; NumVgprs: 4
; ScratchSize: 0
; MemoryBound: 0
; FloatMode: 240
; IeeeMode: 1
; LDSByteSize: 0 bytes/workgroup (compile time only)
; SGPRBlocks: 2
; VGPRBlocks: 0
; NumSGPRsForWavesPerEU: 18
; NumVGPRsForWavesPerEU: 4
; Occupancy: 16
; WaveLimiterHint : 1
; COMPUTE_PGM_RSRC2:SCRATCH_EN: 0
; COMPUTE_PGM_RSRC2:USER_SGPR: 15
; COMPUTE_PGM_RSRC2:TRAP_HANDLER: 0
; COMPUTE_PGM_RSRC2:TGID_X_EN: 1
; COMPUTE_PGM_RSRC2:TGID_Y_EN: 0
; COMPUTE_PGM_RSRC2:TGID_Z_EN: 0
; COMPUTE_PGM_RSRC2:TIDIG_COMP_CNT: 0
	.section	.text._ZN2at6native29vectorized_elementwise_kernelILi4ENS0_11FillFunctorIN3c1011Float8_e5m2EEESt5arrayIPcLm1EEEEviT0_T1_,"axG",@progbits,_ZN2at6native29vectorized_elementwise_kernelILi4ENS0_11FillFunctorIN3c1011Float8_e5m2EEESt5arrayIPcLm1EEEEviT0_T1_,comdat
	.protected	_ZN2at6native29vectorized_elementwise_kernelILi4ENS0_11FillFunctorIN3c1011Float8_e5m2EEESt5arrayIPcLm1EEEEviT0_T1_ ; -- Begin function _ZN2at6native29vectorized_elementwise_kernelILi4ENS0_11FillFunctorIN3c1011Float8_e5m2EEESt5arrayIPcLm1EEEEviT0_T1_
	.globl	_ZN2at6native29vectorized_elementwise_kernelILi4ENS0_11FillFunctorIN3c1011Float8_e5m2EEESt5arrayIPcLm1EEEEviT0_T1_
	.p2align	8
	.type	_ZN2at6native29vectorized_elementwise_kernelILi4ENS0_11FillFunctorIN3c1011Float8_e5m2EEESt5arrayIPcLm1EEEEviT0_T1_,@function
_ZN2at6native29vectorized_elementwise_kernelILi4ENS0_11FillFunctorIN3c1011Float8_e5m2EEESt5arrayIPcLm1EEEEviT0_T1_: ; @_ZN2at6native29vectorized_elementwise_kernelILi4ENS0_11FillFunctorIN3c1011Float8_e5m2EEESt5arrayIPcLm1EEEEviT0_T1_
; %bb.0:
	s_load_b128 s[0:3], s[0:1], 0x0
	s_lshl_b32 s4, s15, 12
	s_mov_b32 s5, -1
	s_waitcnt lgkmcnt(0)
	s_sub_i32 s0, s0, s4
	s_delay_alu instid0(SALU_CYCLE_1)
	s_cmpk_gt_i32 s0, 0xfff
	s_cbranch_scc0 .LBB114_2
; %bb.1:
	s_ashr_i32 s5, s4, 31
	s_add_u32 s6, s2, s4
	s_addc_u32 s7, s3, s5
	s_and_b32 s5, s1, 0xff
	s_delay_alu instid0(SALU_CYCLE_1) | instskip(NEXT) | instid1(SALU_CYCLE_1)
	s_mul_i32 s5, s5, 0x1010101
	v_dual_mov_b32 v2, s5 :: v_dual_lshlrev_b32 v1, 2, v0
	s_mov_b32 s5, 0
	s_clause 0x3
	global_store_b32 v1, v2, s[6:7]
	global_store_b32 v1, v2, s[6:7] offset:1024
	global_store_b32 v1, v2, s[6:7] offset:2048
	;; [unrolled: 1-line block ×3, first 2 shown]
.LBB114_2:
	s_and_not1_b32 vcc_lo, exec_lo, s5
	s_cbranch_vccnz .LBB114_20
; %bb.3:
	s_mov_b32 s5, exec_lo
	v_cmpx_gt_i32_e64 s0, v0
	s_cbranch_execnz .LBB114_21
; %bb.4:
	s_or_b32 exec_lo, exec_lo, s5
	s_delay_alu instid0(SALU_CYCLE_1)
	s_mov_b32 s5, exec_lo
	v_cmpx_gt_i32_e64 s0, v0
	s_cbranch_execnz .LBB114_22
.LBB114_5:
	s_or_b32 exec_lo, exec_lo, s5
	s_delay_alu instid0(SALU_CYCLE_1)
	s_mov_b32 s5, exec_lo
	v_cmpx_gt_i32_e64 s0, v0
	s_cbranch_execnz .LBB114_23
.LBB114_6:
	s_or_b32 exec_lo, exec_lo, s5
	s_delay_alu instid0(SALU_CYCLE_1)
	s_mov_b32 s5, exec_lo
	v_cmpx_gt_i32_e64 s0, v0
	s_cbranch_execnz .LBB114_24
.LBB114_7:
	s_or_b32 exec_lo, exec_lo, s5
	s_delay_alu instid0(SALU_CYCLE_1)
	s_mov_b32 s5, exec_lo
	v_cmpx_gt_i32_e64 s0, v0
	s_cbranch_execnz .LBB114_25
.LBB114_8:
	s_or_b32 exec_lo, exec_lo, s5
	s_delay_alu instid0(SALU_CYCLE_1)
	s_mov_b32 s5, exec_lo
	v_cmpx_gt_i32_e64 s0, v0
	s_cbranch_execnz .LBB114_26
.LBB114_9:
	s_or_b32 exec_lo, exec_lo, s5
	s_delay_alu instid0(SALU_CYCLE_1)
	s_mov_b32 s5, exec_lo
	v_cmpx_gt_i32_e64 s0, v0
	s_cbranch_execnz .LBB114_27
.LBB114_10:
	s_or_b32 exec_lo, exec_lo, s5
	s_delay_alu instid0(SALU_CYCLE_1)
	s_mov_b32 s5, exec_lo
	v_cmpx_gt_i32_e64 s0, v0
	s_cbranch_execnz .LBB114_28
.LBB114_11:
	s_or_b32 exec_lo, exec_lo, s5
	s_delay_alu instid0(SALU_CYCLE_1)
	s_mov_b32 s5, exec_lo
	v_cmpx_gt_i32_e64 s0, v0
	s_cbranch_execnz .LBB114_29
.LBB114_12:
	s_or_b32 exec_lo, exec_lo, s5
	s_delay_alu instid0(SALU_CYCLE_1)
	s_mov_b32 s5, exec_lo
	v_cmpx_gt_i32_e64 s0, v0
	s_cbranch_execnz .LBB114_30
.LBB114_13:
	s_or_b32 exec_lo, exec_lo, s5
	s_delay_alu instid0(SALU_CYCLE_1)
	s_mov_b32 s5, exec_lo
	v_cmpx_gt_i32_e64 s0, v0
	s_cbranch_execnz .LBB114_31
.LBB114_14:
	s_or_b32 exec_lo, exec_lo, s5
	s_delay_alu instid0(SALU_CYCLE_1)
	s_mov_b32 s5, exec_lo
	v_cmpx_gt_i32_e64 s0, v0
	s_cbranch_execnz .LBB114_32
.LBB114_15:
	s_or_b32 exec_lo, exec_lo, s5
	s_delay_alu instid0(SALU_CYCLE_1)
	s_mov_b32 s5, exec_lo
	v_cmpx_gt_i32_e64 s0, v0
	s_cbranch_execnz .LBB114_33
.LBB114_16:
	s_or_b32 exec_lo, exec_lo, s5
	s_delay_alu instid0(SALU_CYCLE_1)
	s_mov_b32 s5, exec_lo
	v_cmpx_gt_i32_e64 s0, v0
	s_cbranch_execnz .LBB114_34
.LBB114_17:
	s_or_b32 exec_lo, exec_lo, s5
	s_delay_alu instid0(SALU_CYCLE_1)
	s_mov_b32 s5, exec_lo
	v_cmpx_gt_i32_e64 s0, v0
	s_cbranch_execnz .LBB114_35
.LBB114_18:
	s_or_b32 exec_lo, exec_lo, s5
	v_cmp_gt_i32_e32 vcc_lo, s0, v0
	s_and_saveexec_b32 s0, vcc_lo
	s_cbranch_execz .LBB114_20
.LBB114_19:
	v_dual_mov_b32 v1, s1 :: v_dual_add_nc_u32 v0, s4, v0
	global_store_b8 v0, v1, s[2:3]
.LBB114_20:
	s_nop 0
	s_sendmsg sendmsg(MSG_DEALLOC_VGPRS)
	s_endpgm
.LBB114_21:
	v_or_b32_e32 v1, 0x100, v0
	v_or_b32_e32 v2, s4, v0
	s_delay_alu instid0(VALU_DEP_2) | instskip(SKIP_2) | instid1(SALU_CYCLE_1)
	v_dual_mov_b32 v3, s1 :: v_dual_mov_b32 v0, v1
	global_store_b8 v2, v3, s[2:3]
	s_or_b32 exec_lo, exec_lo, s5
	s_mov_b32 s5, exec_lo
	v_cmpx_gt_i32_e64 s0, v0
	s_cbranch_execz .LBB114_5
.LBB114_22:
	v_dual_mov_b32 v2, s1 :: v_dual_add_nc_u32 v1, s4, v0
	v_add_nc_u32_e32 v0, 0x100, v0
	global_store_b8 v1, v2, s[2:3]
	s_or_b32 exec_lo, exec_lo, s5
	s_delay_alu instid0(SALU_CYCLE_1)
	s_mov_b32 s5, exec_lo
	v_cmpx_gt_i32_e64 s0, v0
	s_cbranch_execz .LBB114_6
.LBB114_23:
	v_dual_mov_b32 v2, s1 :: v_dual_add_nc_u32 v1, s4, v0
	v_add_nc_u32_e32 v0, 0x100, v0
	global_store_b8 v1, v2, s[2:3]
	s_or_b32 exec_lo, exec_lo, s5
	s_delay_alu instid0(SALU_CYCLE_1)
	s_mov_b32 s5, exec_lo
	v_cmpx_gt_i32_e64 s0, v0
	s_cbranch_execz .LBB114_7
.LBB114_24:
	v_dual_mov_b32 v2, s1 :: v_dual_add_nc_u32 v1, s4, v0
	v_add_nc_u32_e32 v0, 0x100, v0
	global_store_b8 v1, v2, s[2:3]
	s_or_b32 exec_lo, exec_lo, s5
	s_delay_alu instid0(SALU_CYCLE_1)
	s_mov_b32 s5, exec_lo
	v_cmpx_gt_i32_e64 s0, v0
	s_cbranch_execz .LBB114_8
.LBB114_25:
	v_dual_mov_b32 v2, s1 :: v_dual_add_nc_u32 v1, s4, v0
	v_add_nc_u32_e32 v0, 0x100, v0
	global_store_b8 v1, v2, s[2:3]
	s_or_b32 exec_lo, exec_lo, s5
	s_delay_alu instid0(SALU_CYCLE_1)
	s_mov_b32 s5, exec_lo
	v_cmpx_gt_i32_e64 s0, v0
	s_cbranch_execz .LBB114_9
.LBB114_26:
	v_dual_mov_b32 v2, s1 :: v_dual_add_nc_u32 v1, s4, v0
	v_add_nc_u32_e32 v0, 0x100, v0
	global_store_b8 v1, v2, s[2:3]
	s_or_b32 exec_lo, exec_lo, s5
	s_delay_alu instid0(SALU_CYCLE_1)
	s_mov_b32 s5, exec_lo
	v_cmpx_gt_i32_e64 s0, v0
	s_cbranch_execz .LBB114_10
.LBB114_27:
	v_dual_mov_b32 v2, s1 :: v_dual_add_nc_u32 v1, s4, v0
	v_add_nc_u32_e32 v0, 0x100, v0
	global_store_b8 v1, v2, s[2:3]
	s_or_b32 exec_lo, exec_lo, s5
	s_delay_alu instid0(SALU_CYCLE_1)
	s_mov_b32 s5, exec_lo
	v_cmpx_gt_i32_e64 s0, v0
	s_cbranch_execz .LBB114_11
.LBB114_28:
	v_dual_mov_b32 v2, s1 :: v_dual_add_nc_u32 v1, s4, v0
	v_add_nc_u32_e32 v0, 0x100, v0
	global_store_b8 v1, v2, s[2:3]
	s_or_b32 exec_lo, exec_lo, s5
	s_delay_alu instid0(SALU_CYCLE_1)
	s_mov_b32 s5, exec_lo
	v_cmpx_gt_i32_e64 s0, v0
	s_cbranch_execz .LBB114_12
.LBB114_29:
	v_dual_mov_b32 v2, s1 :: v_dual_add_nc_u32 v1, s4, v0
	v_add_nc_u32_e32 v0, 0x100, v0
	global_store_b8 v1, v2, s[2:3]
	s_or_b32 exec_lo, exec_lo, s5
	s_delay_alu instid0(SALU_CYCLE_1)
	s_mov_b32 s5, exec_lo
	v_cmpx_gt_i32_e64 s0, v0
	s_cbranch_execz .LBB114_13
.LBB114_30:
	v_dual_mov_b32 v2, s1 :: v_dual_add_nc_u32 v1, s4, v0
	v_add_nc_u32_e32 v0, 0x100, v0
	global_store_b8 v1, v2, s[2:3]
	s_or_b32 exec_lo, exec_lo, s5
	s_delay_alu instid0(SALU_CYCLE_1)
	s_mov_b32 s5, exec_lo
	v_cmpx_gt_i32_e64 s0, v0
	s_cbranch_execz .LBB114_14
.LBB114_31:
	v_dual_mov_b32 v2, s1 :: v_dual_add_nc_u32 v1, s4, v0
	v_add_nc_u32_e32 v0, 0x100, v0
	global_store_b8 v1, v2, s[2:3]
	s_or_b32 exec_lo, exec_lo, s5
	s_delay_alu instid0(SALU_CYCLE_1)
	s_mov_b32 s5, exec_lo
	v_cmpx_gt_i32_e64 s0, v0
	s_cbranch_execz .LBB114_15
.LBB114_32:
	v_dual_mov_b32 v2, s1 :: v_dual_add_nc_u32 v1, s4, v0
	v_add_nc_u32_e32 v0, 0x100, v0
	global_store_b8 v1, v2, s[2:3]
	s_or_b32 exec_lo, exec_lo, s5
	s_delay_alu instid0(SALU_CYCLE_1)
	s_mov_b32 s5, exec_lo
	v_cmpx_gt_i32_e64 s0, v0
	s_cbranch_execz .LBB114_16
.LBB114_33:
	v_dual_mov_b32 v2, s1 :: v_dual_add_nc_u32 v1, s4, v0
	v_add_nc_u32_e32 v0, 0x100, v0
	global_store_b8 v1, v2, s[2:3]
	s_or_b32 exec_lo, exec_lo, s5
	s_delay_alu instid0(SALU_CYCLE_1)
	s_mov_b32 s5, exec_lo
	v_cmpx_gt_i32_e64 s0, v0
	s_cbranch_execz .LBB114_17
.LBB114_34:
	v_dual_mov_b32 v2, s1 :: v_dual_add_nc_u32 v1, s4, v0
	v_add_nc_u32_e32 v0, 0x100, v0
	global_store_b8 v1, v2, s[2:3]
	s_or_b32 exec_lo, exec_lo, s5
	s_delay_alu instid0(SALU_CYCLE_1)
	s_mov_b32 s5, exec_lo
	v_cmpx_gt_i32_e64 s0, v0
	s_cbranch_execz .LBB114_18
.LBB114_35:
	v_dual_mov_b32 v2, s1 :: v_dual_add_nc_u32 v1, s4, v0
	v_add_nc_u32_e32 v0, 0x100, v0
	global_store_b8 v1, v2, s[2:3]
	s_or_b32 exec_lo, exec_lo, s5
	v_cmp_gt_i32_e32 vcc_lo, s0, v0
	s_and_saveexec_b32 s0, vcc_lo
	s_cbranch_execnz .LBB114_19
	s_branch .LBB114_20
	.section	.rodata,"a",@progbits
	.p2align	6, 0x0
	.amdhsa_kernel _ZN2at6native29vectorized_elementwise_kernelILi4ENS0_11FillFunctorIN3c1011Float8_e5m2EEESt5arrayIPcLm1EEEEviT0_T1_
		.amdhsa_group_segment_fixed_size 0
		.amdhsa_private_segment_fixed_size 0
		.amdhsa_kernarg_size 16
		.amdhsa_user_sgpr_count 15
		.amdhsa_user_sgpr_dispatch_ptr 0
		.amdhsa_user_sgpr_queue_ptr 0
		.amdhsa_user_sgpr_kernarg_segment_ptr 1
		.amdhsa_user_sgpr_dispatch_id 0
		.amdhsa_user_sgpr_private_segment_size 0
		.amdhsa_wavefront_size32 1
		.amdhsa_uses_dynamic_stack 0
		.amdhsa_enable_private_segment 0
		.amdhsa_system_sgpr_workgroup_id_x 1
		.amdhsa_system_sgpr_workgroup_id_y 0
		.amdhsa_system_sgpr_workgroup_id_z 0
		.amdhsa_system_sgpr_workgroup_info 0
		.amdhsa_system_vgpr_workitem_id 0
		.amdhsa_next_free_vgpr 4
		.amdhsa_next_free_sgpr 16
		.amdhsa_reserve_vcc 1
		.amdhsa_float_round_mode_32 0
		.amdhsa_float_round_mode_16_64 0
		.amdhsa_float_denorm_mode_32 3
		.amdhsa_float_denorm_mode_16_64 3
		.amdhsa_dx10_clamp 1
		.amdhsa_ieee_mode 1
		.amdhsa_fp16_overflow 0
		.amdhsa_workgroup_processor_mode 1
		.amdhsa_memory_ordered 1
		.amdhsa_forward_progress 0
		.amdhsa_shared_vgpr_count 0
		.amdhsa_exception_fp_ieee_invalid_op 0
		.amdhsa_exception_fp_denorm_src 0
		.amdhsa_exception_fp_ieee_div_zero 0
		.amdhsa_exception_fp_ieee_overflow 0
		.amdhsa_exception_fp_ieee_underflow 0
		.amdhsa_exception_fp_ieee_inexact 0
		.amdhsa_exception_int_div_zero 0
	.end_amdhsa_kernel
	.section	.text._ZN2at6native29vectorized_elementwise_kernelILi4ENS0_11FillFunctorIN3c1011Float8_e5m2EEESt5arrayIPcLm1EEEEviT0_T1_,"axG",@progbits,_ZN2at6native29vectorized_elementwise_kernelILi4ENS0_11FillFunctorIN3c1011Float8_e5m2EEESt5arrayIPcLm1EEEEviT0_T1_,comdat
.Lfunc_end114:
	.size	_ZN2at6native29vectorized_elementwise_kernelILi4ENS0_11FillFunctorIN3c1011Float8_e5m2EEESt5arrayIPcLm1EEEEviT0_T1_, .Lfunc_end114-_ZN2at6native29vectorized_elementwise_kernelILi4ENS0_11FillFunctorIN3c1011Float8_e5m2EEESt5arrayIPcLm1EEEEviT0_T1_
                                        ; -- End function
	.section	.AMDGPU.csdata,"",@progbits
; Kernel info:
; codeLenInByte = 1240
; NumSgprs: 18
; NumVgprs: 4
; ScratchSize: 0
; MemoryBound: 0
; FloatMode: 240
; IeeeMode: 1
; LDSByteSize: 0 bytes/workgroup (compile time only)
; SGPRBlocks: 2
; VGPRBlocks: 0
; NumSGPRsForWavesPerEU: 18
; NumVGPRsForWavesPerEU: 4
; Occupancy: 16
; WaveLimiterHint : 1
; COMPUTE_PGM_RSRC2:SCRATCH_EN: 0
; COMPUTE_PGM_RSRC2:USER_SGPR: 15
; COMPUTE_PGM_RSRC2:TRAP_HANDLER: 0
; COMPUTE_PGM_RSRC2:TGID_X_EN: 1
; COMPUTE_PGM_RSRC2:TGID_Y_EN: 0
; COMPUTE_PGM_RSRC2:TGID_Z_EN: 0
; COMPUTE_PGM_RSRC2:TIDIG_COMP_CNT: 0
	.section	.text._ZN2at6native29vectorized_elementwise_kernelILi2ENS0_11FillFunctorIN3c1011Float8_e5m2EEESt5arrayIPcLm1EEEEviT0_T1_,"axG",@progbits,_ZN2at6native29vectorized_elementwise_kernelILi2ENS0_11FillFunctorIN3c1011Float8_e5m2EEESt5arrayIPcLm1EEEEviT0_T1_,comdat
	.protected	_ZN2at6native29vectorized_elementwise_kernelILi2ENS0_11FillFunctorIN3c1011Float8_e5m2EEESt5arrayIPcLm1EEEEviT0_T1_ ; -- Begin function _ZN2at6native29vectorized_elementwise_kernelILi2ENS0_11FillFunctorIN3c1011Float8_e5m2EEESt5arrayIPcLm1EEEEviT0_T1_
	.globl	_ZN2at6native29vectorized_elementwise_kernelILi2ENS0_11FillFunctorIN3c1011Float8_e5m2EEESt5arrayIPcLm1EEEEviT0_T1_
	.p2align	8
	.type	_ZN2at6native29vectorized_elementwise_kernelILi2ENS0_11FillFunctorIN3c1011Float8_e5m2EEESt5arrayIPcLm1EEEEviT0_T1_,@function
_ZN2at6native29vectorized_elementwise_kernelILi2ENS0_11FillFunctorIN3c1011Float8_e5m2EEESt5arrayIPcLm1EEEEviT0_T1_: ; @_ZN2at6native29vectorized_elementwise_kernelILi2ENS0_11FillFunctorIN3c1011Float8_e5m2EEESt5arrayIPcLm1EEEEviT0_T1_
; %bb.0:
	s_load_b128 s[0:3], s[0:1], 0x0
	s_lshl_b32 s4, s15, 12
	s_mov_b32 s5, -1
	s_waitcnt lgkmcnt(0)
	s_sub_i32 s0, s0, s4
	s_delay_alu instid0(SALU_CYCLE_1)
	s_cmpk_gt_i32 s0, 0xfff
	s_cbranch_scc0 .LBB115_2
; %bb.1:
	v_and_b32_e64 v1, 0xff, s1
	v_lshlrev_b32_e32 v2, 1, v0
	s_ashr_i32 s5, s4, 31
	s_add_u32 s6, s2, s4
	s_addc_u32 s7, s3, s5
	v_mul_lo_u16 v1, 0x101, v1
	s_mov_b32 s5, 0
	s_clause 0x7
	global_store_b16 v2, v1, s[6:7]
	global_store_b16 v2, v1, s[6:7] offset:512
	global_store_b16 v2, v1, s[6:7] offset:1024
	;; [unrolled: 1-line block ×7, first 2 shown]
.LBB115_2:
	s_and_not1_b32 vcc_lo, exec_lo, s5
	s_cbranch_vccnz .LBB115_20
; %bb.3:
	s_mov_b32 s5, exec_lo
	v_cmpx_gt_i32_e64 s0, v0
	s_cbranch_execnz .LBB115_21
; %bb.4:
	s_or_b32 exec_lo, exec_lo, s5
	s_delay_alu instid0(SALU_CYCLE_1)
	s_mov_b32 s5, exec_lo
	v_cmpx_gt_i32_e64 s0, v0
	s_cbranch_execnz .LBB115_22
.LBB115_5:
	s_or_b32 exec_lo, exec_lo, s5
	s_delay_alu instid0(SALU_CYCLE_1)
	s_mov_b32 s5, exec_lo
	v_cmpx_gt_i32_e64 s0, v0
	s_cbranch_execnz .LBB115_23
.LBB115_6:
	s_or_b32 exec_lo, exec_lo, s5
	s_delay_alu instid0(SALU_CYCLE_1)
	s_mov_b32 s5, exec_lo
	v_cmpx_gt_i32_e64 s0, v0
	s_cbranch_execnz .LBB115_24
.LBB115_7:
	s_or_b32 exec_lo, exec_lo, s5
	s_delay_alu instid0(SALU_CYCLE_1)
	s_mov_b32 s5, exec_lo
	v_cmpx_gt_i32_e64 s0, v0
	s_cbranch_execnz .LBB115_25
.LBB115_8:
	s_or_b32 exec_lo, exec_lo, s5
	s_delay_alu instid0(SALU_CYCLE_1)
	s_mov_b32 s5, exec_lo
	v_cmpx_gt_i32_e64 s0, v0
	s_cbranch_execnz .LBB115_26
.LBB115_9:
	s_or_b32 exec_lo, exec_lo, s5
	s_delay_alu instid0(SALU_CYCLE_1)
	s_mov_b32 s5, exec_lo
	v_cmpx_gt_i32_e64 s0, v0
	s_cbranch_execnz .LBB115_27
.LBB115_10:
	s_or_b32 exec_lo, exec_lo, s5
	s_delay_alu instid0(SALU_CYCLE_1)
	s_mov_b32 s5, exec_lo
	v_cmpx_gt_i32_e64 s0, v0
	s_cbranch_execnz .LBB115_28
.LBB115_11:
	s_or_b32 exec_lo, exec_lo, s5
	s_delay_alu instid0(SALU_CYCLE_1)
	s_mov_b32 s5, exec_lo
	v_cmpx_gt_i32_e64 s0, v0
	s_cbranch_execnz .LBB115_29
.LBB115_12:
	s_or_b32 exec_lo, exec_lo, s5
	s_delay_alu instid0(SALU_CYCLE_1)
	s_mov_b32 s5, exec_lo
	v_cmpx_gt_i32_e64 s0, v0
	s_cbranch_execnz .LBB115_30
.LBB115_13:
	s_or_b32 exec_lo, exec_lo, s5
	s_delay_alu instid0(SALU_CYCLE_1)
	s_mov_b32 s5, exec_lo
	v_cmpx_gt_i32_e64 s0, v0
	s_cbranch_execnz .LBB115_31
.LBB115_14:
	s_or_b32 exec_lo, exec_lo, s5
	s_delay_alu instid0(SALU_CYCLE_1)
	s_mov_b32 s5, exec_lo
	v_cmpx_gt_i32_e64 s0, v0
	s_cbranch_execnz .LBB115_32
.LBB115_15:
	s_or_b32 exec_lo, exec_lo, s5
	s_delay_alu instid0(SALU_CYCLE_1)
	s_mov_b32 s5, exec_lo
	v_cmpx_gt_i32_e64 s0, v0
	s_cbranch_execnz .LBB115_33
.LBB115_16:
	s_or_b32 exec_lo, exec_lo, s5
	s_delay_alu instid0(SALU_CYCLE_1)
	s_mov_b32 s5, exec_lo
	v_cmpx_gt_i32_e64 s0, v0
	s_cbranch_execnz .LBB115_34
.LBB115_17:
	s_or_b32 exec_lo, exec_lo, s5
	s_delay_alu instid0(SALU_CYCLE_1)
	s_mov_b32 s5, exec_lo
	v_cmpx_gt_i32_e64 s0, v0
	s_cbranch_execnz .LBB115_35
.LBB115_18:
	s_or_b32 exec_lo, exec_lo, s5
	v_cmp_gt_i32_e32 vcc_lo, s0, v0
	s_and_saveexec_b32 s0, vcc_lo
	s_cbranch_execz .LBB115_20
.LBB115_19:
	v_dual_mov_b32 v1, s1 :: v_dual_add_nc_u32 v0, s4, v0
	global_store_b8 v0, v1, s[2:3]
.LBB115_20:
	s_nop 0
	s_sendmsg sendmsg(MSG_DEALLOC_VGPRS)
	s_endpgm
.LBB115_21:
	v_or_b32_e32 v1, 0x100, v0
	v_or_b32_e32 v2, s4, v0
	s_delay_alu instid0(VALU_DEP_2) | instskip(SKIP_2) | instid1(SALU_CYCLE_1)
	v_dual_mov_b32 v3, s1 :: v_dual_mov_b32 v0, v1
	global_store_b8 v2, v3, s[2:3]
	s_or_b32 exec_lo, exec_lo, s5
	s_mov_b32 s5, exec_lo
	v_cmpx_gt_i32_e64 s0, v0
	s_cbranch_execz .LBB115_5
.LBB115_22:
	v_dual_mov_b32 v2, s1 :: v_dual_add_nc_u32 v1, s4, v0
	v_add_nc_u32_e32 v0, 0x100, v0
	global_store_b8 v1, v2, s[2:3]
	s_or_b32 exec_lo, exec_lo, s5
	s_delay_alu instid0(SALU_CYCLE_1)
	s_mov_b32 s5, exec_lo
	v_cmpx_gt_i32_e64 s0, v0
	s_cbranch_execz .LBB115_6
.LBB115_23:
	v_dual_mov_b32 v2, s1 :: v_dual_add_nc_u32 v1, s4, v0
	v_add_nc_u32_e32 v0, 0x100, v0
	global_store_b8 v1, v2, s[2:3]
	s_or_b32 exec_lo, exec_lo, s5
	s_delay_alu instid0(SALU_CYCLE_1)
	s_mov_b32 s5, exec_lo
	v_cmpx_gt_i32_e64 s0, v0
	s_cbranch_execz .LBB115_7
.LBB115_24:
	v_dual_mov_b32 v2, s1 :: v_dual_add_nc_u32 v1, s4, v0
	v_add_nc_u32_e32 v0, 0x100, v0
	global_store_b8 v1, v2, s[2:3]
	s_or_b32 exec_lo, exec_lo, s5
	s_delay_alu instid0(SALU_CYCLE_1)
	s_mov_b32 s5, exec_lo
	v_cmpx_gt_i32_e64 s0, v0
	s_cbranch_execz .LBB115_8
.LBB115_25:
	v_dual_mov_b32 v2, s1 :: v_dual_add_nc_u32 v1, s4, v0
	v_add_nc_u32_e32 v0, 0x100, v0
	global_store_b8 v1, v2, s[2:3]
	s_or_b32 exec_lo, exec_lo, s5
	s_delay_alu instid0(SALU_CYCLE_1)
	s_mov_b32 s5, exec_lo
	v_cmpx_gt_i32_e64 s0, v0
	s_cbranch_execz .LBB115_9
.LBB115_26:
	v_dual_mov_b32 v2, s1 :: v_dual_add_nc_u32 v1, s4, v0
	v_add_nc_u32_e32 v0, 0x100, v0
	global_store_b8 v1, v2, s[2:3]
	s_or_b32 exec_lo, exec_lo, s5
	s_delay_alu instid0(SALU_CYCLE_1)
	s_mov_b32 s5, exec_lo
	v_cmpx_gt_i32_e64 s0, v0
	s_cbranch_execz .LBB115_10
.LBB115_27:
	v_dual_mov_b32 v2, s1 :: v_dual_add_nc_u32 v1, s4, v0
	v_add_nc_u32_e32 v0, 0x100, v0
	global_store_b8 v1, v2, s[2:3]
	s_or_b32 exec_lo, exec_lo, s5
	s_delay_alu instid0(SALU_CYCLE_1)
	s_mov_b32 s5, exec_lo
	v_cmpx_gt_i32_e64 s0, v0
	s_cbranch_execz .LBB115_11
.LBB115_28:
	v_dual_mov_b32 v2, s1 :: v_dual_add_nc_u32 v1, s4, v0
	v_add_nc_u32_e32 v0, 0x100, v0
	global_store_b8 v1, v2, s[2:3]
	s_or_b32 exec_lo, exec_lo, s5
	s_delay_alu instid0(SALU_CYCLE_1)
	s_mov_b32 s5, exec_lo
	v_cmpx_gt_i32_e64 s0, v0
	s_cbranch_execz .LBB115_12
.LBB115_29:
	v_dual_mov_b32 v2, s1 :: v_dual_add_nc_u32 v1, s4, v0
	v_add_nc_u32_e32 v0, 0x100, v0
	global_store_b8 v1, v2, s[2:3]
	s_or_b32 exec_lo, exec_lo, s5
	s_delay_alu instid0(SALU_CYCLE_1)
	s_mov_b32 s5, exec_lo
	v_cmpx_gt_i32_e64 s0, v0
	s_cbranch_execz .LBB115_13
.LBB115_30:
	v_dual_mov_b32 v2, s1 :: v_dual_add_nc_u32 v1, s4, v0
	v_add_nc_u32_e32 v0, 0x100, v0
	global_store_b8 v1, v2, s[2:3]
	s_or_b32 exec_lo, exec_lo, s5
	s_delay_alu instid0(SALU_CYCLE_1)
	s_mov_b32 s5, exec_lo
	v_cmpx_gt_i32_e64 s0, v0
	s_cbranch_execz .LBB115_14
.LBB115_31:
	v_dual_mov_b32 v2, s1 :: v_dual_add_nc_u32 v1, s4, v0
	v_add_nc_u32_e32 v0, 0x100, v0
	global_store_b8 v1, v2, s[2:3]
	s_or_b32 exec_lo, exec_lo, s5
	s_delay_alu instid0(SALU_CYCLE_1)
	s_mov_b32 s5, exec_lo
	v_cmpx_gt_i32_e64 s0, v0
	s_cbranch_execz .LBB115_15
.LBB115_32:
	v_dual_mov_b32 v2, s1 :: v_dual_add_nc_u32 v1, s4, v0
	v_add_nc_u32_e32 v0, 0x100, v0
	global_store_b8 v1, v2, s[2:3]
	s_or_b32 exec_lo, exec_lo, s5
	s_delay_alu instid0(SALU_CYCLE_1)
	s_mov_b32 s5, exec_lo
	v_cmpx_gt_i32_e64 s0, v0
	s_cbranch_execz .LBB115_16
.LBB115_33:
	v_dual_mov_b32 v2, s1 :: v_dual_add_nc_u32 v1, s4, v0
	v_add_nc_u32_e32 v0, 0x100, v0
	global_store_b8 v1, v2, s[2:3]
	s_or_b32 exec_lo, exec_lo, s5
	s_delay_alu instid0(SALU_CYCLE_1)
	s_mov_b32 s5, exec_lo
	v_cmpx_gt_i32_e64 s0, v0
	s_cbranch_execz .LBB115_17
.LBB115_34:
	v_dual_mov_b32 v2, s1 :: v_dual_add_nc_u32 v1, s4, v0
	v_add_nc_u32_e32 v0, 0x100, v0
	global_store_b8 v1, v2, s[2:3]
	s_or_b32 exec_lo, exec_lo, s5
	s_delay_alu instid0(SALU_CYCLE_1)
	s_mov_b32 s5, exec_lo
	v_cmpx_gt_i32_e64 s0, v0
	s_cbranch_execz .LBB115_18
.LBB115_35:
	v_dual_mov_b32 v2, s1 :: v_dual_add_nc_u32 v1, s4, v0
	v_add_nc_u32_e32 v0, 0x100, v0
	global_store_b8 v1, v2, s[2:3]
	s_or_b32 exec_lo, exec_lo, s5
	v_cmp_gt_i32_e32 vcc_lo, s0, v0
	s_and_saveexec_b32 s0, vcc_lo
	s_cbranch_execnz .LBB115_19
	s_branch .LBB115_20
	.section	.rodata,"a",@progbits
	.p2align	6, 0x0
	.amdhsa_kernel _ZN2at6native29vectorized_elementwise_kernelILi2ENS0_11FillFunctorIN3c1011Float8_e5m2EEESt5arrayIPcLm1EEEEviT0_T1_
		.amdhsa_group_segment_fixed_size 0
		.amdhsa_private_segment_fixed_size 0
		.amdhsa_kernarg_size 16
		.amdhsa_user_sgpr_count 15
		.amdhsa_user_sgpr_dispatch_ptr 0
		.amdhsa_user_sgpr_queue_ptr 0
		.amdhsa_user_sgpr_kernarg_segment_ptr 1
		.amdhsa_user_sgpr_dispatch_id 0
		.amdhsa_user_sgpr_private_segment_size 0
		.amdhsa_wavefront_size32 1
		.amdhsa_uses_dynamic_stack 0
		.amdhsa_enable_private_segment 0
		.amdhsa_system_sgpr_workgroup_id_x 1
		.amdhsa_system_sgpr_workgroup_id_y 0
		.amdhsa_system_sgpr_workgroup_id_z 0
		.amdhsa_system_sgpr_workgroup_info 0
		.amdhsa_system_vgpr_workitem_id 0
		.amdhsa_next_free_vgpr 4
		.amdhsa_next_free_sgpr 16
		.amdhsa_reserve_vcc 1
		.amdhsa_float_round_mode_32 0
		.amdhsa_float_round_mode_16_64 0
		.amdhsa_float_denorm_mode_32 3
		.amdhsa_float_denorm_mode_16_64 3
		.amdhsa_dx10_clamp 1
		.amdhsa_ieee_mode 1
		.amdhsa_fp16_overflow 0
		.amdhsa_workgroup_processor_mode 1
		.amdhsa_memory_ordered 1
		.amdhsa_forward_progress 0
		.amdhsa_shared_vgpr_count 0
		.amdhsa_exception_fp_ieee_invalid_op 0
		.amdhsa_exception_fp_denorm_src 0
		.amdhsa_exception_fp_ieee_div_zero 0
		.amdhsa_exception_fp_ieee_overflow 0
		.amdhsa_exception_fp_ieee_underflow 0
		.amdhsa_exception_fp_ieee_inexact 0
		.amdhsa_exception_int_div_zero 0
	.end_amdhsa_kernel
	.section	.text._ZN2at6native29vectorized_elementwise_kernelILi2ENS0_11FillFunctorIN3c1011Float8_e5m2EEESt5arrayIPcLm1EEEEviT0_T1_,"axG",@progbits,_ZN2at6native29vectorized_elementwise_kernelILi2ENS0_11FillFunctorIN3c1011Float8_e5m2EEESt5arrayIPcLm1EEEEviT0_T1_,comdat
.Lfunc_end115:
	.size	_ZN2at6native29vectorized_elementwise_kernelILi2ENS0_11FillFunctorIN3c1011Float8_e5m2EEESt5arrayIPcLm1EEEEviT0_T1_, .Lfunc_end115-_ZN2at6native29vectorized_elementwise_kernelILi2ENS0_11FillFunctorIN3c1011Float8_e5m2EEESt5arrayIPcLm1EEEEviT0_T1_
                                        ; -- End function
	.section	.AMDGPU.csdata,"",@progbits
; Kernel info:
; codeLenInByte = 1272
; NumSgprs: 18
; NumVgprs: 4
; ScratchSize: 0
; MemoryBound: 0
; FloatMode: 240
; IeeeMode: 1
; LDSByteSize: 0 bytes/workgroup (compile time only)
; SGPRBlocks: 2
; VGPRBlocks: 0
; NumSGPRsForWavesPerEU: 18
; NumVGPRsForWavesPerEU: 4
; Occupancy: 16
; WaveLimiterHint : 1
; COMPUTE_PGM_RSRC2:SCRATCH_EN: 0
; COMPUTE_PGM_RSRC2:USER_SGPR: 15
; COMPUTE_PGM_RSRC2:TRAP_HANDLER: 0
; COMPUTE_PGM_RSRC2:TGID_X_EN: 1
; COMPUTE_PGM_RSRC2:TGID_Y_EN: 0
; COMPUTE_PGM_RSRC2:TGID_Z_EN: 0
; COMPUTE_PGM_RSRC2:TIDIG_COMP_CNT: 0
	.section	.text._ZN2at6native27unrolled_elementwise_kernelINS0_11FillFunctorIN3c1011Float8_e5m2EEESt5arrayIPcLm1EELi4E23TrivialOffsetCalculatorILi0EjES9_ILi1EjENS0_6memory15LoadWithoutCastENSC_16StoreWithoutCastEEEviT_T0_T2_T3_T4_T5_,"axG",@progbits,_ZN2at6native27unrolled_elementwise_kernelINS0_11FillFunctorIN3c1011Float8_e5m2EEESt5arrayIPcLm1EELi4E23TrivialOffsetCalculatorILi0EjES9_ILi1EjENS0_6memory15LoadWithoutCastENSC_16StoreWithoutCastEEEviT_T0_T2_T3_T4_T5_,comdat
	.protected	_ZN2at6native27unrolled_elementwise_kernelINS0_11FillFunctorIN3c1011Float8_e5m2EEESt5arrayIPcLm1EELi4E23TrivialOffsetCalculatorILi0EjES9_ILi1EjENS0_6memory15LoadWithoutCastENSC_16StoreWithoutCastEEEviT_T0_T2_T3_T4_T5_ ; -- Begin function _ZN2at6native27unrolled_elementwise_kernelINS0_11FillFunctorIN3c1011Float8_e5m2EEESt5arrayIPcLm1EELi4E23TrivialOffsetCalculatorILi0EjES9_ILi1EjENS0_6memory15LoadWithoutCastENSC_16StoreWithoutCastEEEviT_T0_T2_T3_T4_T5_
	.globl	_ZN2at6native27unrolled_elementwise_kernelINS0_11FillFunctorIN3c1011Float8_e5m2EEESt5arrayIPcLm1EELi4E23TrivialOffsetCalculatorILi0EjES9_ILi1EjENS0_6memory15LoadWithoutCastENSC_16StoreWithoutCastEEEviT_T0_T2_T3_T4_T5_
	.p2align	8
	.type	_ZN2at6native27unrolled_elementwise_kernelINS0_11FillFunctorIN3c1011Float8_e5m2EEESt5arrayIPcLm1EELi4E23TrivialOffsetCalculatorILi0EjES9_ILi1EjENS0_6memory15LoadWithoutCastENSC_16StoreWithoutCastEEEviT_T0_T2_T3_T4_T5_,@function
_ZN2at6native27unrolled_elementwise_kernelINS0_11FillFunctorIN3c1011Float8_e5m2EEESt5arrayIPcLm1EELi4E23TrivialOffsetCalculatorILi0EjES9_ILi1EjENS0_6memory15LoadWithoutCastENSC_16StoreWithoutCastEEEviT_T0_T2_T3_T4_T5_: ; @_ZN2at6native27unrolled_elementwise_kernelINS0_11FillFunctorIN3c1011Float8_e5m2EEESt5arrayIPcLm1EELi4E23TrivialOffsetCalculatorILi0EjES9_ILi1EjENS0_6memory15LoadWithoutCastENSC_16StoreWithoutCastEEEviT_T0_T2_T3_T4_T5_
; %bb.0:
	s_load_b128 s[0:3], s[0:1], 0x0
	s_lshl_b32 s4, s15, 10
	s_mov_b32 s5, exec_lo
	s_waitcnt lgkmcnt(0)
	s_sub_i32 s0, s0, s4
	s_delay_alu instid0(SALU_CYCLE_1)
	v_cmpx_gt_i32_e64 s0, v0
	s_cbranch_execnz .LBB116_5
; %bb.1:
	s_or_b32 exec_lo, exec_lo, s5
	s_delay_alu instid0(SALU_CYCLE_1)
	s_mov_b32 s5, exec_lo
	v_cmpx_gt_i32_e64 s0, v0
	s_cbranch_execnz .LBB116_6
.LBB116_2:
	s_or_b32 exec_lo, exec_lo, s5
	s_delay_alu instid0(SALU_CYCLE_1)
	s_mov_b32 s5, exec_lo
	v_cmpx_gt_i32_e64 s0, v0
	s_cbranch_execnz .LBB116_7
.LBB116_3:
	s_or_b32 exec_lo, exec_lo, s5
	v_cmp_gt_i32_e32 vcc_lo, s0, v0
	s_and_saveexec_b32 s0, vcc_lo
	s_cbranch_execnz .LBB116_8
.LBB116_4:
	s_nop 0
	s_sendmsg sendmsg(MSG_DEALLOC_VGPRS)
	s_endpgm
.LBB116_5:
	v_or_b32_e32 v1, s4, v0
	v_mov_b32_e32 v2, s1
	v_or_b32_e32 v0, 0x100, v0
	global_store_b8 v1, v2, s[2:3]
	s_or_b32 exec_lo, exec_lo, s5
	s_delay_alu instid0(SALU_CYCLE_1)
	s_mov_b32 s5, exec_lo
	v_cmpx_gt_i32_e64 s0, v0
	s_cbranch_execz .LBB116_2
.LBB116_6:
	v_add_nc_u32_e32 v1, 0x100, v0
	v_dual_mov_b32 v3, s1 :: v_dual_add_nc_u32 v2, s4, v0
	s_delay_alu instid0(VALU_DEP_2) | instskip(SKIP_2) | instid1(SALU_CYCLE_1)
	v_mov_b32_e32 v0, v1
	global_store_b8 v2, v3, s[2:3]
	s_or_b32 exec_lo, exec_lo, s5
	s_mov_b32 s5, exec_lo
	v_cmpx_gt_i32_e64 s0, v0
	s_cbranch_execz .LBB116_3
.LBB116_7:
	v_add_nc_u32_e32 v1, 0x100, v0
	v_dual_mov_b32 v3, s1 :: v_dual_add_nc_u32 v2, s4, v0
	s_delay_alu instid0(VALU_DEP_2)
	v_mov_b32_e32 v0, v1
	global_store_b8 v2, v3, s[2:3]
	s_or_b32 exec_lo, exec_lo, s5
	v_cmp_gt_i32_e32 vcc_lo, s0, v0
	s_and_saveexec_b32 s0, vcc_lo
	s_cbranch_execz .LBB116_4
.LBB116_8:
	v_dual_mov_b32 v1, s1 :: v_dual_add_nc_u32 v0, s4, v0
	global_store_b8 v0, v1, s[2:3]
	s_nop 0
	s_sendmsg sendmsg(MSG_DEALLOC_VGPRS)
	s_endpgm
	.section	.rodata,"a",@progbits
	.p2align	6, 0x0
	.amdhsa_kernel _ZN2at6native27unrolled_elementwise_kernelINS0_11FillFunctorIN3c1011Float8_e5m2EEESt5arrayIPcLm1EELi4E23TrivialOffsetCalculatorILi0EjES9_ILi1EjENS0_6memory15LoadWithoutCastENSC_16StoreWithoutCastEEEviT_T0_T2_T3_T4_T5_
		.amdhsa_group_segment_fixed_size 0
		.amdhsa_private_segment_fixed_size 0
		.amdhsa_kernarg_size 20
		.amdhsa_user_sgpr_count 15
		.amdhsa_user_sgpr_dispatch_ptr 0
		.amdhsa_user_sgpr_queue_ptr 0
		.amdhsa_user_sgpr_kernarg_segment_ptr 1
		.amdhsa_user_sgpr_dispatch_id 0
		.amdhsa_user_sgpr_private_segment_size 0
		.amdhsa_wavefront_size32 1
		.amdhsa_uses_dynamic_stack 0
		.amdhsa_enable_private_segment 0
		.amdhsa_system_sgpr_workgroup_id_x 1
		.amdhsa_system_sgpr_workgroup_id_y 0
		.amdhsa_system_sgpr_workgroup_id_z 0
		.amdhsa_system_sgpr_workgroup_info 0
		.amdhsa_system_vgpr_workitem_id 0
		.amdhsa_next_free_vgpr 4
		.amdhsa_next_free_sgpr 16
		.amdhsa_reserve_vcc 1
		.amdhsa_float_round_mode_32 0
		.amdhsa_float_round_mode_16_64 0
		.amdhsa_float_denorm_mode_32 3
		.amdhsa_float_denorm_mode_16_64 3
		.amdhsa_dx10_clamp 1
		.amdhsa_ieee_mode 1
		.amdhsa_fp16_overflow 0
		.amdhsa_workgroup_processor_mode 1
		.amdhsa_memory_ordered 1
		.amdhsa_forward_progress 0
		.amdhsa_shared_vgpr_count 0
		.amdhsa_exception_fp_ieee_invalid_op 0
		.amdhsa_exception_fp_denorm_src 0
		.amdhsa_exception_fp_ieee_div_zero 0
		.amdhsa_exception_fp_ieee_overflow 0
		.amdhsa_exception_fp_ieee_underflow 0
		.amdhsa_exception_fp_ieee_inexact 0
		.amdhsa_exception_int_div_zero 0
	.end_amdhsa_kernel
	.section	.text._ZN2at6native27unrolled_elementwise_kernelINS0_11FillFunctorIN3c1011Float8_e5m2EEESt5arrayIPcLm1EELi4E23TrivialOffsetCalculatorILi0EjES9_ILi1EjENS0_6memory15LoadWithoutCastENSC_16StoreWithoutCastEEEviT_T0_T2_T3_T4_T5_,"axG",@progbits,_ZN2at6native27unrolled_elementwise_kernelINS0_11FillFunctorIN3c1011Float8_e5m2EEESt5arrayIPcLm1EELi4E23TrivialOffsetCalculatorILi0EjES9_ILi1EjENS0_6memory15LoadWithoutCastENSC_16StoreWithoutCastEEEviT_T0_T2_T3_T4_T5_,comdat
.Lfunc_end116:
	.size	_ZN2at6native27unrolled_elementwise_kernelINS0_11FillFunctorIN3c1011Float8_e5m2EEESt5arrayIPcLm1EELi4E23TrivialOffsetCalculatorILi0EjES9_ILi1EjENS0_6memory15LoadWithoutCastENSC_16StoreWithoutCastEEEviT_T0_T2_T3_T4_T5_, .Lfunc_end116-_ZN2at6native27unrolled_elementwise_kernelINS0_11FillFunctorIN3c1011Float8_e5m2EEESt5arrayIPcLm1EELi4E23TrivialOffsetCalculatorILi0EjES9_ILi1EjENS0_6memory15LoadWithoutCastENSC_16StoreWithoutCastEEEviT_T0_T2_T3_T4_T5_
                                        ; -- End function
	.section	.AMDGPU.csdata,"",@progbits
; Kernel info:
; codeLenInByte = 292
; NumSgprs: 18
; NumVgprs: 4
; ScratchSize: 0
; MemoryBound: 0
; FloatMode: 240
; IeeeMode: 1
; LDSByteSize: 0 bytes/workgroup (compile time only)
; SGPRBlocks: 2
; VGPRBlocks: 0
; NumSGPRsForWavesPerEU: 18
; NumVGPRsForWavesPerEU: 4
; Occupancy: 16
; WaveLimiterHint : 0
; COMPUTE_PGM_RSRC2:SCRATCH_EN: 0
; COMPUTE_PGM_RSRC2:USER_SGPR: 15
; COMPUTE_PGM_RSRC2:TRAP_HANDLER: 0
; COMPUTE_PGM_RSRC2:TGID_X_EN: 1
; COMPUTE_PGM_RSRC2:TGID_Y_EN: 0
; COMPUTE_PGM_RSRC2:TGID_Z_EN: 0
; COMPUTE_PGM_RSRC2:TIDIG_COMP_CNT: 0
	.section	.text._ZN2at6native32elementwise_kernel_manual_unrollILi128ELi8EZNS0_22gpu_kernel_impl_nocastINS0_11FillFunctorIN3c1011Float8_e5m2EEEEEvRNS_18TensorIteratorBaseERKT_EUlibE_EEviT1_,"axG",@progbits,_ZN2at6native32elementwise_kernel_manual_unrollILi128ELi8EZNS0_22gpu_kernel_impl_nocastINS0_11FillFunctorIN3c1011Float8_e5m2EEEEEvRNS_18TensorIteratorBaseERKT_EUlibE_EEviT1_,comdat
	.protected	_ZN2at6native32elementwise_kernel_manual_unrollILi128ELi8EZNS0_22gpu_kernel_impl_nocastINS0_11FillFunctorIN3c1011Float8_e5m2EEEEEvRNS_18TensorIteratorBaseERKT_EUlibE_EEviT1_ ; -- Begin function _ZN2at6native32elementwise_kernel_manual_unrollILi128ELi8EZNS0_22gpu_kernel_impl_nocastINS0_11FillFunctorIN3c1011Float8_e5m2EEEEEvRNS_18TensorIteratorBaseERKT_EUlibE_EEviT1_
	.globl	_ZN2at6native32elementwise_kernel_manual_unrollILi128ELi8EZNS0_22gpu_kernel_impl_nocastINS0_11FillFunctorIN3c1011Float8_e5m2EEEEEvRNS_18TensorIteratorBaseERKT_EUlibE_EEviT1_
	.p2align	8
	.type	_ZN2at6native32elementwise_kernel_manual_unrollILi128ELi8EZNS0_22gpu_kernel_impl_nocastINS0_11FillFunctorIN3c1011Float8_e5m2EEEEEvRNS_18TensorIteratorBaseERKT_EUlibE_EEviT1_,@function
_ZN2at6native32elementwise_kernel_manual_unrollILi128ELi8EZNS0_22gpu_kernel_impl_nocastINS0_11FillFunctorIN3c1011Float8_e5m2EEEEEvRNS_18TensorIteratorBaseERKT_EUlibE_EEviT1_: ; @_ZN2at6native32elementwise_kernel_manual_unrollILi128ELi8EZNS0_22gpu_kernel_impl_nocastINS0_11FillFunctorIN3c1011Float8_e5m2EEEEEvRNS_18TensorIteratorBaseERKT_EUlibE_EEviT1_
; %bb.0:
	s_clause 0x1
	s_load_b32 s18, s[0:1], 0x8
	s_load_b32 s24, s[0:1], 0x0
	v_lshl_or_b32 v6, s15, 10, v0
	s_or_b32 s0, s0, 8
	s_mov_b32 s2, exec_lo
	s_delay_alu instid0(VALU_DEP_1) | instskip(SKIP_2) | instid1(SALU_CYCLE_1)
	v_or_b32_e32 v8, 0x380, v6
	s_waitcnt lgkmcnt(0)
	s_add_i32 s19, s18, -1
	s_cmp_gt_u32 s19, 1
	s_cselect_b32 s20, -1, 0
	v_cmpx_le_i32_e64 s24, v8
	s_xor_b32 s21, exec_lo, s2
	s_cbranch_execz .LBB117_7
; %bb.1:
	s_clause 0x4
	s_load_b128 s[4:7], s[0:1], 0x4
	s_load_b64 s[10:11], s[0:1], 0x14
	s_load_b64 s[8:9], s[0:1], 0xc4
	;; [unrolled: 1-line block ×3, first 2 shown]
	s_load_b32 s22, s[0:1], 0x110
	s_cmp_lg_u32 s18, 0
	s_mov_b32 s27, exec_lo
	s_cselect_b32 s26, -1, 0
	s_add_u32 s12, s0, 0xc4
	s_addc_u32 s13, s1, 0
	s_min_u32 s25, s19, 15
	s_cmp_gt_u32 s18, 1
	s_cselect_b32 s23, -1, 0
	v_cmpx_gt_i32_e64 s24, v6
	s_cbranch_execz .LBB117_14
; %bb.2:
	s_and_not1_b32 vcc_lo, exec_lo, s20
	s_cbranch_vccnz .LBB117_21
; %bb.3:
	v_mov_b32_e32 v0, 0
	s_and_not1_b32 vcc_lo, exec_lo, s26
	s_cbranch_vccnz .LBB117_125
; %bb.4:
	s_add_i32 s29, s25, 1
	s_cmp_eq_u32 s19, 2
	s_mov_b32 s28, 0
	s_cbranch_scc1 .LBB117_121
; %bb.5:
	v_dual_mov_b32 v0, 0 :: v_dual_mov_b32 v1, v6
	s_and_b32 s28, s29, 28
	s_mov_b32 s30, 0
	s_mov_b64 s[14:15], s[0:1]
	s_mov_b64 s[16:17], s[12:13]
.LBB117_6:                              ; =>This Inner Loop Header: Depth=1
	s_clause 0x1
	s_load_b256 s[36:43], s[14:15], 0x4
	s_load_b128 s[44:47], s[14:15], 0x24
	s_load_b128 s[48:51], s[16:17], 0x0
	s_add_u32 s14, s14, 48
	s_addc_u32 s15, s15, 0
	s_add_i32 s30, s30, 4
	s_add_u32 s16, s16, 16
	s_addc_u32 s17, s17, 0
	s_cmp_lg_u32 s28, s30
	s_waitcnt lgkmcnt(0)
	v_mul_hi_u32 v2, s37, v1
	s_delay_alu instid0(VALU_DEP_1) | instskip(NEXT) | instid1(VALU_DEP_1)
	v_add_nc_u32_e32 v2, v1, v2
	v_lshrrev_b32_e32 v2, s38, v2
	s_delay_alu instid0(VALU_DEP_1) | instskip(SKIP_1) | instid1(VALU_DEP_2)
	v_mul_hi_u32 v3, s40, v2
	v_mul_lo_u32 v7, v2, s36
	v_add_nc_u32_e32 v3, v2, v3
	s_delay_alu instid0(VALU_DEP_2) | instskip(NEXT) | instid1(VALU_DEP_2)
	v_sub_nc_u32_e32 v7, v1, v7
	v_lshrrev_b32_e32 v3, s41, v3
	s_delay_alu instid0(VALU_DEP_2) | instskip(NEXT) | instid1(VALU_DEP_2)
	v_mul_lo_u32 v7, v7, s48
	v_mul_hi_u32 v4, s43, v3
	v_mul_lo_u32 v8, v3, s39
	s_delay_alu instid0(VALU_DEP_2) | instskip(NEXT) | instid1(VALU_DEP_2)
	v_add_nc_u32_e32 v4, v3, v4
	v_sub_nc_u32_e32 v2, v2, v8
	s_delay_alu instid0(VALU_DEP_2) | instskip(NEXT) | instid1(VALU_DEP_2)
	v_lshrrev_b32_e32 v4, s44, v4
	v_mul_lo_u32 v2, v2, s49
	s_delay_alu instid0(VALU_DEP_2) | instskip(NEXT) | instid1(VALU_DEP_2)
	v_mul_hi_u32 v5, s46, v4
	v_add3_u32 v0, v7, v0, v2
	s_delay_alu instid0(VALU_DEP_2) | instskip(NEXT) | instid1(VALU_DEP_1)
	v_add_nc_u32_e32 v5, v4, v5
	v_lshrrev_b32_e32 v1, s47, v5
	v_mul_lo_u32 v5, v4, s42
	s_delay_alu instid0(VALU_DEP_2) | instskip(NEXT) | instid1(VALU_DEP_2)
	v_mul_lo_u32 v9, v1, s45
	v_sub_nc_u32_e32 v3, v3, v5
	s_delay_alu instid0(VALU_DEP_2) | instskip(NEXT) | instid1(VALU_DEP_2)
	v_sub_nc_u32_e32 v4, v4, v9
	v_mul_lo_u32 v3, v3, s50
	s_delay_alu instid0(VALU_DEP_2) | instskip(NEXT) | instid1(VALU_DEP_1)
	v_mul_lo_u32 v4, v4, s51
	v_add3_u32 v0, v3, v0, v4
	s_cbranch_scc1 .LBB117_6
	s_branch .LBB117_122
.LBB117_7:
	s_and_not1_saveexec_b32 s2, s21
	s_cbranch_execz .LBB117_206
.LBB117_8:
	v_cndmask_b32_e64 v7, 0, 1, s20
	s_and_not1_b32 vcc_lo, exec_lo, s20
	s_cbranch_vccnz .LBB117_20
; %bb.9:
	v_mov_b32_e32 v0, 0
	s_cmp_eq_u32 s18, 0
	s_mov_b32 s6, 0
	s_cbranch_scc1 .LBB117_26
; %bb.10:
	s_min_u32 s7, s19, 15
	v_mov_b32_e32 v0, 0
	s_add_i32 s7, s7, 1
	s_cmp_eq_u32 s19, 2
	s_mov_b32 s8, 0
	s_cbranch_scc1 .LBB117_23
; %bb.11:
	v_dual_mov_b32 v0, 0 :: v_dual_mov_b32 v1, v6
	s_add_u32 s2, s0, 0xc4
	s_addc_u32 s3, s1, 0
	s_and_b32 s8, s7, 28
	s_mov_b32 s9, 0
	s_mov_b64 s[4:5], s[0:1]
.LBB117_12:                             ; =>This Inner Loop Header: Depth=1
	s_clause 0x1
	s_load_b256 s[20:27], s[4:5], 0x4
	s_load_b128 s[12:15], s[4:5], 0x24
	s_load_b128 s[28:31], s[2:3], 0x0
	s_add_u32 s4, s4, 48
	s_addc_u32 s5, s5, 0
	s_add_i32 s9, s9, 4
	s_add_u32 s2, s2, 16
	s_addc_u32 s3, s3, 0
	s_cmp_lg_u32 s8, s9
	s_waitcnt lgkmcnt(0)
	v_mul_hi_u32 v2, s21, v1
	s_delay_alu instid0(VALU_DEP_1) | instskip(NEXT) | instid1(VALU_DEP_1)
	v_add_nc_u32_e32 v2, v1, v2
	v_lshrrev_b32_e32 v2, s22, v2
	s_delay_alu instid0(VALU_DEP_1) | instskip(SKIP_1) | instid1(VALU_DEP_2)
	v_mul_hi_u32 v3, s24, v2
	v_mul_lo_u32 v9, v2, s20
	v_add_nc_u32_e32 v3, v2, v3
	s_delay_alu instid0(VALU_DEP_2) | instskip(NEXT) | instid1(VALU_DEP_2)
	v_sub_nc_u32_e32 v9, v1, v9
	v_lshrrev_b32_e32 v3, s25, v3
	s_delay_alu instid0(VALU_DEP_2) | instskip(NEXT) | instid1(VALU_DEP_2)
	v_mul_lo_u32 v9, v9, s28
	v_mul_hi_u32 v4, s27, v3
	v_mul_lo_u32 v10, v3, s23
	s_delay_alu instid0(VALU_DEP_2) | instskip(NEXT) | instid1(VALU_DEP_2)
	v_add_nc_u32_e32 v4, v3, v4
	v_sub_nc_u32_e32 v2, v2, v10
	s_delay_alu instid0(VALU_DEP_2) | instskip(NEXT) | instid1(VALU_DEP_2)
	v_lshrrev_b32_e32 v4, s12, v4
	v_mul_lo_u32 v2, v2, s29
	s_delay_alu instid0(VALU_DEP_2) | instskip(NEXT) | instid1(VALU_DEP_2)
	v_mul_hi_u32 v5, s14, v4
	v_add3_u32 v0, v9, v0, v2
	s_delay_alu instid0(VALU_DEP_2) | instskip(NEXT) | instid1(VALU_DEP_1)
	v_add_nc_u32_e32 v5, v4, v5
	v_lshrrev_b32_e32 v1, s15, v5
	v_mul_lo_u32 v5, v4, s26
	s_delay_alu instid0(VALU_DEP_2) | instskip(NEXT) | instid1(VALU_DEP_2)
	v_mul_lo_u32 v11, v1, s13
	v_sub_nc_u32_e32 v3, v3, v5
	s_delay_alu instid0(VALU_DEP_2) | instskip(NEXT) | instid1(VALU_DEP_2)
	v_sub_nc_u32_e32 v4, v4, v11
	v_mul_lo_u32 v3, v3, s30
	s_delay_alu instid0(VALU_DEP_2) | instskip(NEXT) | instid1(VALU_DEP_1)
	v_mul_lo_u32 v4, v4, s31
	v_add3_u32 v0, v3, v0, v4
	s_cbranch_scc1 .LBB117_12
; %bb.13:
	s_and_b32 s7, s7, 3
	s_delay_alu instid0(SALU_CYCLE_1)
	s_cmp_eq_u32 s7, 0
	s_cbranch_scc0 .LBB117_24
	s_branch .LBB117_26
.LBB117_14:
	s_or_b32 exec_lo, exec_lo, s27
	s_delay_alu instid0(SALU_CYCLE_1)
	s_mov_b32 s27, exec_lo
	v_cmpx_gt_i32_e64 s24, v6
	s_cbranch_execz .LBB117_129
.LBB117_15:
	s_and_not1_b32 vcc_lo, exec_lo, s20
	s_cbranch_vccnz .LBB117_22
; %bb.16:
	v_mov_b32_e32 v0, 0
	s_and_not1_b32 vcc_lo, exec_lo, s26
	s_cbranch_vccnz .LBB117_140
; %bb.17:
	s_add_i32 s29, s25, 1
	s_cmp_eq_u32 s19, 2
	s_mov_b32 s28, 0
	s_cbranch_scc1 .LBB117_136
; %bb.18:
	v_dual_mov_b32 v0, 0 :: v_dual_mov_b32 v1, v6
	s_and_b32 s28, s29, 28
	s_mov_b32 s30, 0
	s_mov_b64 s[14:15], s[0:1]
	s_mov_b64 s[16:17], s[12:13]
.LBB117_19:                             ; =>This Inner Loop Header: Depth=1
	s_clause 0x1
	s_load_b256 s[36:43], s[14:15], 0x4
	s_load_b128 s[44:47], s[14:15], 0x24
	s_load_b128 s[48:51], s[16:17], 0x0
	s_add_u32 s14, s14, 48
	s_addc_u32 s15, s15, 0
	s_add_i32 s30, s30, 4
	s_add_u32 s16, s16, 16
	s_addc_u32 s17, s17, 0
	s_cmp_eq_u32 s28, s30
	s_waitcnt lgkmcnt(0)
	v_mul_hi_u32 v2, s37, v1
	s_delay_alu instid0(VALU_DEP_1) | instskip(NEXT) | instid1(VALU_DEP_1)
	v_add_nc_u32_e32 v2, v1, v2
	v_lshrrev_b32_e32 v2, s38, v2
	s_delay_alu instid0(VALU_DEP_1) | instskip(SKIP_1) | instid1(VALU_DEP_2)
	v_mul_hi_u32 v3, s40, v2
	v_mul_lo_u32 v7, v2, s36
	v_add_nc_u32_e32 v3, v2, v3
	s_delay_alu instid0(VALU_DEP_2) | instskip(NEXT) | instid1(VALU_DEP_2)
	v_sub_nc_u32_e32 v7, v1, v7
	v_lshrrev_b32_e32 v3, s41, v3
	s_delay_alu instid0(VALU_DEP_2) | instskip(NEXT) | instid1(VALU_DEP_2)
	v_mul_lo_u32 v7, v7, s48
	v_mul_hi_u32 v4, s43, v3
	v_mul_lo_u32 v8, v3, s39
	s_delay_alu instid0(VALU_DEP_2) | instskip(NEXT) | instid1(VALU_DEP_2)
	v_add_nc_u32_e32 v4, v3, v4
	v_sub_nc_u32_e32 v2, v2, v8
	s_delay_alu instid0(VALU_DEP_2) | instskip(NEXT) | instid1(VALU_DEP_2)
	v_lshrrev_b32_e32 v4, s44, v4
	v_mul_lo_u32 v2, v2, s49
	s_delay_alu instid0(VALU_DEP_2) | instskip(NEXT) | instid1(VALU_DEP_2)
	v_mul_hi_u32 v5, s46, v4
	v_add3_u32 v0, v7, v0, v2
	s_delay_alu instid0(VALU_DEP_2) | instskip(NEXT) | instid1(VALU_DEP_1)
	v_add_nc_u32_e32 v5, v4, v5
	v_lshrrev_b32_e32 v1, s47, v5
	v_mul_lo_u32 v5, v4, s42
	s_delay_alu instid0(VALU_DEP_2) | instskip(NEXT) | instid1(VALU_DEP_2)
	v_mul_lo_u32 v9, v1, s45
	v_sub_nc_u32_e32 v3, v3, v5
	s_delay_alu instid0(VALU_DEP_2) | instskip(NEXT) | instid1(VALU_DEP_2)
	v_sub_nc_u32_e32 v4, v4, v9
	v_mul_lo_u32 v3, v3, s50
	s_delay_alu instid0(VALU_DEP_2) | instskip(NEXT) | instid1(VALU_DEP_1)
	v_mul_lo_u32 v4, v4, s51
	v_add3_u32 v0, v3, v0, v4
	s_cbranch_scc0 .LBB117_19
	s_branch .LBB117_137
.LBB117_20:
	s_mov_b32 s6, -1
                                        ; implicit-def: $vgpr0
	s_branch .LBB117_26
.LBB117_21:
                                        ; implicit-def: $vgpr0
	s_branch .LBB117_126
.LBB117_22:
                                        ; implicit-def: $vgpr0
	s_branch .LBB117_141
.LBB117_23:
	v_mov_b32_e32 v1, v6
	s_and_b32 s7, s7, 3
	s_delay_alu instid0(SALU_CYCLE_1)
	s_cmp_eq_u32 s7, 0
	s_cbranch_scc1 .LBB117_26
.LBB117_24:
	s_lshl_b32 s2, s8, 2
	s_mul_i32 s4, s8, 12
	s_add_u32 s2, s2, s0
	s_addc_u32 s3, 0, s1
	s_add_u32 s2, s2, 0xc4
	s_addc_u32 s3, s3, 0
	;; [unrolled: 2-line block ×3, first 2 shown]
	.p2align	6
.LBB117_25:                             ; =>This Inner Loop Header: Depth=1
	s_clause 0x1
	s_load_b64 s[8:9], s[4:5], 0x4
	s_load_b32 s10, s[4:5], 0xc
	s_add_u32 s4, s4, 12
	s_addc_u32 s5, s5, 0
	s_waitcnt lgkmcnt(0)
	v_mul_hi_u32 v2, s9, v1
	s_load_b32 s9, s[2:3], 0x0
	s_add_u32 s2, s2, 4
	s_addc_u32 s3, s3, 0
	s_add_i32 s7, s7, -1
	s_delay_alu instid0(SALU_CYCLE_1) | instskip(NEXT) | instid1(VALU_DEP_1)
	s_cmp_lg_u32 s7, 0
	v_add_nc_u32_e32 v2, v1, v2
	s_delay_alu instid0(VALU_DEP_1) | instskip(NEXT) | instid1(VALU_DEP_1)
	v_lshrrev_b32_e32 v4, s10, v2
	v_mul_lo_u32 v2, v4, s8
	s_delay_alu instid0(VALU_DEP_1) | instskip(SKIP_1) | instid1(VALU_DEP_1)
	v_sub_nc_u32_e32 v1, v1, v2
	s_waitcnt lgkmcnt(0)
	v_mad_u64_u32 v[2:3], null, v1, s9, v[0:1]
	s_delay_alu instid0(VALU_DEP_1)
	v_dual_mov_b32 v1, v4 :: v_dual_mov_b32 v0, v2
	s_cbranch_scc1 .LBB117_25
.LBB117_26:
	s_and_not1_b32 vcc_lo, exec_lo, s6
	s_cbranch_vccnz .LBB117_29
; %bb.27:
	s_clause 0x1
	s_load_b128 s[4:7], s[0:1], 0x4
	s_load_b32 s2, s[0:1], 0xc4
	s_cmp_lt_u32 s18, 2
	s_waitcnt lgkmcnt(0)
	v_mul_hi_u32 v0, s5, v6
	s_delay_alu instid0(VALU_DEP_1) | instskip(NEXT) | instid1(VALU_DEP_1)
	v_add_nc_u32_e32 v0, v6, v0
	v_lshrrev_b32_e32 v1, s6, v0
	s_delay_alu instid0(VALU_DEP_1) | instskip(NEXT) | instid1(VALU_DEP_1)
	v_mul_lo_u32 v0, v1, s4
	v_sub_nc_u32_e32 v0, v6, v0
	s_delay_alu instid0(VALU_DEP_1)
	v_mul_lo_u32 v0, v0, s2
	s_cbranch_scc1 .LBB117_29
; %bb.28:
	s_clause 0x1
	s_load_b128 s[4:7], s[0:1], 0x10
	s_load_b32 s2, s[0:1], 0xc8
	s_waitcnt lgkmcnt(0)
	v_mul_hi_u32 v2, s5, v1
	s_delay_alu instid0(VALU_DEP_1) | instskip(NEXT) | instid1(VALU_DEP_1)
	v_add_nc_u32_e32 v2, v1, v2
	v_lshrrev_b32_e32 v2, s6, v2
	s_delay_alu instid0(VALU_DEP_1) | instskip(NEXT) | instid1(VALU_DEP_1)
	v_mul_lo_u32 v2, v2, s4
	v_sub_nc_u32_e32 v3, v1, v2
	s_delay_alu instid0(VALU_DEP_1) | instskip(NEXT) | instid1(VALU_DEP_1)
	v_mad_u64_u32 v[1:2], null, v3, s2, v[0:1]
	v_mov_b32_e32 v0, v1
.LBB117_29:
	v_cmp_ne_u32_e32 vcc_lo, 1, v7
	v_add_nc_u32_e32 v2, 0x80, v6
	s_cbranch_vccnz .LBB117_35
; %bb.30:
	v_mov_b32_e32 v1, 0
	s_cmp_eq_u32 s18, 0
	s_mov_b32 s6, 0
	s_cbranch_scc1 .LBB117_39
; %bb.31:
	s_min_u32 s7, s19, 15
	v_mov_b32_e32 v1, 0
	s_add_i32 s7, s7, 1
	s_cmp_eq_u32 s19, 2
	s_mov_b32 s8, 0
	s_cbranch_scc1 .LBB117_36
; %bb.32:
	v_mov_b32_e32 v1, 0
	v_mov_b32_e32 v3, v2
	s_add_u32 s2, s0, 0xc4
	s_addc_u32 s3, s1, 0
	s_and_b32 s8, s7, 28
	s_mov_b32 s9, 0
	s_mov_b64 s[4:5], s[0:1]
.LBB117_33:                             ; =>This Inner Loop Header: Depth=1
	s_clause 0x1
	s_load_b256 s[20:27], s[4:5], 0x4
	s_load_b128 s[12:15], s[4:5], 0x24
	s_load_b128 s[28:31], s[2:3], 0x0
	s_add_u32 s4, s4, 48
	s_addc_u32 s5, s5, 0
	s_add_i32 s9, s9, 4
	s_add_u32 s2, s2, 16
	s_addc_u32 s3, s3, 0
	s_cmp_lg_u32 s8, s9
	s_waitcnt lgkmcnt(0)
	v_mul_hi_u32 v4, s21, v3
	s_delay_alu instid0(VALU_DEP_1) | instskip(NEXT) | instid1(VALU_DEP_1)
	v_add_nc_u32_e32 v4, v3, v4
	v_lshrrev_b32_e32 v4, s22, v4
	s_delay_alu instid0(VALU_DEP_1) | instskip(SKIP_1) | instid1(VALU_DEP_2)
	v_mul_hi_u32 v5, s24, v4
	v_mul_lo_u32 v11, v4, s20
	v_add_nc_u32_e32 v5, v4, v5
	s_delay_alu instid0(VALU_DEP_2) | instskip(NEXT) | instid1(VALU_DEP_2)
	v_sub_nc_u32_e32 v11, v3, v11
	v_lshrrev_b32_e32 v5, s25, v5
	s_delay_alu instid0(VALU_DEP_2) | instskip(NEXT) | instid1(VALU_DEP_2)
	v_mul_lo_u32 v11, v11, s28
	v_mul_hi_u32 v9, s27, v5
	v_mul_lo_u32 v12, v5, s23
	s_delay_alu instid0(VALU_DEP_2) | instskip(NEXT) | instid1(VALU_DEP_2)
	v_add_nc_u32_e32 v9, v5, v9
	v_sub_nc_u32_e32 v4, v4, v12
	s_delay_alu instid0(VALU_DEP_2) | instskip(NEXT) | instid1(VALU_DEP_2)
	v_lshrrev_b32_e32 v9, s12, v9
	v_mul_lo_u32 v4, v4, s29
	s_delay_alu instid0(VALU_DEP_2) | instskip(NEXT) | instid1(VALU_DEP_2)
	v_mul_hi_u32 v10, s14, v9
	v_add3_u32 v1, v11, v1, v4
	s_delay_alu instid0(VALU_DEP_2) | instskip(NEXT) | instid1(VALU_DEP_1)
	v_add_nc_u32_e32 v10, v9, v10
	v_lshrrev_b32_e32 v3, s15, v10
	v_mul_lo_u32 v10, v9, s26
	s_delay_alu instid0(VALU_DEP_2) | instskip(NEXT) | instid1(VALU_DEP_2)
	v_mul_lo_u32 v13, v3, s13
	v_sub_nc_u32_e32 v5, v5, v10
	s_delay_alu instid0(VALU_DEP_2) | instskip(NEXT) | instid1(VALU_DEP_2)
	v_sub_nc_u32_e32 v9, v9, v13
	v_mul_lo_u32 v5, v5, s30
	s_delay_alu instid0(VALU_DEP_2) | instskip(NEXT) | instid1(VALU_DEP_1)
	v_mul_lo_u32 v9, v9, s31
	v_add3_u32 v1, v5, v1, v9
	s_cbranch_scc1 .LBB117_33
; %bb.34:
	s_and_b32 s7, s7, 3
	s_delay_alu instid0(SALU_CYCLE_1)
	s_cmp_eq_u32 s7, 0
	s_cbranch_scc0 .LBB117_37
	s_branch .LBB117_39
.LBB117_35:
	s_mov_b32 s6, -1
                                        ; implicit-def: $vgpr1
	s_branch .LBB117_39
.LBB117_36:
	v_mov_b32_e32 v3, v2
	s_and_b32 s7, s7, 3
	s_delay_alu instid0(SALU_CYCLE_1)
	s_cmp_eq_u32 s7, 0
	s_cbranch_scc1 .LBB117_39
.LBB117_37:
	s_lshl_b32 s2, s8, 2
	s_mul_i32 s4, s8, 12
	s_add_u32 s2, s2, s0
	s_addc_u32 s3, 0, s1
	s_add_u32 s2, s2, 0xc4
	s_addc_u32 s3, s3, 0
	;; [unrolled: 2-line block ×3, first 2 shown]
	.p2align	6
.LBB117_38:                             ; =>This Inner Loop Header: Depth=1
	s_clause 0x1
	s_load_b64 s[8:9], s[4:5], 0x4
	s_load_b32 s10, s[4:5], 0xc
	s_add_u32 s4, s4, 12
	s_addc_u32 s5, s5, 0
	s_waitcnt lgkmcnt(0)
	v_mul_hi_u32 v4, s9, v3
	s_load_b32 s9, s[2:3], 0x0
	s_add_u32 s2, s2, 4
	s_addc_u32 s3, s3, 0
	s_add_i32 s7, s7, -1
	s_delay_alu instid0(SALU_CYCLE_1) | instskip(NEXT) | instid1(VALU_DEP_1)
	s_cmp_lg_u32 s7, 0
	v_add_nc_u32_e32 v4, v3, v4
	s_delay_alu instid0(VALU_DEP_1) | instskip(NEXT) | instid1(VALU_DEP_1)
	v_lshrrev_b32_e32 v9, s10, v4
	v_mul_lo_u32 v4, v9, s8
	s_delay_alu instid0(VALU_DEP_1) | instskip(SKIP_1) | instid1(VALU_DEP_1)
	v_sub_nc_u32_e32 v3, v3, v4
	s_waitcnt lgkmcnt(0)
	v_mad_u64_u32 v[4:5], null, v3, s9, v[1:2]
	v_mov_b32_e32 v3, v9
	s_delay_alu instid0(VALU_DEP_2)
	v_mov_b32_e32 v1, v4
	s_cbranch_scc1 .LBB117_38
.LBB117_39:
	s_and_not1_b32 vcc_lo, exec_lo, s6
	s_cbranch_vccnz .LBB117_42
; %bb.40:
	s_clause 0x1
	s_load_b128 s[4:7], s[0:1], 0x4
	s_load_b32 s2, s[0:1], 0xc4
	s_cmp_lt_u32 s18, 2
	s_waitcnt lgkmcnt(0)
	v_mul_hi_u32 v1, s5, v2
	s_delay_alu instid0(VALU_DEP_1) | instskip(NEXT) | instid1(VALU_DEP_1)
	v_add_nc_u32_e32 v1, v2, v1
	v_lshrrev_b32_e32 v3, s6, v1
	s_delay_alu instid0(VALU_DEP_1) | instskip(NEXT) | instid1(VALU_DEP_1)
	v_mul_lo_u32 v1, v3, s4
	v_sub_nc_u32_e32 v1, v2, v1
	s_delay_alu instid0(VALU_DEP_1)
	v_mul_lo_u32 v1, v1, s2
	s_cbranch_scc1 .LBB117_42
; %bb.41:
	s_clause 0x1
	s_load_b128 s[4:7], s[0:1], 0x10
	s_load_b32 s2, s[0:1], 0xc8
	s_waitcnt lgkmcnt(0)
	v_mul_hi_u32 v2, s5, v3
	s_delay_alu instid0(VALU_DEP_1) | instskip(NEXT) | instid1(VALU_DEP_1)
	v_add_nc_u32_e32 v2, v3, v2
	v_lshrrev_b32_e32 v2, s6, v2
	s_delay_alu instid0(VALU_DEP_1) | instskip(NEXT) | instid1(VALU_DEP_1)
	v_mul_lo_u32 v2, v2, s4
	v_sub_nc_u32_e32 v4, v3, v2
	s_delay_alu instid0(VALU_DEP_1) | instskip(NEXT) | instid1(VALU_DEP_1)
	v_mad_u64_u32 v[2:3], null, v4, s2, v[1:2]
	v_mov_b32_e32 v1, v2
.LBB117_42:
	v_cmp_ne_u32_e32 vcc_lo, 1, v7
	v_add_nc_u32_e32 v3, 0x100, v6
	s_cbranch_vccnz .LBB117_48
; %bb.43:
	v_mov_b32_e32 v2, 0
	s_cmp_eq_u32 s18, 0
	s_mov_b32 s6, 0
	s_cbranch_scc1 .LBB117_52
; %bb.44:
	s_min_u32 s7, s19, 15
	v_mov_b32_e32 v2, 0
	s_add_i32 s7, s7, 1
	s_cmp_eq_u32 s19, 2
	s_mov_b32 s8, 0
	s_cbranch_scc1 .LBB117_49
; %bb.45:
	v_mov_b32_e32 v2, 0
	v_mov_b32_e32 v4, v3
	s_add_u32 s2, s0, 0xc4
	s_addc_u32 s3, s1, 0
	s_and_b32 s8, s7, 28
	s_mov_b32 s9, 0
	s_mov_b64 s[4:5], s[0:1]
.LBB117_46:                             ; =>This Inner Loop Header: Depth=1
	s_clause 0x1
	s_load_b256 s[20:27], s[4:5], 0x4
	s_load_b128 s[12:15], s[4:5], 0x24
	s_load_b128 s[28:31], s[2:3], 0x0
	s_add_u32 s4, s4, 48
	s_addc_u32 s5, s5, 0
	s_add_i32 s9, s9, 4
	s_add_u32 s2, s2, 16
	s_addc_u32 s3, s3, 0
	s_cmp_lg_u32 s8, s9
	s_waitcnt lgkmcnt(0)
	v_mul_hi_u32 v5, s21, v4
	s_delay_alu instid0(VALU_DEP_1) | instskip(NEXT) | instid1(VALU_DEP_1)
	v_add_nc_u32_e32 v5, v4, v5
	v_lshrrev_b32_e32 v5, s22, v5
	s_delay_alu instid0(VALU_DEP_1) | instskip(SKIP_1) | instid1(VALU_DEP_2)
	v_mul_hi_u32 v9, s24, v5
	v_mul_lo_u32 v12, v5, s20
	v_add_nc_u32_e32 v9, v5, v9
	s_delay_alu instid0(VALU_DEP_2) | instskip(NEXT) | instid1(VALU_DEP_2)
	v_sub_nc_u32_e32 v12, v4, v12
	v_lshrrev_b32_e32 v9, s25, v9
	s_delay_alu instid0(VALU_DEP_2) | instskip(NEXT) | instid1(VALU_DEP_2)
	v_mul_lo_u32 v12, v12, s28
	v_mul_hi_u32 v10, s27, v9
	v_mul_lo_u32 v13, v9, s23
	s_delay_alu instid0(VALU_DEP_2) | instskip(NEXT) | instid1(VALU_DEP_2)
	v_add_nc_u32_e32 v10, v9, v10
	v_sub_nc_u32_e32 v5, v5, v13
	s_delay_alu instid0(VALU_DEP_2) | instskip(NEXT) | instid1(VALU_DEP_2)
	v_lshrrev_b32_e32 v10, s12, v10
	v_mul_lo_u32 v5, v5, s29
	s_delay_alu instid0(VALU_DEP_2) | instskip(NEXT) | instid1(VALU_DEP_2)
	v_mul_hi_u32 v11, s14, v10
	v_add3_u32 v2, v12, v2, v5
	s_delay_alu instid0(VALU_DEP_2) | instskip(NEXT) | instid1(VALU_DEP_1)
	v_add_nc_u32_e32 v11, v10, v11
	v_lshrrev_b32_e32 v4, s15, v11
	v_mul_lo_u32 v11, v10, s26
	s_delay_alu instid0(VALU_DEP_2) | instskip(NEXT) | instid1(VALU_DEP_2)
	v_mul_lo_u32 v14, v4, s13
	v_sub_nc_u32_e32 v9, v9, v11
	s_delay_alu instid0(VALU_DEP_2) | instskip(NEXT) | instid1(VALU_DEP_2)
	v_sub_nc_u32_e32 v10, v10, v14
	v_mul_lo_u32 v9, v9, s30
	s_delay_alu instid0(VALU_DEP_2) | instskip(NEXT) | instid1(VALU_DEP_1)
	v_mul_lo_u32 v10, v10, s31
	v_add3_u32 v2, v9, v2, v10
	s_cbranch_scc1 .LBB117_46
; %bb.47:
	s_and_b32 s7, s7, 3
	s_delay_alu instid0(SALU_CYCLE_1)
	s_cmp_eq_u32 s7, 0
	s_cbranch_scc0 .LBB117_50
	s_branch .LBB117_52
.LBB117_48:
	s_mov_b32 s6, -1
                                        ; implicit-def: $vgpr2
	s_branch .LBB117_52
.LBB117_49:
	v_mov_b32_e32 v4, v3
	s_and_b32 s7, s7, 3
	s_delay_alu instid0(SALU_CYCLE_1)
	s_cmp_eq_u32 s7, 0
	s_cbranch_scc1 .LBB117_52
.LBB117_50:
	s_lshl_b32 s2, s8, 2
	s_mul_i32 s4, s8, 12
	s_add_u32 s2, s2, s0
	s_addc_u32 s3, 0, s1
	s_add_u32 s2, s2, 0xc4
	s_addc_u32 s3, s3, 0
	;; [unrolled: 2-line block ×3, first 2 shown]
	.p2align	6
.LBB117_51:                             ; =>This Inner Loop Header: Depth=1
	s_clause 0x1
	s_load_b64 s[8:9], s[4:5], 0x4
	s_load_b32 s10, s[4:5], 0xc
	s_add_u32 s4, s4, 12
	s_addc_u32 s5, s5, 0
	s_waitcnt lgkmcnt(0)
	v_mul_hi_u32 v5, s9, v4
	s_load_b32 s9, s[2:3], 0x0
	s_add_u32 s2, s2, 4
	s_addc_u32 s3, s3, 0
	s_add_i32 s7, s7, -1
	s_delay_alu instid0(SALU_CYCLE_1) | instskip(NEXT) | instid1(VALU_DEP_1)
	s_cmp_lg_u32 s7, 0
	v_add_nc_u32_e32 v5, v4, v5
	s_delay_alu instid0(VALU_DEP_1) | instskip(NEXT) | instid1(VALU_DEP_1)
	v_lshrrev_b32_e32 v5, s10, v5
	v_mul_lo_u32 v9, v5, s8
	s_delay_alu instid0(VALU_DEP_1) | instskip(SKIP_1) | instid1(VALU_DEP_1)
	v_sub_nc_u32_e32 v4, v4, v9
	s_waitcnt lgkmcnt(0)
	v_mad_u64_u32 v[9:10], null, v4, s9, v[2:3]
	v_mov_b32_e32 v4, v5
	s_delay_alu instid0(VALU_DEP_2)
	v_mov_b32_e32 v2, v9
	s_cbranch_scc1 .LBB117_51
.LBB117_52:
	s_and_not1_b32 vcc_lo, exec_lo, s6
	s_cbranch_vccnz .LBB117_55
; %bb.53:
	s_clause 0x1
	s_load_b128 s[4:7], s[0:1], 0x4
	s_load_b32 s2, s[0:1], 0xc4
	s_cmp_lt_u32 s18, 2
	s_waitcnt lgkmcnt(0)
	v_mul_hi_u32 v2, s5, v3
	s_delay_alu instid0(VALU_DEP_1) | instskip(NEXT) | instid1(VALU_DEP_1)
	v_add_nc_u32_e32 v2, v3, v2
	v_lshrrev_b32_e32 v4, s6, v2
	s_delay_alu instid0(VALU_DEP_1) | instskip(NEXT) | instid1(VALU_DEP_1)
	v_mul_lo_u32 v2, v4, s4
	v_sub_nc_u32_e32 v2, v3, v2
	s_delay_alu instid0(VALU_DEP_1)
	v_mul_lo_u32 v2, v2, s2
	s_cbranch_scc1 .LBB117_55
; %bb.54:
	s_clause 0x1
	s_load_b128 s[4:7], s[0:1], 0x10
	s_load_b32 s2, s[0:1], 0xc8
	s_waitcnt lgkmcnt(0)
	v_mul_hi_u32 v3, s5, v4
	s_delay_alu instid0(VALU_DEP_1) | instskip(NEXT) | instid1(VALU_DEP_1)
	v_add_nc_u32_e32 v3, v4, v3
	v_lshrrev_b32_e32 v3, s6, v3
	s_delay_alu instid0(VALU_DEP_1) | instskip(NEXT) | instid1(VALU_DEP_1)
	v_mul_lo_u32 v3, v3, s4
	v_sub_nc_u32_e32 v5, v4, v3
	s_delay_alu instid0(VALU_DEP_1) | instskip(NEXT) | instid1(VALU_DEP_1)
	v_mad_u64_u32 v[3:4], null, v5, s2, v[2:3]
	v_mov_b32_e32 v2, v3
.LBB117_55:
	v_cmp_ne_u32_e32 vcc_lo, 1, v7
	v_add_nc_u32_e32 v4, 0x180, v6
	s_cbranch_vccnz .LBB117_61
; %bb.56:
	v_mov_b32_e32 v3, 0
	s_cmp_eq_u32 s18, 0
	s_mov_b32 s6, 0
	s_cbranch_scc1 .LBB117_65
; %bb.57:
	s_min_u32 s7, s19, 15
	v_mov_b32_e32 v3, 0
	s_add_i32 s7, s7, 1
	s_cmp_eq_u32 s19, 2
	s_mov_b32 s8, 0
	s_cbranch_scc1 .LBB117_62
; %bb.58:
	v_mov_b32_e32 v3, 0
	v_mov_b32_e32 v5, v4
	s_add_u32 s2, s0, 0xc4
	s_addc_u32 s3, s1, 0
	s_and_b32 s8, s7, 28
	s_mov_b32 s9, 0
	s_mov_b64 s[4:5], s[0:1]
.LBB117_59:                             ; =>This Inner Loop Header: Depth=1
	s_clause 0x1
	s_load_b256 s[20:27], s[4:5], 0x4
	s_load_b128 s[12:15], s[4:5], 0x24
	s_load_b128 s[28:31], s[2:3], 0x0
	s_add_u32 s4, s4, 48
	s_addc_u32 s5, s5, 0
	s_add_i32 s9, s9, 4
	s_add_u32 s2, s2, 16
	s_addc_u32 s3, s3, 0
	s_cmp_lg_u32 s8, s9
	s_waitcnt lgkmcnt(0)
	v_mul_hi_u32 v9, s21, v5
	s_delay_alu instid0(VALU_DEP_1) | instskip(NEXT) | instid1(VALU_DEP_1)
	v_add_nc_u32_e32 v9, v5, v9
	v_lshrrev_b32_e32 v9, s22, v9
	s_delay_alu instid0(VALU_DEP_1) | instskip(SKIP_1) | instid1(VALU_DEP_2)
	v_mul_hi_u32 v10, s24, v9
	v_mul_lo_u32 v13, v9, s20
	v_add_nc_u32_e32 v10, v9, v10
	s_delay_alu instid0(VALU_DEP_2) | instskip(NEXT) | instid1(VALU_DEP_2)
	v_sub_nc_u32_e32 v13, v5, v13
	v_lshrrev_b32_e32 v10, s25, v10
	s_delay_alu instid0(VALU_DEP_2) | instskip(NEXT) | instid1(VALU_DEP_2)
	v_mul_lo_u32 v13, v13, s28
	v_mul_hi_u32 v11, s27, v10
	v_mul_lo_u32 v14, v10, s23
	s_delay_alu instid0(VALU_DEP_2) | instskip(NEXT) | instid1(VALU_DEP_2)
	v_add_nc_u32_e32 v11, v10, v11
	v_sub_nc_u32_e32 v9, v9, v14
	s_delay_alu instid0(VALU_DEP_2) | instskip(NEXT) | instid1(VALU_DEP_2)
	v_lshrrev_b32_e32 v11, s12, v11
	v_mul_lo_u32 v9, v9, s29
	s_delay_alu instid0(VALU_DEP_2) | instskip(NEXT) | instid1(VALU_DEP_2)
	v_mul_hi_u32 v12, s14, v11
	v_add3_u32 v3, v13, v3, v9
	s_delay_alu instid0(VALU_DEP_2) | instskip(NEXT) | instid1(VALU_DEP_1)
	v_add_nc_u32_e32 v12, v11, v12
	v_lshrrev_b32_e32 v5, s15, v12
	v_mul_lo_u32 v12, v11, s26
	s_delay_alu instid0(VALU_DEP_2) | instskip(NEXT) | instid1(VALU_DEP_2)
	v_mul_lo_u32 v15, v5, s13
	v_sub_nc_u32_e32 v10, v10, v12
	s_delay_alu instid0(VALU_DEP_2) | instskip(NEXT) | instid1(VALU_DEP_2)
	v_sub_nc_u32_e32 v11, v11, v15
	v_mul_lo_u32 v10, v10, s30
	s_delay_alu instid0(VALU_DEP_2) | instskip(NEXT) | instid1(VALU_DEP_1)
	v_mul_lo_u32 v11, v11, s31
	v_add3_u32 v3, v10, v3, v11
	s_cbranch_scc1 .LBB117_59
; %bb.60:
	s_and_b32 s7, s7, 3
	s_delay_alu instid0(SALU_CYCLE_1)
	s_cmp_eq_u32 s7, 0
	s_cbranch_scc0 .LBB117_63
	s_branch .LBB117_65
.LBB117_61:
	s_mov_b32 s6, -1
                                        ; implicit-def: $vgpr3
	s_branch .LBB117_65
.LBB117_62:
	v_mov_b32_e32 v5, v4
	s_and_b32 s7, s7, 3
	s_delay_alu instid0(SALU_CYCLE_1)
	s_cmp_eq_u32 s7, 0
	s_cbranch_scc1 .LBB117_65
.LBB117_63:
	s_lshl_b32 s2, s8, 2
	s_mul_i32 s4, s8, 12
	s_add_u32 s2, s2, s0
	s_addc_u32 s3, 0, s1
	s_add_u32 s2, s2, 0xc4
	s_addc_u32 s3, s3, 0
	;; [unrolled: 2-line block ×3, first 2 shown]
	.p2align	6
.LBB117_64:                             ; =>This Inner Loop Header: Depth=1
	s_clause 0x1
	s_load_b64 s[8:9], s[4:5], 0x4
	s_load_b32 s10, s[4:5], 0xc
	s_add_u32 s4, s4, 12
	s_addc_u32 s5, s5, 0
	s_waitcnt lgkmcnt(0)
	v_mul_hi_u32 v9, s9, v5
	s_load_b32 s9, s[2:3], 0x0
	s_add_u32 s2, s2, 4
	s_addc_u32 s3, s3, 0
	s_add_i32 s7, s7, -1
	s_delay_alu instid0(SALU_CYCLE_1) | instskip(NEXT) | instid1(VALU_DEP_1)
	s_cmp_lg_u32 s7, 0
	v_add_nc_u32_e32 v9, v5, v9
	s_delay_alu instid0(VALU_DEP_1) | instskip(NEXT) | instid1(VALU_DEP_1)
	v_lshrrev_b32_e32 v11, s10, v9
	v_mul_lo_u32 v9, v11, s8
	s_delay_alu instid0(VALU_DEP_1) | instskip(SKIP_1) | instid1(VALU_DEP_1)
	v_sub_nc_u32_e32 v5, v5, v9
	s_waitcnt lgkmcnt(0)
	v_mad_u64_u32 v[9:10], null, v5, s9, v[3:4]
	v_mov_b32_e32 v5, v11
	s_delay_alu instid0(VALU_DEP_2)
	v_mov_b32_e32 v3, v9
	s_cbranch_scc1 .LBB117_64
.LBB117_65:
	s_and_not1_b32 vcc_lo, exec_lo, s6
	s_cbranch_vccnz .LBB117_68
; %bb.66:
	s_clause 0x1
	s_load_b128 s[4:7], s[0:1], 0x4
	s_load_b32 s2, s[0:1], 0xc4
	s_cmp_lt_u32 s18, 2
	s_waitcnt lgkmcnt(0)
	v_mul_hi_u32 v3, s5, v4
	s_delay_alu instid0(VALU_DEP_1) | instskip(NEXT) | instid1(VALU_DEP_1)
	v_add_nc_u32_e32 v3, v4, v3
	v_lshrrev_b32_e32 v5, s6, v3
	s_delay_alu instid0(VALU_DEP_1) | instskip(NEXT) | instid1(VALU_DEP_1)
	v_mul_lo_u32 v3, v5, s4
	v_sub_nc_u32_e32 v3, v4, v3
	s_delay_alu instid0(VALU_DEP_1)
	v_mul_lo_u32 v3, v3, s2
	s_cbranch_scc1 .LBB117_68
; %bb.67:
	s_clause 0x1
	s_load_b128 s[4:7], s[0:1], 0x10
	s_load_b32 s2, s[0:1], 0xc8
	s_waitcnt lgkmcnt(0)
	v_mul_hi_u32 v4, s5, v5
	s_delay_alu instid0(VALU_DEP_1) | instskip(NEXT) | instid1(VALU_DEP_1)
	v_add_nc_u32_e32 v4, v5, v4
	v_lshrrev_b32_e32 v4, s6, v4
	s_delay_alu instid0(VALU_DEP_1) | instskip(NEXT) | instid1(VALU_DEP_1)
	v_mul_lo_u32 v4, v4, s4
	v_sub_nc_u32_e32 v9, v5, v4
	s_delay_alu instid0(VALU_DEP_1) | instskip(NEXT) | instid1(VALU_DEP_1)
	v_mad_u64_u32 v[4:5], null, v9, s2, v[3:4]
	v_mov_b32_e32 v3, v4
.LBB117_68:
	v_cmp_ne_u32_e32 vcc_lo, 1, v7
	v_add_nc_u32_e32 v5, 0x200, v6
	s_cbranch_vccnz .LBB117_74
; %bb.69:
	v_mov_b32_e32 v4, 0
	s_cmp_eq_u32 s18, 0
	s_mov_b32 s6, 0
	s_cbranch_scc1 .LBB117_78
; %bb.70:
	s_min_u32 s7, s19, 15
	v_mov_b32_e32 v4, 0
	s_add_i32 s7, s7, 1
	s_cmp_eq_u32 s19, 2
	s_mov_b32 s8, 0
	s_cbranch_scc1 .LBB117_75
; %bb.71:
	v_dual_mov_b32 v4, 0 :: v_dual_mov_b32 v9, v5
	s_add_u32 s2, s0, 0xc4
	s_addc_u32 s3, s1, 0
	s_and_b32 s8, s7, 28
	s_mov_b32 s9, 0
	s_mov_b64 s[4:5], s[0:1]
.LBB117_72:                             ; =>This Inner Loop Header: Depth=1
	s_clause 0x1
	s_load_b256 s[20:27], s[4:5], 0x4
	s_load_b128 s[12:15], s[4:5], 0x24
	s_load_b128 s[28:31], s[2:3], 0x0
	s_add_u32 s4, s4, 48
	s_addc_u32 s5, s5, 0
	s_add_i32 s9, s9, 4
	s_add_u32 s2, s2, 16
	s_addc_u32 s3, s3, 0
	s_cmp_lg_u32 s8, s9
	s_waitcnt lgkmcnt(0)
	v_mul_hi_u32 v10, s21, v9
	s_delay_alu instid0(VALU_DEP_1) | instskip(NEXT) | instid1(VALU_DEP_1)
	v_add_nc_u32_e32 v10, v9, v10
	v_lshrrev_b32_e32 v10, s22, v10
	s_delay_alu instid0(VALU_DEP_1) | instskip(SKIP_1) | instid1(VALU_DEP_2)
	v_mul_hi_u32 v11, s24, v10
	v_mul_lo_u32 v14, v10, s20
	v_add_nc_u32_e32 v11, v10, v11
	s_delay_alu instid0(VALU_DEP_2) | instskip(NEXT) | instid1(VALU_DEP_2)
	v_sub_nc_u32_e32 v14, v9, v14
	v_lshrrev_b32_e32 v11, s25, v11
	s_delay_alu instid0(VALU_DEP_2) | instskip(NEXT) | instid1(VALU_DEP_2)
	v_mul_lo_u32 v14, v14, s28
	v_mul_hi_u32 v12, s27, v11
	v_mul_lo_u32 v15, v11, s23
	s_delay_alu instid0(VALU_DEP_2) | instskip(NEXT) | instid1(VALU_DEP_2)
	v_add_nc_u32_e32 v12, v11, v12
	v_sub_nc_u32_e32 v10, v10, v15
	s_delay_alu instid0(VALU_DEP_2) | instskip(NEXT) | instid1(VALU_DEP_2)
	v_lshrrev_b32_e32 v12, s12, v12
	v_mul_lo_u32 v10, v10, s29
	s_delay_alu instid0(VALU_DEP_2) | instskip(NEXT) | instid1(VALU_DEP_2)
	v_mul_hi_u32 v13, s14, v12
	v_add3_u32 v4, v14, v4, v10
	s_delay_alu instid0(VALU_DEP_2) | instskip(NEXT) | instid1(VALU_DEP_1)
	v_add_nc_u32_e32 v13, v12, v13
	v_lshrrev_b32_e32 v9, s15, v13
	v_mul_lo_u32 v13, v12, s26
	s_delay_alu instid0(VALU_DEP_2) | instskip(NEXT) | instid1(VALU_DEP_2)
	v_mul_lo_u32 v16, v9, s13
	v_sub_nc_u32_e32 v11, v11, v13
	s_delay_alu instid0(VALU_DEP_2) | instskip(NEXT) | instid1(VALU_DEP_2)
	v_sub_nc_u32_e32 v12, v12, v16
	v_mul_lo_u32 v11, v11, s30
	s_delay_alu instid0(VALU_DEP_2) | instskip(NEXT) | instid1(VALU_DEP_1)
	v_mul_lo_u32 v12, v12, s31
	v_add3_u32 v4, v11, v4, v12
	s_cbranch_scc1 .LBB117_72
; %bb.73:
	s_and_b32 s7, s7, 3
	s_delay_alu instid0(SALU_CYCLE_1)
	s_cmp_eq_u32 s7, 0
	s_cbranch_scc0 .LBB117_76
	s_branch .LBB117_78
.LBB117_74:
	s_mov_b32 s6, -1
                                        ; implicit-def: $vgpr4
	s_branch .LBB117_78
.LBB117_75:
	v_mov_b32_e32 v9, v5
	s_and_b32 s7, s7, 3
	s_delay_alu instid0(SALU_CYCLE_1)
	s_cmp_eq_u32 s7, 0
	s_cbranch_scc1 .LBB117_78
.LBB117_76:
	s_lshl_b32 s2, s8, 2
	s_mul_i32 s4, s8, 12
	s_add_u32 s2, s2, s0
	s_addc_u32 s3, 0, s1
	s_add_u32 s2, s2, 0xc4
	s_addc_u32 s3, s3, 0
	;; [unrolled: 2-line block ×3, first 2 shown]
	.p2align	6
.LBB117_77:                             ; =>This Inner Loop Header: Depth=1
	s_clause 0x1
	s_load_b64 s[8:9], s[4:5], 0x4
	s_load_b32 s10, s[4:5], 0xc
	s_add_u32 s4, s4, 12
	s_addc_u32 s5, s5, 0
	s_waitcnt lgkmcnt(0)
	v_mul_hi_u32 v10, s9, v9
	s_load_b32 s9, s[2:3], 0x0
	s_add_u32 s2, s2, 4
	s_addc_u32 s3, s3, 0
	s_add_i32 s7, s7, -1
	s_delay_alu instid0(SALU_CYCLE_1) | instskip(NEXT) | instid1(VALU_DEP_1)
	s_cmp_lg_u32 s7, 0
	v_add_nc_u32_e32 v10, v9, v10
	s_delay_alu instid0(VALU_DEP_1) | instskip(NEXT) | instid1(VALU_DEP_1)
	v_lshrrev_b32_e32 v12, s10, v10
	v_mul_lo_u32 v10, v12, s8
	s_delay_alu instid0(VALU_DEP_1) | instskip(SKIP_1) | instid1(VALU_DEP_1)
	v_sub_nc_u32_e32 v9, v9, v10
	s_waitcnt lgkmcnt(0)
	v_mad_u64_u32 v[10:11], null, v9, s9, v[4:5]
	s_delay_alu instid0(VALU_DEP_1)
	v_dual_mov_b32 v9, v12 :: v_dual_mov_b32 v4, v10
	s_cbranch_scc1 .LBB117_77
.LBB117_78:
	s_and_not1_b32 vcc_lo, exec_lo, s6
	s_cbranch_vccnz .LBB117_81
; %bb.79:
	s_clause 0x1
	s_load_b128 s[4:7], s[0:1], 0x4
	s_load_b32 s2, s[0:1], 0xc4
	s_cmp_lt_u32 s18, 2
	s_waitcnt lgkmcnt(0)
	v_mul_hi_u32 v4, s5, v5
	s_delay_alu instid0(VALU_DEP_1) | instskip(NEXT) | instid1(VALU_DEP_1)
	v_add_nc_u32_e32 v4, v5, v4
	v_lshrrev_b32_e32 v9, s6, v4
	s_delay_alu instid0(VALU_DEP_1) | instskip(NEXT) | instid1(VALU_DEP_1)
	v_mul_lo_u32 v4, v9, s4
	v_sub_nc_u32_e32 v4, v5, v4
	s_delay_alu instid0(VALU_DEP_1)
	v_mul_lo_u32 v4, v4, s2
	s_cbranch_scc1 .LBB117_81
; %bb.80:
	s_clause 0x1
	s_load_b128 s[4:7], s[0:1], 0x10
	s_load_b32 s2, s[0:1], 0xc8
	s_waitcnt lgkmcnt(0)
	v_mul_hi_u32 v5, s5, v9
	s_delay_alu instid0(VALU_DEP_1) | instskip(NEXT) | instid1(VALU_DEP_1)
	v_add_nc_u32_e32 v5, v9, v5
	v_lshrrev_b32_e32 v5, s6, v5
	s_delay_alu instid0(VALU_DEP_1) | instskip(NEXT) | instid1(VALU_DEP_1)
	v_mul_lo_u32 v5, v5, s4
	v_sub_nc_u32_e32 v5, v9, v5
	s_delay_alu instid0(VALU_DEP_1) | instskip(NEXT) | instid1(VALU_DEP_1)
	v_mad_u64_u32 v[9:10], null, v5, s2, v[4:5]
	v_mov_b32_e32 v4, v9
.LBB117_81:
	v_cmp_ne_u32_e32 vcc_lo, 1, v7
	v_add_nc_u32_e32 v9, 0x280, v6
	s_cbranch_vccnz .LBB117_87
; %bb.82:
	v_mov_b32_e32 v5, 0
	s_cmp_eq_u32 s18, 0
	s_mov_b32 s6, 0
	s_cbranch_scc1 .LBB117_91
; %bb.83:
	s_min_u32 s7, s19, 15
	v_mov_b32_e32 v5, 0
	s_add_i32 s7, s7, 1
	s_cmp_eq_u32 s19, 2
	s_mov_b32 s8, 0
	s_cbranch_scc1 .LBB117_88
; %bb.84:
	v_dual_mov_b32 v5, 0 :: v_dual_mov_b32 v10, v9
	s_add_u32 s2, s0, 0xc4
	s_addc_u32 s3, s1, 0
	s_and_b32 s8, s7, 28
	s_mov_b32 s9, 0
	s_mov_b64 s[4:5], s[0:1]
.LBB117_85:                             ; =>This Inner Loop Header: Depth=1
	s_clause 0x1
	s_load_b256 s[20:27], s[4:5], 0x4
	s_load_b128 s[12:15], s[4:5], 0x24
	s_load_b128 s[28:31], s[2:3], 0x0
	s_add_u32 s4, s4, 48
	s_addc_u32 s5, s5, 0
	s_add_i32 s9, s9, 4
	s_add_u32 s2, s2, 16
	s_addc_u32 s3, s3, 0
	s_cmp_lg_u32 s8, s9
	s_waitcnt lgkmcnt(0)
	v_mul_hi_u32 v11, s21, v10
	s_delay_alu instid0(VALU_DEP_1) | instskip(NEXT) | instid1(VALU_DEP_1)
	v_add_nc_u32_e32 v11, v10, v11
	v_lshrrev_b32_e32 v11, s22, v11
	s_delay_alu instid0(VALU_DEP_1) | instskip(SKIP_1) | instid1(VALU_DEP_2)
	v_mul_hi_u32 v12, s24, v11
	v_mul_lo_u32 v15, v11, s20
	v_add_nc_u32_e32 v12, v11, v12
	s_delay_alu instid0(VALU_DEP_2) | instskip(NEXT) | instid1(VALU_DEP_2)
	v_sub_nc_u32_e32 v15, v10, v15
	v_lshrrev_b32_e32 v12, s25, v12
	s_delay_alu instid0(VALU_DEP_2) | instskip(NEXT) | instid1(VALU_DEP_2)
	v_mul_lo_u32 v15, v15, s28
	v_mul_hi_u32 v13, s27, v12
	v_mul_lo_u32 v16, v12, s23
	s_delay_alu instid0(VALU_DEP_2) | instskip(NEXT) | instid1(VALU_DEP_2)
	v_add_nc_u32_e32 v13, v12, v13
	v_sub_nc_u32_e32 v11, v11, v16
	s_delay_alu instid0(VALU_DEP_2) | instskip(NEXT) | instid1(VALU_DEP_2)
	v_lshrrev_b32_e32 v13, s12, v13
	v_mul_lo_u32 v11, v11, s29
	s_delay_alu instid0(VALU_DEP_2) | instskip(NEXT) | instid1(VALU_DEP_2)
	v_mul_hi_u32 v14, s14, v13
	v_add3_u32 v5, v15, v5, v11
	s_delay_alu instid0(VALU_DEP_2) | instskip(NEXT) | instid1(VALU_DEP_1)
	v_add_nc_u32_e32 v14, v13, v14
	v_lshrrev_b32_e32 v10, s15, v14
	v_mul_lo_u32 v14, v13, s26
	s_delay_alu instid0(VALU_DEP_2) | instskip(NEXT) | instid1(VALU_DEP_2)
	v_mul_lo_u32 v17, v10, s13
	v_sub_nc_u32_e32 v12, v12, v14
	s_delay_alu instid0(VALU_DEP_2) | instskip(NEXT) | instid1(VALU_DEP_2)
	v_sub_nc_u32_e32 v13, v13, v17
	v_mul_lo_u32 v12, v12, s30
	s_delay_alu instid0(VALU_DEP_2) | instskip(NEXT) | instid1(VALU_DEP_1)
	v_mul_lo_u32 v13, v13, s31
	v_add3_u32 v5, v12, v5, v13
	s_cbranch_scc1 .LBB117_85
; %bb.86:
	s_and_b32 s7, s7, 3
	s_delay_alu instid0(SALU_CYCLE_1)
	s_cmp_eq_u32 s7, 0
	s_cbranch_scc0 .LBB117_89
	s_branch .LBB117_91
.LBB117_87:
	s_mov_b32 s6, -1
                                        ; implicit-def: $vgpr5
	s_branch .LBB117_91
.LBB117_88:
	v_mov_b32_e32 v10, v9
	s_and_b32 s7, s7, 3
	s_delay_alu instid0(SALU_CYCLE_1)
	s_cmp_eq_u32 s7, 0
	s_cbranch_scc1 .LBB117_91
.LBB117_89:
	s_lshl_b32 s2, s8, 2
	s_mul_i32 s4, s8, 12
	s_add_u32 s2, s2, s0
	s_addc_u32 s3, 0, s1
	s_add_u32 s2, s2, 0xc4
	s_addc_u32 s3, s3, 0
	;; [unrolled: 2-line block ×3, first 2 shown]
	.p2align	6
.LBB117_90:                             ; =>This Inner Loop Header: Depth=1
	s_clause 0x1
	s_load_b64 s[8:9], s[4:5], 0x4
	s_load_b32 s10, s[4:5], 0xc
	s_add_u32 s4, s4, 12
	s_addc_u32 s5, s5, 0
	s_waitcnt lgkmcnt(0)
	v_mul_hi_u32 v11, s9, v10
	s_load_b32 s9, s[2:3], 0x0
	s_add_u32 s2, s2, 4
	s_addc_u32 s3, s3, 0
	s_add_i32 s7, s7, -1
	s_delay_alu instid0(SALU_CYCLE_1) | instskip(NEXT) | instid1(VALU_DEP_1)
	s_cmp_lg_u32 s7, 0
	v_add_nc_u32_e32 v11, v10, v11
	s_delay_alu instid0(VALU_DEP_1) | instskip(NEXT) | instid1(VALU_DEP_1)
	v_lshrrev_b32_e32 v13, s10, v11
	v_mul_lo_u32 v11, v13, s8
	s_delay_alu instid0(VALU_DEP_1) | instskip(SKIP_1) | instid1(VALU_DEP_1)
	v_sub_nc_u32_e32 v10, v10, v11
	s_waitcnt lgkmcnt(0)
	v_mad_u64_u32 v[11:12], null, v10, s9, v[5:6]
	s_delay_alu instid0(VALU_DEP_1)
	v_dual_mov_b32 v10, v13 :: v_dual_mov_b32 v5, v11
	s_cbranch_scc1 .LBB117_90
.LBB117_91:
	s_and_not1_b32 vcc_lo, exec_lo, s6
	s_cbranch_vccnz .LBB117_94
; %bb.92:
	s_clause 0x1
	s_load_b128 s[4:7], s[0:1], 0x4
	s_load_b32 s2, s[0:1], 0xc4
	s_cmp_lt_u32 s18, 2
	s_waitcnt lgkmcnt(0)
	v_mul_hi_u32 v5, s5, v9
	s_delay_alu instid0(VALU_DEP_1) | instskip(NEXT) | instid1(VALU_DEP_1)
	v_add_nc_u32_e32 v5, v9, v5
	v_lshrrev_b32_e32 v10, s6, v5
	s_delay_alu instid0(VALU_DEP_1) | instskip(NEXT) | instid1(VALU_DEP_1)
	v_mul_lo_u32 v5, v10, s4
	v_sub_nc_u32_e32 v5, v9, v5
	s_delay_alu instid0(VALU_DEP_1)
	v_mul_lo_u32 v5, v5, s2
	s_cbranch_scc1 .LBB117_94
; %bb.93:
	s_clause 0x1
	s_load_b128 s[4:7], s[0:1], 0x10
	s_load_b32 s2, s[0:1], 0xc8
	s_waitcnt lgkmcnt(0)
	v_mul_hi_u32 v9, s5, v10
	s_delay_alu instid0(VALU_DEP_1) | instskip(NEXT) | instid1(VALU_DEP_1)
	v_add_nc_u32_e32 v9, v10, v9
	v_lshrrev_b32_e32 v9, s6, v9
	s_delay_alu instid0(VALU_DEP_1) | instskip(NEXT) | instid1(VALU_DEP_1)
	v_mul_lo_u32 v9, v9, s4
	v_sub_nc_u32_e32 v11, v10, v9
	s_delay_alu instid0(VALU_DEP_1) | instskip(NEXT) | instid1(VALU_DEP_1)
	v_mad_u64_u32 v[9:10], null, v11, s2, v[5:6]
	v_mov_b32_e32 v5, v9
.LBB117_94:
	v_cmp_ne_u32_e32 vcc_lo, 1, v7
	v_add_nc_u32_e32 v9, 0x300, v6
	s_cbranch_vccnz .LBB117_100
; %bb.95:
	v_mov_b32_e32 v6, 0
	s_cmp_eq_u32 s18, 0
	s_mov_b32 s6, 0
	s_cbranch_scc1 .LBB117_104
; %bb.96:
	s_min_u32 s7, s19, 15
	v_mov_b32_e32 v6, 0
	s_add_i32 s7, s7, 1
	s_cmp_eq_u32 s19, 2
	s_mov_b32 s8, 0
	s_cbranch_scc1 .LBB117_101
; %bb.97:
	v_mov_b32_e32 v6, 0
	v_mov_b32_e32 v10, v9
	s_add_u32 s2, s0, 0xc4
	s_addc_u32 s3, s1, 0
	s_and_b32 s8, s7, 28
	s_mov_b32 s9, 0
	s_mov_b64 s[4:5], s[0:1]
.LBB117_98:                             ; =>This Inner Loop Header: Depth=1
	s_clause 0x1
	s_load_b256 s[20:27], s[4:5], 0x4
	s_load_b128 s[12:15], s[4:5], 0x24
	s_load_b128 s[28:31], s[2:3], 0x0
	s_add_u32 s4, s4, 48
	s_addc_u32 s5, s5, 0
	s_add_i32 s9, s9, 4
	s_add_u32 s2, s2, 16
	s_addc_u32 s3, s3, 0
	s_cmp_lg_u32 s8, s9
	s_waitcnt lgkmcnt(0)
	v_mul_hi_u32 v11, s21, v10
	s_delay_alu instid0(VALU_DEP_1) | instskip(NEXT) | instid1(VALU_DEP_1)
	v_add_nc_u32_e32 v11, v10, v11
	v_lshrrev_b32_e32 v11, s22, v11
	s_delay_alu instid0(VALU_DEP_1) | instskip(SKIP_1) | instid1(VALU_DEP_2)
	v_mul_hi_u32 v12, s24, v11
	v_mul_lo_u32 v15, v11, s20
	v_add_nc_u32_e32 v12, v11, v12
	s_delay_alu instid0(VALU_DEP_2) | instskip(NEXT) | instid1(VALU_DEP_2)
	v_sub_nc_u32_e32 v15, v10, v15
	v_lshrrev_b32_e32 v12, s25, v12
	s_delay_alu instid0(VALU_DEP_2) | instskip(NEXT) | instid1(VALU_DEP_2)
	v_mul_lo_u32 v15, v15, s28
	v_mul_hi_u32 v13, s27, v12
	v_mul_lo_u32 v16, v12, s23
	s_delay_alu instid0(VALU_DEP_2) | instskip(NEXT) | instid1(VALU_DEP_2)
	v_add_nc_u32_e32 v13, v12, v13
	v_sub_nc_u32_e32 v11, v11, v16
	s_delay_alu instid0(VALU_DEP_2) | instskip(NEXT) | instid1(VALU_DEP_2)
	v_lshrrev_b32_e32 v13, s12, v13
	v_mul_lo_u32 v11, v11, s29
	s_delay_alu instid0(VALU_DEP_2) | instskip(NEXT) | instid1(VALU_DEP_2)
	v_mul_hi_u32 v14, s14, v13
	v_add3_u32 v6, v15, v6, v11
	s_delay_alu instid0(VALU_DEP_2) | instskip(NEXT) | instid1(VALU_DEP_1)
	v_add_nc_u32_e32 v14, v13, v14
	v_lshrrev_b32_e32 v10, s15, v14
	v_mul_lo_u32 v14, v13, s26
	s_delay_alu instid0(VALU_DEP_2) | instskip(NEXT) | instid1(VALU_DEP_2)
	v_mul_lo_u32 v17, v10, s13
	v_sub_nc_u32_e32 v12, v12, v14
	s_delay_alu instid0(VALU_DEP_2) | instskip(NEXT) | instid1(VALU_DEP_2)
	v_sub_nc_u32_e32 v13, v13, v17
	v_mul_lo_u32 v12, v12, s30
	s_delay_alu instid0(VALU_DEP_2) | instskip(NEXT) | instid1(VALU_DEP_1)
	v_mul_lo_u32 v13, v13, s31
	v_add3_u32 v6, v12, v6, v13
	s_cbranch_scc1 .LBB117_98
; %bb.99:
	s_and_b32 s7, s7, 3
	s_delay_alu instid0(SALU_CYCLE_1)
	s_cmp_eq_u32 s7, 0
	s_cbranch_scc0 .LBB117_102
	s_branch .LBB117_104
.LBB117_100:
	s_mov_b32 s6, -1
                                        ; implicit-def: $vgpr6
	s_branch .LBB117_104
.LBB117_101:
	v_mov_b32_e32 v10, v9
	s_and_b32 s7, s7, 3
	s_delay_alu instid0(SALU_CYCLE_1)
	s_cmp_eq_u32 s7, 0
	s_cbranch_scc1 .LBB117_104
.LBB117_102:
	s_lshl_b32 s2, s8, 2
	s_mul_i32 s4, s8, 12
	s_add_u32 s2, s2, s0
	s_addc_u32 s3, 0, s1
	s_add_u32 s2, s2, 0xc4
	s_addc_u32 s3, s3, 0
	;; [unrolled: 2-line block ×3, first 2 shown]
	.p2align	6
.LBB117_103:                            ; =>This Inner Loop Header: Depth=1
	s_clause 0x1
	s_load_b64 s[8:9], s[4:5], 0x4
	s_load_b32 s10, s[4:5], 0xc
	s_add_u32 s4, s4, 12
	s_addc_u32 s5, s5, 0
	s_waitcnt lgkmcnt(0)
	v_mul_hi_u32 v11, s9, v10
	s_load_b32 s9, s[2:3], 0x0
	s_add_u32 s2, s2, 4
	s_addc_u32 s3, s3, 0
	s_add_i32 s7, s7, -1
	s_delay_alu instid0(SALU_CYCLE_1) | instskip(NEXT) | instid1(VALU_DEP_1)
	s_cmp_lg_u32 s7, 0
	v_add_nc_u32_e32 v11, v10, v11
	s_delay_alu instid0(VALU_DEP_1) | instskip(NEXT) | instid1(VALU_DEP_1)
	v_lshrrev_b32_e32 v13, s10, v11
	v_mul_lo_u32 v11, v13, s8
	s_delay_alu instid0(VALU_DEP_1) | instskip(SKIP_1) | instid1(VALU_DEP_1)
	v_sub_nc_u32_e32 v10, v10, v11
	s_waitcnt lgkmcnt(0)
	v_mad_u64_u32 v[11:12], null, v10, s9, v[6:7]
	v_mov_b32_e32 v10, v13
	s_delay_alu instid0(VALU_DEP_2)
	v_mov_b32_e32 v6, v11
	s_cbranch_scc1 .LBB117_103
.LBB117_104:
	s_and_not1_b32 vcc_lo, exec_lo, s6
	s_cbranch_vccnz .LBB117_107
; %bb.105:
	s_clause 0x1
	s_load_b128 s[4:7], s[0:1], 0x4
	s_load_b32 s2, s[0:1], 0xc4
	s_cmp_lt_u32 s18, 2
	s_waitcnt lgkmcnt(0)
	v_mul_hi_u32 v6, s5, v9
	s_delay_alu instid0(VALU_DEP_1) | instskip(NEXT) | instid1(VALU_DEP_1)
	v_add_nc_u32_e32 v6, v9, v6
	v_lshrrev_b32_e32 v10, s6, v6
	s_delay_alu instid0(VALU_DEP_1) | instskip(NEXT) | instid1(VALU_DEP_1)
	v_mul_lo_u32 v6, v10, s4
	v_sub_nc_u32_e32 v6, v9, v6
	s_delay_alu instid0(VALU_DEP_1)
	v_mul_lo_u32 v6, v6, s2
	s_cbranch_scc1 .LBB117_107
; %bb.106:
	s_clause 0x1
	s_load_b128 s[4:7], s[0:1], 0x10
	s_load_b32 s2, s[0:1], 0xc8
	s_waitcnt lgkmcnt(0)
	v_mul_hi_u32 v9, s5, v10
	s_delay_alu instid0(VALU_DEP_1) | instskip(NEXT) | instid1(VALU_DEP_1)
	v_add_nc_u32_e32 v9, v10, v9
	v_lshrrev_b32_e32 v9, s6, v9
	s_delay_alu instid0(VALU_DEP_1) | instskip(NEXT) | instid1(VALU_DEP_1)
	v_mul_lo_u32 v9, v9, s4
	v_sub_nc_u32_e32 v11, v10, v9
	s_delay_alu instid0(VALU_DEP_1) | instskip(NEXT) | instid1(VALU_DEP_1)
	v_mad_u64_u32 v[9:10], null, v11, s2, v[6:7]
	v_mov_b32_e32 v6, v9
.LBB117_107:
	v_cmp_ne_u32_e32 vcc_lo, 1, v7
	s_cbranch_vccnz .LBB117_113
; %bb.108:
	v_mov_b32_e32 v7, 0
	s_cmp_eq_u32 s18, 0
	s_mov_b32 s6, 0
	s_cbranch_scc1 .LBB117_117
; %bb.109:
	s_min_u32 s7, s19, 15
	v_mov_b32_e32 v7, 0
	s_add_i32 s7, s7, 1
	s_cmp_eq_u32 s19, 2
	s_mov_b32 s8, 0
	s_cbranch_scc1 .LBB117_114
; %bb.110:
	v_mov_b32_e32 v7, 0
	v_mov_b32_e32 v9, v8
	s_add_u32 s2, s0, 0xc4
	s_addc_u32 s3, s1, 0
	s_and_b32 s8, s7, 28
	s_mov_b32 s9, 0
	s_mov_b64 s[4:5], s[0:1]
.LBB117_111:                            ; =>This Inner Loop Header: Depth=1
	s_clause 0x1
	s_load_b256 s[20:27], s[4:5], 0x4
	s_load_b128 s[12:15], s[4:5], 0x24
	s_load_b128 s[28:31], s[2:3], 0x0
	s_add_u32 s4, s4, 48
	s_addc_u32 s5, s5, 0
	s_add_i32 s9, s9, 4
	s_add_u32 s2, s2, 16
	s_addc_u32 s3, s3, 0
	s_cmp_lg_u32 s8, s9
	s_waitcnt lgkmcnt(0)
	v_mul_hi_u32 v10, s21, v9
	s_delay_alu instid0(VALU_DEP_1) | instskip(NEXT) | instid1(VALU_DEP_1)
	v_add_nc_u32_e32 v10, v9, v10
	v_lshrrev_b32_e32 v10, s22, v10
	s_delay_alu instid0(VALU_DEP_1) | instskip(SKIP_1) | instid1(VALU_DEP_2)
	v_mul_hi_u32 v11, s24, v10
	v_mul_lo_u32 v14, v10, s20
	v_add_nc_u32_e32 v11, v10, v11
	s_delay_alu instid0(VALU_DEP_2) | instskip(NEXT) | instid1(VALU_DEP_2)
	v_sub_nc_u32_e32 v14, v9, v14
	v_lshrrev_b32_e32 v11, s25, v11
	s_delay_alu instid0(VALU_DEP_2) | instskip(NEXT) | instid1(VALU_DEP_2)
	v_mul_lo_u32 v14, v14, s28
	v_mul_hi_u32 v12, s27, v11
	v_mul_lo_u32 v15, v11, s23
	s_delay_alu instid0(VALU_DEP_2) | instskip(NEXT) | instid1(VALU_DEP_2)
	v_add_nc_u32_e32 v12, v11, v12
	v_sub_nc_u32_e32 v10, v10, v15
	s_delay_alu instid0(VALU_DEP_2) | instskip(NEXT) | instid1(VALU_DEP_2)
	v_lshrrev_b32_e32 v12, s12, v12
	v_mul_lo_u32 v10, v10, s29
	s_delay_alu instid0(VALU_DEP_2) | instskip(NEXT) | instid1(VALU_DEP_2)
	v_mul_hi_u32 v13, s14, v12
	v_add3_u32 v7, v14, v7, v10
	s_delay_alu instid0(VALU_DEP_2) | instskip(NEXT) | instid1(VALU_DEP_1)
	v_add_nc_u32_e32 v13, v12, v13
	v_lshrrev_b32_e32 v9, s15, v13
	v_mul_lo_u32 v13, v12, s26
	s_delay_alu instid0(VALU_DEP_2) | instskip(NEXT) | instid1(VALU_DEP_2)
	v_mul_lo_u32 v16, v9, s13
	v_sub_nc_u32_e32 v11, v11, v13
	s_delay_alu instid0(VALU_DEP_2) | instskip(NEXT) | instid1(VALU_DEP_2)
	v_sub_nc_u32_e32 v12, v12, v16
	v_mul_lo_u32 v11, v11, s30
	s_delay_alu instid0(VALU_DEP_2) | instskip(NEXT) | instid1(VALU_DEP_1)
	v_mul_lo_u32 v12, v12, s31
	v_add3_u32 v7, v11, v7, v12
	s_cbranch_scc1 .LBB117_111
; %bb.112:
	s_and_b32 s7, s7, 3
	s_delay_alu instid0(SALU_CYCLE_1)
	s_cmp_eq_u32 s7, 0
	s_cbranch_scc0 .LBB117_115
	s_branch .LBB117_117
.LBB117_113:
	s_mov_b32 s6, -1
                                        ; implicit-def: $vgpr7
	s_branch .LBB117_117
.LBB117_114:
	v_mov_b32_e32 v9, v8
	s_and_b32 s7, s7, 3
	s_delay_alu instid0(SALU_CYCLE_1)
	s_cmp_eq_u32 s7, 0
	s_cbranch_scc1 .LBB117_117
.LBB117_115:
	s_lshl_b32 s2, s8, 2
	s_mul_i32 s4, s8, 12
	s_add_u32 s2, s2, s0
	s_addc_u32 s3, 0, s1
	s_add_u32 s2, s2, 0xc4
	s_addc_u32 s3, s3, 0
	;; [unrolled: 2-line block ×3, first 2 shown]
	.p2align	6
.LBB117_116:                            ; =>This Inner Loop Header: Depth=1
	s_clause 0x1
	s_load_b64 s[8:9], s[4:5], 0x4
	s_load_b32 s10, s[4:5], 0xc
	s_add_u32 s4, s4, 12
	s_addc_u32 s5, s5, 0
	s_waitcnt lgkmcnt(0)
	v_mul_hi_u32 v10, s9, v9
	s_load_b32 s9, s[2:3], 0x0
	s_add_u32 s2, s2, 4
	s_addc_u32 s3, s3, 0
	s_add_i32 s7, s7, -1
	s_delay_alu instid0(SALU_CYCLE_1) | instskip(NEXT) | instid1(VALU_DEP_1)
	s_cmp_lg_u32 s7, 0
	v_add_nc_u32_e32 v10, v9, v10
	s_delay_alu instid0(VALU_DEP_1) | instskip(NEXT) | instid1(VALU_DEP_1)
	v_lshrrev_b32_e32 v12, s10, v10
	v_mul_lo_u32 v10, v12, s8
	s_delay_alu instid0(VALU_DEP_1) | instskip(SKIP_1) | instid1(VALU_DEP_1)
	v_sub_nc_u32_e32 v9, v9, v10
	s_waitcnt lgkmcnt(0)
	v_mad_u64_u32 v[10:11], null, v9, s9, v[7:8]
	v_mov_b32_e32 v9, v12
	s_delay_alu instid0(VALU_DEP_2)
	v_mov_b32_e32 v7, v10
	s_cbranch_scc1 .LBB117_116
.LBB117_117:
	s_and_not1_b32 vcc_lo, exec_lo, s6
	s_cbranch_vccnz .LBB117_120
; %bb.118:
	s_clause 0x1
	s_load_b128 s[4:7], s[0:1], 0x4
	s_load_b32 s2, s[0:1], 0xc4
	s_cmp_lt_u32 s18, 2
	s_waitcnt lgkmcnt(0)
	v_mul_hi_u32 v7, s5, v8
	s_delay_alu instid0(VALU_DEP_1) | instskip(NEXT) | instid1(VALU_DEP_1)
	v_add_nc_u32_e32 v7, v8, v7
	v_lshrrev_b32_e32 v9, s6, v7
	s_delay_alu instid0(VALU_DEP_1) | instskip(NEXT) | instid1(VALU_DEP_1)
	v_mul_lo_u32 v7, v9, s4
	v_sub_nc_u32_e32 v7, v8, v7
	s_delay_alu instid0(VALU_DEP_1)
	v_mul_lo_u32 v7, v7, s2
	s_cbranch_scc1 .LBB117_120
; %bb.119:
	s_clause 0x1
	s_load_b128 s[4:7], s[0:1], 0x10
	s_load_b32 s2, s[0:1], 0xc8
	s_waitcnt lgkmcnt(0)
	v_mul_hi_u32 v8, s5, v9
	s_delay_alu instid0(VALU_DEP_1) | instskip(NEXT) | instid1(VALU_DEP_1)
	v_add_nc_u32_e32 v8, v9, v8
	v_lshrrev_b32_e32 v8, s6, v8
	s_delay_alu instid0(VALU_DEP_1) | instskip(NEXT) | instid1(VALU_DEP_1)
	v_mul_lo_u32 v8, v8, s4
	v_sub_nc_u32_e32 v10, v9, v8
	s_delay_alu instid0(VALU_DEP_1) | instskip(NEXT) | instid1(VALU_DEP_1)
	v_mad_u64_u32 v[8:9], null, v10, s2, v[7:8]
	v_mov_b32_e32 v7, v8
.LBB117_120:
	s_clause 0x1
	s_load_b32 s2, s[0:1], 0x110
	s_load_b64 s[0:1], s[0:1], 0x108
	s_waitcnt lgkmcnt(0)
	v_mov_b32_e32 v8, s2
	s_clause 0x7
	global_store_b8 v0, v8, s[0:1]
	global_store_b8 v1, v8, s[0:1]
	;; [unrolled: 1-line block ×8, first 2 shown]
	s_nop 0
	s_sendmsg sendmsg(MSG_DEALLOC_VGPRS)
	s_endpgm
.LBB117_121:
	v_mov_b32_e32 v1, v6
.LBB117_122:
	s_and_b32 s29, s29, 3
	s_delay_alu instid0(SALU_CYCLE_1)
	s_cmp_eq_u32 s29, 0
	s_cbranch_scc1 .LBB117_125
; %bb.123:
	s_lshl_b32 s14, s28, 2
	s_mul_i32 s16, s28, 12
	s_add_u32 s14, s14, s0
	s_addc_u32 s15, s1, 0
	s_add_u32 s14, s14, 0xc4
	s_addc_u32 s15, s15, 0
	;; [unrolled: 2-line block ×3, first 2 shown]
	.p2align	6
.LBB117_124:                            ; =>This Inner Loop Header: Depth=1
	s_clause 0x1
	s_load_b64 s[30:31], s[16:17], 0x4
	s_load_b32 s28, s[16:17], 0xc
	s_add_u32 s16, s16, 12
	s_addc_u32 s17, s17, 0
	s_waitcnt lgkmcnt(0)
	v_mul_hi_u32 v2, s31, v1
	s_load_b32 s31, s[14:15], 0x0
	s_add_u32 s14, s14, 4
	s_addc_u32 s15, s15, 0
	s_add_i32 s29, s29, -1
	s_delay_alu instid0(SALU_CYCLE_1) | instskip(NEXT) | instid1(VALU_DEP_1)
	s_cmp_lg_u32 s29, 0
	v_add_nc_u32_e32 v2, v1, v2
	s_delay_alu instid0(VALU_DEP_1) | instskip(NEXT) | instid1(VALU_DEP_1)
	v_lshrrev_b32_e32 v4, s28, v2
	v_mul_lo_u32 v2, v4, s30
	s_delay_alu instid0(VALU_DEP_1) | instskip(SKIP_1) | instid1(VALU_DEP_1)
	v_sub_nc_u32_e32 v1, v1, v2
	s_waitcnt lgkmcnt(0)
	v_mad_u64_u32 v[2:3], null, v1, s31, v[0:1]
	s_delay_alu instid0(VALU_DEP_1)
	v_dual_mov_b32 v1, v4 :: v_dual_mov_b32 v0, v2
	s_cbranch_scc1 .LBB117_124
.LBB117_125:
	s_cbranch_execnz .LBB117_128
.LBB117_126:
	s_waitcnt lgkmcnt(0)
	v_mul_hi_u32 v0, s5, v6
	s_and_not1_b32 vcc_lo, exec_lo, s23
	s_delay_alu instid0(VALU_DEP_1) | instskip(NEXT) | instid1(VALU_DEP_1)
	v_add_nc_u32_e32 v0, v6, v0
	v_lshrrev_b32_e32 v1, s6, v0
	s_delay_alu instid0(VALU_DEP_1) | instskip(NEXT) | instid1(VALU_DEP_1)
	v_mul_lo_u32 v0, v1, s4
	v_sub_nc_u32_e32 v0, v6, v0
	s_delay_alu instid0(VALU_DEP_1)
	v_mul_lo_u32 v0, v0, s8
	s_cbranch_vccnz .LBB117_128
; %bb.127:
	v_mul_hi_u32 v2, s10, v1
	s_delay_alu instid0(VALU_DEP_1) | instskip(NEXT) | instid1(VALU_DEP_1)
	v_add_nc_u32_e32 v2, v1, v2
	v_lshrrev_b32_e32 v2, s11, v2
	s_delay_alu instid0(VALU_DEP_1) | instskip(NEXT) | instid1(VALU_DEP_1)
	v_mul_lo_u32 v2, v2, s7
	v_sub_nc_u32_e32 v3, v1, v2
	s_delay_alu instid0(VALU_DEP_1) | instskip(NEXT) | instid1(VALU_DEP_1)
	v_mad_u64_u32 v[1:2], null, v3, s9, v[0:1]
	v_mov_b32_e32 v0, v1
.LBB117_128:
	s_waitcnt lgkmcnt(0)
	v_dual_mov_b32 v1, s22 :: v_dual_add_nc_u32 v6, 0x80, v6
	global_store_b8 v0, v1, s[2:3]
	s_or_b32 exec_lo, exec_lo, s27
	s_delay_alu instid0(SALU_CYCLE_1)
	s_mov_b32 s27, exec_lo
	v_cmpx_gt_i32_e64 s24, v6
	s_cbranch_execnz .LBB117_15
.LBB117_129:
	s_or_b32 exec_lo, exec_lo, s27
	s_delay_alu instid0(SALU_CYCLE_1)
	s_mov_b32 s27, exec_lo
	v_cmpx_gt_i32_e64 s24, v6
	s_cbranch_execz .LBB117_144
.LBB117_130:
	s_and_not1_b32 vcc_lo, exec_lo, s20
	s_cbranch_vccnz .LBB117_135
; %bb.131:
	v_mov_b32_e32 v0, 0
	s_and_not1_b32 vcc_lo, exec_lo, s26
	s_cbranch_vccnz .LBB117_155
; %bb.132:
	s_add_i32 s29, s25, 1
	s_cmp_eq_u32 s19, 2
	s_mov_b32 s28, 0
	s_cbranch_scc1 .LBB117_151
; %bb.133:
	v_dual_mov_b32 v0, 0 :: v_dual_mov_b32 v1, v6
	s_and_b32 s28, s29, 28
	s_mov_b32 s30, 0
	s_mov_b64 s[14:15], s[0:1]
	s_mov_b64 s[16:17], s[12:13]
.LBB117_134:                            ; =>This Inner Loop Header: Depth=1
	s_clause 0x1
	s_load_b256 s[36:43], s[14:15], 0x4
	s_load_b128 s[44:47], s[14:15], 0x24
	s_load_b128 s[48:51], s[16:17], 0x0
	s_add_u32 s14, s14, 48
	s_addc_u32 s15, s15, 0
	s_add_i32 s30, s30, 4
	s_add_u32 s16, s16, 16
	s_addc_u32 s17, s17, 0
	s_cmp_eq_u32 s28, s30
	s_waitcnt lgkmcnt(0)
	v_mul_hi_u32 v2, s37, v1
	s_delay_alu instid0(VALU_DEP_1) | instskip(NEXT) | instid1(VALU_DEP_1)
	v_add_nc_u32_e32 v2, v1, v2
	v_lshrrev_b32_e32 v2, s38, v2
	s_delay_alu instid0(VALU_DEP_1) | instskip(SKIP_1) | instid1(VALU_DEP_2)
	v_mul_hi_u32 v3, s40, v2
	v_mul_lo_u32 v7, v2, s36
	v_add_nc_u32_e32 v3, v2, v3
	s_delay_alu instid0(VALU_DEP_2) | instskip(NEXT) | instid1(VALU_DEP_2)
	v_sub_nc_u32_e32 v7, v1, v7
	v_lshrrev_b32_e32 v3, s41, v3
	s_delay_alu instid0(VALU_DEP_2) | instskip(NEXT) | instid1(VALU_DEP_2)
	v_mul_lo_u32 v7, v7, s48
	v_mul_hi_u32 v4, s43, v3
	v_mul_lo_u32 v8, v3, s39
	s_delay_alu instid0(VALU_DEP_2) | instskip(NEXT) | instid1(VALU_DEP_2)
	v_add_nc_u32_e32 v4, v3, v4
	v_sub_nc_u32_e32 v2, v2, v8
	s_delay_alu instid0(VALU_DEP_2) | instskip(NEXT) | instid1(VALU_DEP_2)
	v_lshrrev_b32_e32 v4, s44, v4
	v_mul_lo_u32 v2, v2, s49
	s_delay_alu instid0(VALU_DEP_2) | instskip(NEXT) | instid1(VALU_DEP_2)
	v_mul_hi_u32 v5, s46, v4
	v_add3_u32 v0, v7, v0, v2
	s_delay_alu instid0(VALU_DEP_2) | instskip(NEXT) | instid1(VALU_DEP_1)
	v_add_nc_u32_e32 v5, v4, v5
	v_lshrrev_b32_e32 v1, s47, v5
	v_mul_lo_u32 v5, v4, s42
	s_delay_alu instid0(VALU_DEP_2) | instskip(NEXT) | instid1(VALU_DEP_2)
	v_mul_lo_u32 v9, v1, s45
	v_sub_nc_u32_e32 v3, v3, v5
	s_delay_alu instid0(VALU_DEP_2) | instskip(NEXT) | instid1(VALU_DEP_2)
	v_sub_nc_u32_e32 v4, v4, v9
	v_mul_lo_u32 v3, v3, s50
	s_delay_alu instid0(VALU_DEP_2) | instskip(NEXT) | instid1(VALU_DEP_1)
	v_mul_lo_u32 v4, v4, s51
	v_add3_u32 v0, v3, v0, v4
	s_cbranch_scc0 .LBB117_134
	s_branch .LBB117_152
.LBB117_135:
                                        ; implicit-def: $vgpr0
	s_branch .LBB117_156
.LBB117_136:
	v_mov_b32_e32 v1, v6
.LBB117_137:
	s_and_b32 s29, s29, 3
	s_delay_alu instid0(SALU_CYCLE_1)
	s_cmp_eq_u32 s29, 0
	s_cbranch_scc1 .LBB117_140
; %bb.138:
	s_lshl_b32 s14, s28, 2
	s_mul_i32 s16, s28, 12
	s_add_u32 s14, s14, s0
	s_addc_u32 s15, s1, 0
	s_add_u32 s14, s14, 0xc4
	s_addc_u32 s15, s15, 0
	;; [unrolled: 2-line block ×3, first 2 shown]
	.p2align	6
.LBB117_139:                            ; =>This Inner Loop Header: Depth=1
	s_clause 0x1
	s_load_b64 s[30:31], s[16:17], 0x4
	s_load_b32 s28, s[16:17], 0xc
	s_add_u32 s16, s16, 12
	s_addc_u32 s17, s17, 0
	s_waitcnt lgkmcnt(0)
	v_mul_hi_u32 v2, s31, v1
	s_load_b32 s31, s[14:15], 0x0
	s_add_u32 s14, s14, 4
	s_addc_u32 s15, s15, 0
	s_add_i32 s29, s29, -1
	s_delay_alu instid0(SALU_CYCLE_1) | instskip(NEXT) | instid1(VALU_DEP_1)
	s_cmp_lg_u32 s29, 0
	v_add_nc_u32_e32 v2, v1, v2
	s_delay_alu instid0(VALU_DEP_1) | instskip(NEXT) | instid1(VALU_DEP_1)
	v_lshrrev_b32_e32 v4, s28, v2
	v_mul_lo_u32 v2, v4, s30
	s_delay_alu instid0(VALU_DEP_1) | instskip(SKIP_1) | instid1(VALU_DEP_1)
	v_sub_nc_u32_e32 v1, v1, v2
	s_waitcnt lgkmcnt(0)
	v_mad_u64_u32 v[2:3], null, v1, s31, v[0:1]
	s_delay_alu instid0(VALU_DEP_1)
	v_dual_mov_b32 v1, v4 :: v_dual_mov_b32 v0, v2
	s_cbranch_scc1 .LBB117_139
.LBB117_140:
	s_cbranch_execnz .LBB117_143
.LBB117_141:
	s_waitcnt lgkmcnt(0)
	v_mul_hi_u32 v0, s5, v6
	s_and_not1_b32 vcc_lo, exec_lo, s23
	s_delay_alu instid0(VALU_DEP_1) | instskip(NEXT) | instid1(VALU_DEP_1)
	v_add_nc_u32_e32 v0, v6, v0
	v_lshrrev_b32_e32 v1, s6, v0
	s_delay_alu instid0(VALU_DEP_1) | instskip(NEXT) | instid1(VALU_DEP_1)
	v_mul_lo_u32 v0, v1, s4
	v_sub_nc_u32_e32 v0, v6, v0
	s_delay_alu instid0(VALU_DEP_1)
	v_mul_lo_u32 v0, v0, s8
	s_cbranch_vccnz .LBB117_143
; %bb.142:
	v_mul_hi_u32 v2, s10, v1
	s_delay_alu instid0(VALU_DEP_1) | instskip(NEXT) | instid1(VALU_DEP_1)
	v_add_nc_u32_e32 v2, v1, v2
	v_lshrrev_b32_e32 v2, s11, v2
	s_delay_alu instid0(VALU_DEP_1) | instskip(NEXT) | instid1(VALU_DEP_1)
	v_mul_lo_u32 v2, v2, s7
	v_sub_nc_u32_e32 v3, v1, v2
	s_delay_alu instid0(VALU_DEP_1) | instskip(NEXT) | instid1(VALU_DEP_1)
	v_mad_u64_u32 v[1:2], null, v3, s9, v[0:1]
	v_mov_b32_e32 v0, v1
.LBB117_143:
	s_waitcnt lgkmcnt(0)
	v_dual_mov_b32 v1, s22 :: v_dual_add_nc_u32 v6, 0x80, v6
	global_store_b8 v0, v1, s[2:3]
	s_or_b32 exec_lo, exec_lo, s27
	s_delay_alu instid0(SALU_CYCLE_1)
	s_mov_b32 s27, exec_lo
	v_cmpx_gt_i32_e64 s24, v6
	s_cbranch_execnz .LBB117_130
.LBB117_144:
	s_or_b32 exec_lo, exec_lo, s27
	s_delay_alu instid0(SALU_CYCLE_1)
	s_mov_b32 s27, exec_lo
	v_cmpx_gt_i32_e64 s24, v6
	s_cbranch_execz .LBB117_159
.LBB117_145:
	s_and_not1_b32 vcc_lo, exec_lo, s20
	s_cbranch_vccnz .LBB117_150
; %bb.146:
	v_mov_b32_e32 v0, 0
	s_and_not1_b32 vcc_lo, exec_lo, s26
	s_cbranch_vccnz .LBB117_170
; %bb.147:
	s_add_i32 s29, s25, 1
	s_cmp_eq_u32 s19, 2
	s_mov_b32 s28, 0
	s_cbranch_scc1 .LBB117_166
; %bb.148:
	v_dual_mov_b32 v0, 0 :: v_dual_mov_b32 v1, v6
	s_and_b32 s28, s29, 28
	s_mov_b32 s30, 0
	s_mov_b64 s[14:15], s[0:1]
	s_mov_b64 s[16:17], s[12:13]
.LBB117_149:                            ; =>This Inner Loop Header: Depth=1
	s_clause 0x1
	s_load_b256 s[36:43], s[14:15], 0x4
	s_load_b128 s[44:47], s[14:15], 0x24
	s_load_b128 s[48:51], s[16:17], 0x0
	s_add_u32 s14, s14, 48
	s_addc_u32 s15, s15, 0
	s_add_i32 s30, s30, 4
	s_add_u32 s16, s16, 16
	s_addc_u32 s17, s17, 0
	s_cmp_eq_u32 s28, s30
	s_waitcnt lgkmcnt(0)
	v_mul_hi_u32 v2, s37, v1
	s_delay_alu instid0(VALU_DEP_1) | instskip(NEXT) | instid1(VALU_DEP_1)
	v_add_nc_u32_e32 v2, v1, v2
	v_lshrrev_b32_e32 v2, s38, v2
	s_delay_alu instid0(VALU_DEP_1) | instskip(SKIP_1) | instid1(VALU_DEP_2)
	v_mul_hi_u32 v3, s40, v2
	v_mul_lo_u32 v7, v2, s36
	v_add_nc_u32_e32 v3, v2, v3
	s_delay_alu instid0(VALU_DEP_2) | instskip(NEXT) | instid1(VALU_DEP_2)
	v_sub_nc_u32_e32 v7, v1, v7
	v_lshrrev_b32_e32 v3, s41, v3
	s_delay_alu instid0(VALU_DEP_2) | instskip(NEXT) | instid1(VALU_DEP_2)
	v_mul_lo_u32 v7, v7, s48
	v_mul_hi_u32 v4, s43, v3
	v_mul_lo_u32 v8, v3, s39
	s_delay_alu instid0(VALU_DEP_2) | instskip(NEXT) | instid1(VALU_DEP_2)
	v_add_nc_u32_e32 v4, v3, v4
	v_sub_nc_u32_e32 v2, v2, v8
	s_delay_alu instid0(VALU_DEP_2) | instskip(NEXT) | instid1(VALU_DEP_2)
	v_lshrrev_b32_e32 v4, s44, v4
	v_mul_lo_u32 v2, v2, s49
	s_delay_alu instid0(VALU_DEP_2) | instskip(NEXT) | instid1(VALU_DEP_2)
	v_mul_hi_u32 v5, s46, v4
	v_add3_u32 v0, v7, v0, v2
	s_delay_alu instid0(VALU_DEP_2) | instskip(NEXT) | instid1(VALU_DEP_1)
	v_add_nc_u32_e32 v5, v4, v5
	v_lshrrev_b32_e32 v1, s47, v5
	v_mul_lo_u32 v5, v4, s42
	s_delay_alu instid0(VALU_DEP_2) | instskip(NEXT) | instid1(VALU_DEP_2)
	v_mul_lo_u32 v9, v1, s45
	v_sub_nc_u32_e32 v3, v3, v5
	s_delay_alu instid0(VALU_DEP_2) | instskip(NEXT) | instid1(VALU_DEP_2)
	v_sub_nc_u32_e32 v4, v4, v9
	v_mul_lo_u32 v3, v3, s50
	s_delay_alu instid0(VALU_DEP_2) | instskip(NEXT) | instid1(VALU_DEP_1)
	v_mul_lo_u32 v4, v4, s51
	v_add3_u32 v0, v3, v0, v4
	s_cbranch_scc0 .LBB117_149
	s_branch .LBB117_167
.LBB117_150:
                                        ; implicit-def: $vgpr0
	s_branch .LBB117_171
.LBB117_151:
	v_mov_b32_e32 v1, v6
.LBB117_152:
	s_and_b32 s29, s29, 3
	s_delay_alu instid0(SALU_CYCLE_1)
	s_cmp_eq_u32 s29, 0
	s_cbranch_scc1 .LBB117_155
; %bb.153:
	s_lshl_b32 s14, s28, 2
	s_mul_i32 s16, s28, 12
	s_add_u32 s14, s14, s0
	s_addc_u32 s15, s1, 0
	s_add_u32 s14, s14, 0xc4
	s_addc_u32 s15, s15, 0
	;; [unrolled: 2-line block ×3, first 2 shown]
	.p2align	6
.LBB117_154:                            ; =>This Inner Loop Header: Depth=1
	s_clause 0x1
	s_load_b64 s[30:31], s[16:17], 0x4
	s_load_b32 s28, s[16:17], 0xc
	s_add_u32 s16, s16, 12
	s_addc_u32 s17, s17, 0
	s_waitcnt lgkmcnt(0)
	v_mul_hi_u32 v2, s31, v1
	s_load_b32 s31, s[14:15], 0x0
	s_add_u32 s14, s14, 4
	s_addc_u32 s15, s15, 0
	s_add_i32 s29, s29, -1
	s_delay_alu instid0(SALU_CYCLE_1) | instskip(NEXT) | instid1(VALU_DEP_1)
	s_cmp_lg_u32 s29, 0
	v_add_nc_u32_e32 v2, v1, v2
	s_delay_alu instid0(VALU_DEP_1) | instskip(NEXT) | instid1(VALU_DEP_1)
	v_lshrrev_b32_e32 v4, s28, v2
	v_mul_lo_u32 v2, v4, s30
	s_delay_alu instid0(VALU_DEP_1) | instskip(SKIP_1) | instid1(VALU_DEP_1)
	v_sub_nc_u32_e32 v1, v1, v2
	s_waitcnt lgkmcnt(0)
	v_mad_u64_u32 v[2:3], null, v1, s31, v[0:1]
	s_delay_alu instid0(VALU_DEP_1)
	v_dual_mov_b32 v1, v4 :: v_dual_mov_b32 v0, v2
	s_cbranch_scc1 .LBB117_154
.LBB117_155:
	s_cbranch_execnz .LBB117_158
.LBB117_156:
	s_waitcnt lgkmcnt(0)
	v_mul_hi_u32 v0, s5, v6
	s_and_not1_b32 vcc_lo, exec_lo, s23
	s_delay_alu instid0(VALU_DEP_1) | instskip(NEXT) | instid1(VALU_DEP_1)
	v_add_nc_u32_e32 v0, v6, v0
	v_lshrrev_b32_e32 v1, s6, v0
	s_delay_alu instid0(VALU_DEP_1) | instskip(NEXT) | instid1(VALU_DEP_1)
	v_mul_lo_u32 v0, v1, s4
	v_sub_nc_u32_e32 v0, v6, v0
	s_delay_alu instid0(VALU_DEP_1)
	v_mul_lo_u32 v0, v0, s8
	s_cbranch_vccnz .LBB117_158
; %bb.157:
	v_mul_hi_u32 v2, s10, v1
	s_delay_alu instid0(VALU_DEP_1) | instskip(NEXT) | instid1(VALU_DEP_1)
	v_add_nc_u32_e32 v2, v1, v2
	v_lshrrev_b32_e32 v2, s11, v2
	s_delay_alu instid0(VALU_DEP_1) | instskip(NEXT) | instid1(VALU_DEP_1)
	v_mul_lo_u32 v2, v2, s7
	v_sub_nc_u32_e32 v3, v1, v2
	s_delay_alu instid0(VALU_DEP_1) | instskip(NEXT) | instid1(VALU_DEP_1)
	v_mad_u64_u32 v[1:2], null, v3, s9, v[0:1]
	v_mov_b32_e32 v0, v1
.LBB117_158:
	s_waitcnt lgkmcnt(0)
	v_dual_mov_b32 v1, s22 :: v_dual_add_nc_u32 v6, 0x80, v6
	global_store_b8 v0, v1, s[2:3]
	s_or_b32 exec_lo, exec_lo, s27
	s_delay_alu instid0(SALU_CYCLE_1)
	s_mov_b32 s27, exec_lo
	v_cmpx_gt_i32_e64 s24, v6
	s_cbranch_execnz .LBB117_145
.LBB117_159:
	s_or_b32 exec_lo, exec_lo, s27
	s_delay_alu instid0(SALU_CYCLE_1)
	s_mov_b32 s27, exec_lo
	v_cmpx_gt_i32_e64 s24, v6
	s_cbranch_execz .LBB117_174
.LBB117_160:
	s_and_not1_b32 vcc_lo, exec_lo, s20
	s_cbranch_vccnz .LBB117_165
; %bb.161:
	v_mov_b32_e32 v0, 0
	s_and_not1_b32 vcc_lo, exec_lo, s26
	s_cbranch_vccnz .LBB117_185
; %bb.162:
	s_add_i32 s29, s25, 1
	s_cmp_eq_u32 s19, 2
	s_mov_b32 s28, 0
	s_cbranch_scc1 .LBB117_181
; %bb.163:
	v_dual_mov_b32 v0, 0 :: v_dual_mov_b32 v1, v6
	s_and_b32 s28, s29, 28
	s_mov_b32 s30, 0
	s_mov_b64 s[14:15], s[0:1]
	s_mov_b64 s[16:17], s[12:13]
.LBB117_164:                            ; =>This Inner Loop Header: Depth=1
	s_clause 0x1
	s_load_b256 s[36:43], s[14:15], 0x4
	s_load_b128 s[44:47], s[14:15], 0x24
	s_load_b128 s[48:51], s[16:17], 0x0
	s_add_u32 s14, s14, 48
	s_addc_u32 s15, s15, 0
	s_add_i32 s30, s30, 4
	s_add_u32 s16, s16, 16
	s_addc_u32 s17, s17, 0
	s_cmp_eq_u32 s28, s30
	s_waitcnt lgkmcnt(0)
	v_mul_hi_u32 v2, s37, v1
	s_delay_alu instid0(VALU_DEP_1) | instskip(NEXT) | instid1(VALU_DEP_1)
	v_add_nc_u32_e32 v2, v1, v2
	v_lshrrev_b32_e32 v2, s38, v2
	s_delay_alu instid0(VALU_DEP_1) | instskip(SKIP_1) | instid1(VALU_DEP_2)
	v_mul_hi_u32 v3, s40, v2
	v_mul_lo_u32 v7, v2, s36
	v_add_nc_u32_e32 v3, v2, v3
	s_delay_alu instid0(VALU_DEP_2) | instskip(NEXT) | instid1(VALU_DEP_2)
	v_sub_nc_u32_e32 v7, v1, v7
	v_lshrrev_b32_e32 v3, s41, v3
	s_delay_alu instid0(VALU_DEP_2) | instskip(NEXT) | instid1(VALU_DEP_2)
	v_mul_lo_u32 v7, v7, s48
	v_mul_hi_u32 v4, s43, v3
	v_mul_lo_u32 v8, v3, s39
	s_delay_alu instid0(VALU_DEP_2) | instskip(NEXT) | instid1(VALU_DEP_2)
	v_add_nc_u32_e32 v4, v3, v4
	v_sub_nc_u32_e32 v2, v2, v8
	s_delay_alu instid0(VALU_DEP_2) | instskip(NEXT) | instid1(VALU_DEP_2)
	v_lshrrev_b32_e32 v4, s44, v4
	v_mul_lo_u32 v2, v2, s49
	s_delay_alu instid0(VALU_DEP_2) | instskip(NEXT) | instid1(VALU_DEP_2)
	v_mul_hi_u32 v5, s46, v4
	v_add3_u32 v0, v7, v0, v2
	s_delay_alu instid0(VALU_DEP_2) | instskip(NEXT) | instid1(VALU_DEP_1)
	v_add_nc_u32_e32 v5, v4, v5
	v_lshrrev_b32_e32 v1, s47, v5
	v_mul_lo_u32 v5, v4, s42
	s_delay_alu instid0(VALU_DEP_2) | instskip(NEXT) | instid1(VALU_DEP_2)
	v_mul_lo_u32 v9, v1, s45
	v_sub_nc_u32_e32 v3, v3, v5
	s_delay_alu instid0(VALU_DEP_2) | instskip(NEXT) | instid1(VALU_DEP_2)
	v_sub_nc_u32_e32 v4, v4, v9
	v_mul_lo_u32 v3, v3, s50
	s_delay_alu instid0(VALU_DEP_2) | instskip(NEXT) | instid1(VALU_DEP_1)
	v_mul_lo_u32 v4, v4, s51
	v_add3_u32 v0, v3, v0, v4
	s_cbranch_scc0 .LBB117_164
	s_branch .LBB117_182
.LBB117_165:
                                        ; implicit-def: $vgpr0
	s_branch .LBB117_186
.LBB117_166:
	v_mov_b32_e32 v1, v6
.LBB117_167:
	s_and_b32 s29, s29, 3
	s_delay_alu instid0(SALU_CYCLE_1)
	s_cmp_eq_u32 s29, 0
	s_cbranch_scc1 .LBB117_170
; %bb.168:
	s_lshl_b32 s14, s28, 2
	s_mul_i32 s16, s28, 12
	s_add_u32 s14, s14, s0
	s_addc_u32 s15, s1, 0
	s_add_u32 s14, s14, 0xc4
	s_addc_u32 s15, s15, 0
	;; [unrolled: 2-line block ×3, first 2 shown]
	.p2align	6
.LBB117_169:                            ; =>This Inner Loop Header: Depth=1
	s_clause 0x1
	s_load_b64 s[30:31], s[16:17], 0x4
	s_load_b32 s28, s[16:17], 0xc
	s_add_u32 s16, s16, 12
	s_addc_u32 s17, s17, 0
	s_waitcnt lgkmcnt(0)
	v_mul_hi_u32 v2, s31, v1
	s_load_b32 s31, s[14:15], 0x0
	s_add_u32 s14, s14, 4
	s_addc_u32 s15, s15, 0
	s_add_i32 s29, s29, -1
	s_delay_alu instid0(SALU_CYCLE_1) | instskip(NEXT) | instid1(VALU_DEP_1)
	s_cmp_lg_u32 s29, 0
	v_add_nc_u32_e32 v2, v1, v2
	s_delay_alu instid0(VALU_DEP_1) | instskip(NEXT) | instid1(VALU_DEP_1)
	v_lshrrev_b32_e32 v4, s28, v2
	v_mul_lo_u32 v2, v4, s30
	s_delay_alu instid0(VALU_DEP_1) | instskip(SKIP_1) | instid1(VALU_DEP_1)
	v_sub_nc_u32_e32 v1, v1, v2
	s_waitcnt lgkmcnt(0)
	v_mad_u64_u32 v[2:3], null, v1, s31, v[0:1]
	s_delay_alu instid0(VALU_DEP_1)
	v_dual_mov_b32 v1, v4 :: v_dual_mov_b32 v0, v2
	s_cbranch_scc1 .LBB117_169
.LBB117_170:
	s_cbranch_execnz .LBB117_173
.LBB117_171:
	s_waitcnt lgkmcnt(0)
	v_mul_hi_u32 v0, s5, v6
	s_and_not1_b32 vcc_lo, exec_lo, s23
	s_delay_alu instid0(VALU_DEP_1) | instskip(NEXT) | instid1(VALU_DEP_1)
	v_add_nc_u32_e32 v0, v6, v0
	v_lshrrev_b32_e32 v1, s6, v0
	s_delay_alu instid0(VALU_DEP_1) | instskip(NEXT) | instid1(VALU_DEP_1)
	v_mul_lo_u32 v0, v1, s4
	v_sub_nc_u32_e32 v0, v6, v0
	s_delay_alu instid0(VALU_DEP_1)
	v_mul_lo_u32 v0, v0, s8
	s_cbranch_vccnz .LBB117_173
; %bb.172:
	v_mul_hi_u32 v2, s10, v1
	s_delay_alu instid0(VALU_DEP_1) | instskip(NEXT) | instid1(VALU_DEP_1)
	v_add_nc_u32_e32 v2, v1, v2
	v_lshrrev_b32_e32 v2, s11, v2
	s_delay_alu instid0(VALU_DEP_1) | instskip(NEXT) | instid1(VALU_DEP_1)
	v_mul_lo_u32 v2, v2, s7
	v_sub_nc_u32_e32 v3, v1, v2
	s_delay_alu instid0(VALU_DEP_1) | instskip(NEXT) | instid1(VALU_DEP_1)
	v_mad_u64_u32 v[1:2], null, v3, s9, v[0:1]
	v_mov_b32_e32 v0, v1
.LBB117_173:
	s_waitcnt lgkmcnt(0)
	v_dual_mov_b32 v1, s22 :: v_dual_add_nc_u32 v6, 0x80, v6
	global_store_b8 v0, v1, s[2:3]
	s_or_b32 exec_lo, exec_lo, s27
	s_delay_alu instid0(SALU_CYCLE_1)
	s_mov_b32 s27, exec_lo
	v_cmpx_gt_i32_e64 s24, v6
	s_cbranch_execnz .LBB117_160
.LBB117_174:
	s_or_b32 exec_lo, exec_lo, s27
	s_delay_alu instid0(SALU_CYCLE_1)
	s_mov_b32 s27, exec_lo
	v_cmpx_gt_i32_e64 s24, v6
	s_cbranch_execz .LBB117_189
.LBB117_175:
	s_and_not1_b32 vcc_lo, exec_lo, s20
	s_cbranch_vccnz .LBB117_180
; %bb.176:
	v_mov_b32_e32 v0, 0
	s_and_not1_b32 vcc_lo, exec_lo, s26
	s_cbranch_vccnz .LBB117_200
; %bb.177:
	s_add_i32 s29, s25, 1
	s_cmp_eq_u32 s19, 2
	s_mov_b32 s28, 0
	s_cbranch_scc1 .LBB117_196
; %bb.178:
	v_dual_mov_b32 v0, 0 :: v_dual_mov_b32 v1, v6
	s_and_b32 s28, s29, 28
	s_mov_b32 s30, 0
	s_mov_b64 s[14:15], s[0:1]
	s_mov_b64 s[16:17], s[12:13]
.LBB117_179:                            ; =>This Inner Loop Header: Depth=1
	s_clause 0x1
	s_load_b256 s[36:43], s[14:15], 0x4
	s_load_b128 s[44:47], s[14:15], 0x24
	s_load_b128 s[48:51], s[16:17], 0x0
	s_add_u32 s14, s14, 48
	s_addc_u32 s15, s15, 0
	s_add_i32 s30, s30, 4
	s_add_u32 s16, s16, 16
	s_addc_u32 s17, s17, 0
	s_cmp_eq_u32 s28, s30
	s_waitcnt lgkmcnt(0)
	v_mul_hi_u32 v2, s37, v1
	s_delay_alu instid0(VALU_DEP_1) | instskip(NEXT) | instid1(VALU_DEP_1)
	v_add_nc_u32_e32 v2, v1, v2
	v_lshrrev_b32_e32 v2, s38, v2
	s_delay_alu instid0(VALU_DEP_1) | instskip(SKIP_1) | instid1(VALU_DEP_2)
	v_mul_hi_u32 v3, s40, v2
	v_mul_lo_u32 v7, v2, s36
	v_add_nc_u32_e32 v3, v2, v3
	s_delay_alu instid0(VALU_DEP_2) | instskip(NEXT) | instid1(VALU_DEP_2)
	v_sub_nc_u32_e32 v7, v1, v7
	v_lshrrev_b32_e32 v3, s41, v3
	s_delay_alu instid0(VALU_DEP_2) | instskip(NEXT) | instid1(VALU_DEP_2)
	v_mul_lo_u32 v7, v7, s48
	v_mul_hi_u32 v4, s43, v3
	v_mul_lo_u32 v8, v3, s39
	s_delay_alu instid0(VALU_DEP_2) | instskip(NEXT) | instid1(VALU_DEP_2)
	v_add_nc_u32_e32 v4, v3, v4
	v_sub_nc_u32_e32 v2, v2, v8
	s_delay_alu instid0(VALU_DEP_2) | instskip(NEXT) | instid1(VALU_DEP_2)
	v_lshrrev_b32_e32 v4, s44, v4
	v_mul_lo_u32 v2, v2, s49
	s_delay_alu instid0(VALU_DEP_2) | instskip(NEXT) | instid1(VALU_DEP_2)
	v_mul_hi_u32 v5, s46, v4
	v_add3_u32 v0, v7, v0, v2
	s_delay_alu instid0(VALU_DEP_2) | instskip(NEXT) | instid1(VALU_DEP_1)
	v_add_nc_u32_e32 v5, v4, v5
	v_lshrrev_b32_e32 v1, s47, v5
	v_mul_lo_u32 v5, v4, s42
	s_delay_alu instid0(VALU_DEP_2) | instskip(NEXT) | instid1(VALU_DEP_2)
	v_mul_lo_u32 v9, v1, s45
	v_sub_nc_u32_e32 v3, v3, v5
	s_delay_alu instid0(VALU_DEP_2) | instskip(NEXT) | instid1(VALU_DEP_2)
	v_sub_nc_u32_e32 v4, v4, v9
	v_mul_lo_u32 v3, v3, s50
	s_delay_alu instid0(VALU_DEP_2) | instskip(NEXT) | instid1(VALU_DEP_1)
	v_mul_lo_u32 v4, v4, s51
	v_add3_u32 v0, v3, v0, v4
	s_cbranch_scc0 .LBB117_179
	s_branch .LBB117_197
.LBB117_180:
                                        ; implicit-def: $vgpr0
	s_branch .LBB117_201
.LBB117_181:
	v_mov_b32_e32 v1, v6
.LBB117_182:
	s_and_b32 s29, s29, 3
	s_delay_alu instid0(SALU_CYCLE_1)
	s_cmp_eq_u32 s29, 0
	s_cbranch_scc1 .LBB117_185
; %bb.183:
	s_lshl_b32 s14, s28, 2
	s_mul_i32 s16, s28, 12
	s_add_u32 s14, s14, s0
	s_addc_u32 s15, s1, 0
	s_add_u32 s14, s14, 0xc4
	s_addc_u32 s15, s15, 0
	;; [unrolled: 2-line block ×3, first 2 shown]
	.p2align	6
.LBB117_184:                            ; =>This Inner Loop Header: Depth=1
	s_clause 0x1
	s_load_b64 s[30:31], s[16:17], 0x4
	s_load_b32 s28, s[16:17], 0xc
	s_add_u32 s16, s16, 12
	s_addc_u32 s17, s17, 0
	s_waitcnt lgkmcnt(0)
	v_mul_hi_u32 v2, s31, v1
	s_load_b32 s31, s[14:15], 0x0
	s_add_u32 s14, s14, 4
	s_addc_u32 s15, s15, 0
	s_add_i32 s29, s29, -1
	s_delay_alu instid0(SALU_CYCLE_1) | instskip(NEXT) | instid1(VALU_DEP_1)
	s_cmp_lg_u32 s29, 0
	v_add_nc_u32_e32 v2, v1, v2
	s_delay_alu instid0(VALU_DEP_1) | instskip(NEXT) | instid1(VALU_DEP_1)
	v_lshrrev_b32_e32 v4, s28, v2
	v_mul_lo_u32 v2, v4, s30
	s_delay_alu instid0(VALU_DEP_1) | instskip(SKIP_1) | instid1(VALU_DEP_1)
	v_sub_nc_u32_e32 v1, v1, v2
	s_waitcnt lgkmcnt(0)
	v_mad_u64_u32 v[2:3], null, v1, s31, v[0:1]
	s_delay_alu instid0(VALU_DEP_1)
	v_dual_mov_b32 v1, v4 :: v_dual_mov_b32 v0, v2
	s_cbranch_scc1 .LBB117_184
.LBB117_185:
	s_cbranch_execnz .LBB117_188
.LBB117_186:
	s_waitcnt lgkmcnt(0)
	v_mul_hi_u32 v0, s5, v6
	s_and_not1_b32 vcc_lo, exec_lo, s23
	s_delay_alu instid0(VALU_DEP_1) | instskip(NEXT) | instid1(VALU_DEP_1)
	v_add_nc_u32_e32 v0, v6, v0
	v_lshrrev_b32_e32 v1, s6, v0
	s_delay_alu instid0(VALU_DEP_1) | instskip(NEXT) | instid1(VALU_DEP_1)
	v_mul_lo_u32 v0, v1, s4
	v_sub_nc_u32_e32 v0, v6, v0
	s_delay_alu instid0(VALU_DEP_1)
	v_mul_lo_u32 v0, v0, s8
	s_cbranch_vccnz .LBB117_188
; %bb.187:
	v_mul_hi_u32 v2, s10, v1
	s_delay_alu instid0(VALU_DEP_1) | instskip(NEXT) | instid1(VALU_DEP_1)
	v_add_nc_u32_e32 v2, v1, v2
	v_lshrrev_b32_e32 v2, s11, v2
	s_delay_alu instid0(VALU_DEP_1) | instskip(NEXT) | instid1(VALU_DEP_1)
	v_mul_lo_u32 v2, v2, s7
	v_sub_nc_u32_e32 v3, v1, v2
	s_delay_alu instid0(VALU_DEP_1) | instskip(NEXT) | instid1(VALU_DEP_1)
	v_mad_u64_u32 v[1:2], null, v3, s9, v[0:1]
	v_mov_b32_e32 v0, v1
.LBB117_188:
	s_waitcnt lgkmcnt(0)
	v_dual_mov_b32 v1, s22 :: v_dual_add_nc_u32 v6, 0x80, v6
	global_store_b8 v0, v1, s[2:3]
	s_or_b32 exec_lo, exec_lo, s27
	s_delay_alu instid0(SALU_CYCLE_1)
	s_mov_b32 s27, exec_lo
	v_cmpx_gt_i32_e64 s24, v6
	s_cbranch_execnz .LBB117_175
.LBB117_189:
	s_or_b32 exec_lo, exec_lo, s27
	s_delay_alu instid0(SALU_CYCLE_1)
	s_mov_b32 s27, exec_lo
	v_cmpx_gt_i32_e64 s24, v6
	s_cbranch_execz .LBB117_204
.LBB117_190:
	s_and_not1_b32 vcc_lo, exec_lo, s20
	s_cbranch_vccnz .LBB117_195
; %bb.191:
	v_mov_b32_e32 v0, 0
	s_and_not1_b32 vcc_lo, exec_lo, s26
	s_cbranch_vccnz .LBB117_211
; %bb.192:
	s_add_i32 s29, s25, 1
	s_cmp_eq_u32 s19, 2
	s_mov_b32 s28, 0
	s_cbranch_scc1 .LBB117_207
; %bb.193:
	v_dual_mov_b32 v0, 0 :: v_dual_mov_b32 v1, v6
	s_and_b32 s28, s29, 28
	s_mov_b32 s30, 0
	s_mov_b64 s[14:15], s[0:1]
	s_mov_b64 s[16:17], s[12:13]
.LBB117_194:                            ; =>This Inner Loop Header: Depth=1
	s_clause 0x1
	s_load_b256 s[36:43], s[14:15], 0x4
	s_load_b128 s[44:47], s[14:15], 0x24
	s_load_b128 s[48:51], s[16:17], 0x0
	s_add_u32 s14, s14, 48
	s_addc_u32 s15, s15, 0
	s_add_i32 s30, s30, 4
	s_add_u32 s16, s16, 16
	s_addc_u32 s17, s17, 0
	s_cmp_eq_u32 s28, s30
	s_waitcnt lgkmcnt(0)
	v_mul_hi_u32 v2, s37, v1
	s_delay_alu instid0(VALU_DEP_1) | instskip(NEXT) | instid1(VALU_DEP_1)
	v_add_nc_u32_e32 v2, v1, v2
	v_lshrrev_b32_e32 v2, s38, v2
	s_delay_alu instid0(VALU_DEP_1) | instskip(SKIP_1) | instid1(VALU_DEP_2)
	v_mul_hi_u32 v3, s40, v2
	v_mul_lo_u32 v7, v2, s36
	v_add_nc_u32_e32 v3, v2, v3
	s_delay_alu instid0(VALU_DEP_2) | instskip(NEXT) | instid1(VALU_DEP_2)
	v_sub_nc_u32_e32 v7, v1, v7
	v_lshrrev_b32_e32 v3, s41, v3
	s_delay_alu instid0(VALU_DEP_2) | instskip(NEXT) | instid1(VALU_DEP_2)
	v_mul_lo_u32 v7, v7, s48
	v_mul_hi_u32 v4, s43, v3
	v_mul_lo_u32 v8, v3, s39
	s_delay_alu instid0(VALU_DEP_2) | instskip(NEXT) | instid1(VALU_DEP_2)
	v_add_nc_u32_e32 v4, v3, v4
	v_sub_nc_u32_e32 v2, v2, v8
	s_delay_alu instid0(VALU_DEP_2) | instskip(NEXT) | instid1(VALU_DEP_2)
	v_lshrrev_b32_e32 v4, s44, v4
	v_mul_lo_u32 v2, v2, s49
	s_delay_alu instid0(VALU_DEP_2) | instskip(NEXT) | instid1(VALU_DEP_2)
	v_mul_hi_u32 v5, s46, v4
	v_add3_u32 v0, v7, v0, v2
	s_delay_alu instid0(VALU_DEP_2) | instskip(NEXT) | instid1(VALU_DEP_1)
	v_add_nc_u32_e32 v5, v4, v5
	v_lshrrev_b32_e32 v1, s47, v5
	v_mul_lo_u32 v5, v4, s42
	s_delay_alu instid0(VALU_DEP_2) | instskip(NEXT) | instid1(VALU_DEP_2)
	v_mul_lo_u32 v9, v1, s45
	v_sub_nc_u32_e32 v3, v3, v5
	s_delay_alu instid0(VALU_DEP_2) | instskip(NEXT) | instid1(VALU_DEP_2)
	v_sub_nc_u32_e32 v4, v4, v9
	v_mul_lo_u32 v3, v3, s50
	s_delay_alu instid0(VALU_DEP_2) | instskip(NEXT) | instid1(VALU_DEP_1)
	v_mul_lo_u32 v4, v4, s51
	v_add3_u32 v0, v3, v0, v4
	s_cbranch_scc0 .LBB117_194
	s_branch .LBB117_208
.LBB117_195:
                                        ; implicit-def: $vgpr0
	s_branch .LBB117_212
.LBB117_196:
	v_mov_b32_e32 v1, v6
.LBB117_197:
	s_and_b32 s29, s29, 3
	s_delay_alu instid0(SALU_CYCLE_1)
	s_cmp_eq_u32 s29, 0
	s_cbranch_scc1 .LBB117_200
; %bb.198:
	s_lshl_b32 s14, s28, 2
	s_mul_i32 s16, s28, 12
	s_add_u32 s14, s14, s0
	s_addc_u32 s15, s1, 0
	s_add_u32 s14, s14, 0xc4
	s_addc_u32 s15, s15, 0
	;; [unrolled: 2-line block ×3, first 2 shown]
	.p2align	6
.LBB117_199:                            ; =>This Inner Loop Header: Depth=1
	s_clause 0x1
	s_load_b64 s[30:31], s[16:17], 0x4
	s_load_b32 s28, s[16:17], 0xc
	s_add_u32 s16, s16, 12
	s_addc_u32 s17, s17, 0
	s_waitcnt lgkmcnt(0)
	v_mul_hi_u32 v2, s31, v1
	s_load_b32 s31, s[14:15], 0x0
	s_add_u32 s14, s14, 4
	s_addc_u32 s15, s15, 0
	s_add_i32 s29, s29, -1
	s_delay_alu instid0(SALU_CYCLE_1) | instskip(NEXT) | instid1(VALU_DEP_1)
	s_cmp_lg_u32 s29, 0
	v_add_nc_u32_e32 v2, v1, v2
	s_delay_alu instid0(VALU_DEP_1) | instskip(NEXT) | instid1(VALU_DEP_1)
	v_lshrrev_b32_e32 v4, s28, v2
	v_mul_lo_u32 v2, v4, s30
	s_delay_alu instid0(VALU_DEP_1) | instskip(SKIP_1) | instid1(VALU_DEP_1)
	v_sub_nc_u32_e32 v1, v1, v2
	s_waitcnt lgkmcnt(0)
	v_mad_u64_u32 v[2:3], null, v1, s31, v[0:1]
	s_delay_alu instid0(VALU_DEP_1)
	v_dual_mov_b32 v1, v4 :: v_dual_mov_b32 v0, v2
	s_cbranch_scc1 .LBB117_199
.LBB117_200:
	s_cbranch_execnz .LBB117_203
.LBB117_201:
	s_waitcnt lgkmcnt(0)
	v_mul_hi_u32 v0, s5, v6
	s_and_not1_b32 vcc_lo, exec_lo, s23
	s_delay_alu instid0(VALU_DEP_1) | instskip(NEXT) | instid1(VALU_DEP_1)
	v_add_nc_u32_e32 v0, v6, v0
	v_lshrrev_b32_e32 v1, s6, v0
	s_delay_alu instid0(VALU_DEP_1) | instskip(NEXT) | instid1(VALU_DEP_1)
	v_mul_lo_u32 v0, v1, s4
	v_sub_nc_u32_e32 v0, v6, v0
	s_delay_alu instid0(VALU_DEP_1)
	v_mul_lo_u32 v0, v0, s8
	s_cbranch_vccnz .LBB117_203
; %bb.202:
	v_mul_hi_u32 v2, s10, v1
	s_delay_alu instid0(VALU_DEP_1) | instskip(NEXT) | instid1(VALU_DEP_1)
	v_add_nc_u32_e32 v2, v1, v2
	v_lshrrev_b32_e32 v2, s11, v2
	s_delay_alu instid0(VALU_DEP_1) | instskip(NEXT) | instid1(VALU_DEP_1)
	v_mul_lo_u32 v2, v2, s7
	v_sub_nc_u32_e32 v3, v1, v2
	s_delay_alu instid0(VALU_DEP_1) | instskip(NEXT) | instid1(VALU_DEP_1)
	v_mad_u64_u32 v[1:2], null, v3, s9, v[0:1]
	v_mov_b32_e32 v0, v1
.LBB117_203:
	s_waitcnt lgkmcnt(0)
	v_dual_mov_b32 v1, s22 :: v_dual_add_nc_u32 v6, 0x80, v6
	global_store_b8 v0, v1, s[2:3]
	s_or_b32 exec_lo, exec_lo, s27
	s_delay_alu instid0(SALU_CYCLE_1)
	s_mov_b32 s27, exec_lo
	v_cmpx_gt_i32_e64 s24, v6
	s_cbranch_execnz .LBB117_190
.LBB117_204:
	s_or_b32 exec_lo, exec_lo, s27
	s_delay_alu instid0(SALU_CYCLE_1)
	s_mov_b32 s16, exec_lo
	v_cmpx_gt_i32_e64 s24, v6
	s_cbranch_execnz .LBB117_215
.LBB117_205:
	s_or_b32 exec_lo, exec_lo, s16
                                        ; implicit-def: $vgpr8
                                        ; implicit-def: $vgpr6
	s_waitcnt lgkmcnt(0)
	s_and_not1_saveexec_b32 s2, s21
	s_cbranch_execnz .LBB117_8
.LBB117_206:
	s_nop 0
	s_sendmsg sendmsg(MSG_DEALLOC_VGPRS)
	s_endpgm
.LBB117_207:
	v_mov_b32_e32 v1, v6
.LBB117_208:
	s_and_b32 s29, s29, 3
	s_delay_alu instid0(SALU_CYCLE_1)
	s_cmp_eq_u32 s29, 0
	s_cbranch_scc1 .LBB117_211
; %bb.209:
	s_lshl_b32 s14, s28, 2
	s_mul_i32 s16, s28, 12
	s_add_u32 s14, s14, s0
	s_addc_u32 s15, s1, 0
	s_add_u32 s14, s14, 0xc4
	s_addc_u32 s15, s15, 0
	;; [unrolled: 2-line block ×3, first 2 shown]
	.p2align	6
.LBB117_210:                            ; =>This Inner Loop Header: Depth=1
	s_clause 0x1
	s_load_b64 s[30:31], s[16:17], 0x4
	s_load_b32 s28, s[16:17], 0xc
	s_add_u32 s16, s16, 12
	s_addc_u32 s17, s17, 0
	s_waitcnt lgkmcnt(0)
	v_mul_hi_u32 v2, s31, v1
	s_load_b32 s31, s[14:15], 0x0
	s_add_u32 s14, s14, 4
	s_addc_u32 s15, s15, 0
	s_add_i32 s29, s29, -1
	s_delay_alu instid0(SALU_CYCLE_1) | instskip(NEXT) | instid1(VALU_DEP_1)
	s_cmp_lg_u32 s29, 0
	v_add_nc_u32_e32 v2, v1, v2
	s_delay_alu instid0(VALU_DEP_1) | instskip(NEXT) | instid1(VALU_DEP_1)
	v_lshrrev_b32_e32 v4, s28, v2
	v_mul_lo_u32 v2, v4, s30
	s_delay_alu instid0(VALU_DEP_1) | instskip(SKIP_1) | instid1(VALU_DEP_1)
	v_sub_nc_u32_e32 v1, v1, v2
	s_waitcnt lgkmcnt(0)
	v_mad_u64_u32 v[2:3], null, v1, s31, v[0:1]
	s_delay_alu instid0(VALU_DEP_1)
	v_dual_mov_b32 v1, v4 :: v_dual_mov_b32 v0, v2
	s_cbranch_scc1 .LBB117_210
.LBB117_211:
	s_cbranch_execnz .LBB117_214
.LBB117_212:
	s_waitcnt lgkmcnt(0)
	v_mul_hi_u32 v0, s5, v6
	s_and_not1_b32 vcc_lo, exec_lo, s23
	s_delay_alu instid0(VALU_DEP_1) | instskip(NEXT) | instid1(VALU_DEP_1)
	v_add_nc_u32_e32 v0, v6, v0
	v_lshrrev_b32_e32 v1, s6, v0
	s_delay_alu instid0(VALU_DEP_1) | instskip(NEXT) | instid1(VALU_DEP_1)
	v_mul_lo_u32 v0, v1, s4
	v_sub_nc_u32_e32 v0, v6, v0
	s_delay_alu instid0(VALU_DEP_1)
	v_mul_lo_u32 v0, v0, s8
	s_cbranch_vccnz .LBB117_214
; %bb.213:
	v_mul_hi_u32 v2, s10, v1
	s_delay_alu instid0(VALU_DEP_1) | instskip(NEXT) | instid1(VALU_DEP_1)
	v_add_nc_u32_e32 v2, v1, v2
	v_lshrrev_b32_e32 v2, s11, v2
	s_delay_alu instid0(VALU_DEP_1) | instskip(NEXT) | instid1(VALU_DEP_1)
	v_mul_lo_u32 v2, v2, s7
	v_sub_nc_u32_e32 v3, v1, v2
	s_delay_alu instid0(VALU_DEP_1) | instskip(NEXT) | instid1(VALU_DEP_1)
	v_mad_u64_u32 v[1:2], null, v3, s9, v[0:1]
	v_mov_b32_e32 v0, v1
.LBB117_214:
	s_waitcnt lgkmcnt(0)
	v_dual_mov_b32 v1, s22 :: v_dual_add_nc_u32 v6, 0x80, v6
	global_store_b8 v0, v1, s[2:3]
	s_or_b32 exec_lo, exec_lo, s27
	s_delay_alu instid0(SALU_CYCLE_1)
	s_mov_b32 s16, exec_lo
	v_cmpx_gt_i32_e64 s24, v6
	s_cbranch_execz .LBB117_205
.LBB117_215:
	s_and_not1_b32 vcc_lo, exec_lo, s20
	s_cbranch_vccnz .LBB117_220
; %bb.216:
	v_mov_b32_e32 v0, 0
	s_and_not1_b32 vcc_lo, exec_lo, s26
	s_cbranch_vccnz .LBB117_225
; %bb.217:
	s_add_i32 s25, s25, 1
	s_cmp_eq_u32 s19, 2
	s_mov_b32 s17, 0
	s_cbranch_scc1 .LBB117_221
; %bb.218:
	v_dual_mov_b32 v0, 0 :: v_dual_mov_b32 v1, v6
	s_and_b32 s17, s25, 28
	s_mov_b32 s24, 0
	s_mov_b64 s[14:15], s[0:1]
.LBB117_219:                            ; =>This Inner Loop Header: Depth=1
	s_clause 0x1
	s_load_b256 s[36:43], s[14:15], 0x4
	s_load_b128 s[28:31], s[14:15], 0x24
	s_load_b128 s[44:47], s[12:13], 0x0
	s_add_u32 s14, s14, 48
	s_addc_u32 s15, s15, 0
	s_add_i32 s24, s24, 4
	s_add_u32 s12, s12, 16
	s_addc_u32 s13, s13, 0
	s_cmp_eq_u32 s17, s24
	s_waitcnt lgkmcnt(0)
	v_mul_hi_u32 v2, s37, v1
	s_delay_alu instid0(VALU_DEP_1) | instskip(NEXT) | instid1(VALU_DEP_1)
	v_add_nc_u32_e32 v2, v1, v2
	v_lshrrev_b32_e32 v2, s38, v2
	s_delay_alu instid0(VALU_DEP_1) | instskip(SKIP_1) | instid1(VALU_DEP_2)
	v_mul_hi_u32 v3, s40, v2
	v_mul_lo_u32 v7, v2, s36
	v_add_nc_u32_e32 v3, v2, v3
	s_delay_alu instid0(VALU_DEP_2) | instskip(NEXT) | instid1(VALU_DEP_2)
	v_sub_nc_u32_e32 v7, v1, v7
	v_lshrrev_b32_e32 v3, s41, v3
	s_delay_alu instid0(VALU_DEP_2) | instskip(NEXT) | instid1(VALU_DEP_2)
	v_mul_lo_u32 v7, v7, s44
	v_mul_hi_u32 v4, s43, v3
	v_mul_lo_u32 v8, v3, s39
	s_delay_alu instid0(VALU_DEP_2) | instskip(NEXT) | instid1(VALU_DEP_2)
	v_add_nc_u32_e32 v4, v3, v4
	v_sub_nc_u32_e32 v2, v2, v8
	s_delay_alu instid0(VALU_DEP_2) | instskip(NEXT) | instid1(VALU_DEP_2)
	v_lshrrev_b32_e32 v4, s28, v4
	v_mul_lo_u32 v2, v2, s45
	s_delay_alu instid0(VALU_DEP_2) | instskip(NEXT) | instid1(VALU_DEP_2)
	v_mul_hi_u32 v5, s30, v4
	v_add3_u32 v0, v7, v0, v2
	s_delay_alu instid0(VALU_DEP_2) | instskip(NEXT) | instid1(VALU_DEP_1)
	v_add_nc_u32_e32 v5, v4, v5
	v_lshrrev_b32_e32 v1, s31, v5
	v_mul_lo_u32 v5, v4, s42
	s_delay_alu instid0(VALU_DEP_2) | instskip(NEXT) | instid1(VALU_DEP_2)
	v_mul_lo_u32 v9, v1, s29
	v_sub_nc_u32_e32 v3, v3, v5
	s_delay_alu instid0(VALU_DEP_2) | instskip(NEXT) | instid1(VALU_DEP_2)
	v_sub_nc_u32_e32 v4, v4, v9
	v_mul_lo_u32 v3, v3, s46
	s_delay_alu instid0(VALU_DEP_2) | instskip(NEXT) | instid1(VALU_DEP_1)
	v_mul_lo_u32 v4, v4, s47
	v_add3_u32 v0, v3, v0, v4
	s_cbranch_scc0 .LBB117_219
	s_branch .LBB117_222
.LBB117_220:
                                        ; implicit-def: $vgpr0
	s_branch .LBB117_226
.LBB117_221:
	v_mov_b32_e32 v1, v6
.LBB117_222:
	s_and_b32 s24, s25, 3
	s_delay_alu instid0(SALU_CYCLE_1)
	s_cmp_eq_u32 s24, 0
	s_cbranch_scc1 .LBB117_225
; %bb.223:
	s_lshl_b32 s12, s17, 2
	s_mul_i32 s14, s17, 12
	s_add_u32 s12, s12, s0
	s_addc_u32 s13, s1, 0
	s_add_u32 s12, s12, 0xc4
	s_addc_u32 s13, s13, 0
	;; [unrolled: 2-line block ×3, first 2 shown]
	.p2align	6
.LBB117_224:                            ; =>This Inner Loop Header: Depth=1
	s_clause 0x1
	s_load_b64 s[26:27], s[14:15], 0x4
	s_load_b32 s17, s[14:15], 0xc
	s_load_b32 s25, s[12:13], 0x0
	s_add_u32 s14, s14, 12
	s_addc_u32 s15, s15, 0
	s_add_u32 s12, s12, 4
	s_addc_u32 s13, s13, 0
	s_add_i32 s24, s24, -1
	s_delay_alu instid0(SALU_CYCLE_1) | instskip(SKIP_2) | instid1(VALU_DEP_1)
	s_cmp_lg_u32 s24, 0
	s_waitcnt lgkmcnt(0)
	v_mul_hi_u32 v2, s27, v1
	v_add_nc_u32_e32 v2, v1, v2
	s_delay_alu instid0(VALU_DEP_1) | instskip(NEXT) | instid1(VALU_DEP_1)
	v_lshrrev_b32_e32 v4, s17, v2
	v_mul_lo_u32 v2, v4, s26
	s_delay_alu instid0(VALU_DEP_1) | instskip(NEXT) | instid1(VALU_DEP_1)
	v_sub_nc_u32_e32 v1, v1, v2
	v_mad_u64_u32 v[2:3], null, v1, s25, v[0:1]
	s_delay_alu instid0(VALU_DEP_1)
	v_dual_mov_b32 v1, v4 :: v_dual_mov_b32 v0, v2
	s_cbranch_scc1 .LBB117_224
.LBB117_225:
	s_cbranch_execnz .LBB117_228
.LBB117_226:
	s_waitcnt lgkmcnt(0)
	v_mul_hi_u32 v0, s5, v6
	s_and_not1_b32 vcc_lo, exec_lo, s23
	s_delay_alu instid0(VALU_DEP_1) | instskip(NEXT) | instid1(VALU_DEP_1)
	v_add_nc_u32_e32 v0, v6, v0
	v_lshrrev_b32_e32 v1, s6, v0
	s_delay_alu instid0(VALU_DEP_1) | instskip(NEXT) | instid1(VALU_DEP_1)
	v_mul_lo_u32 v0, v1, s4
	v_sub_nc_u32_e32 v0, v6, v0
	s_delay_alu instid0(VALU_DEP_1)
	v_mul_lo_u32 v0, v0, s8
	s_cbranch_vccnz .LBB117_228
; %bb.227:
	v_mul_hi_u32 v2, s10, v1
	s_delay_alu instid0(VALU_DEP_1) | instskip(NEXT) | instid1(VALU_DEP_1)
	v_add_nc_u32_e32 v2, v1, v2
	v_lshrrev_b32_e32 v2, s11, v2
	s_delay_alu instid0(VALU_DEP_1) | instskip(NEXT) | instid1(VALU_DEP_1)
	v_mul_lo_u32 v2, v2, s7
	v_sub_nc_u32_e32 v3, v1, v2
	s_delay_alu instid0(VALU_DEP_1) | instskip(NEXT) | instid1(VALU_DEP_1)
	v_mad_u64_u32 v[1:2], null, v3, s9, v[0:1]
	v_mov_b32_e32 v0, v1
.LBB117_228:
	s_waitcnt lgkmcnt(0)
	v_mov_b32_e32 v1, s22
	global_store_b8 v0, v1, s[2:3]
	s_or_b32 exec_lo, exec_lo, s16
                                        ; implicit-def: $vgpr8
                                        ; implicit-def: $vgpr6
	s_and_not1_saveexec_b32 s2, s21
	s_cbranch_execz .LBB117_206
	s_branch .LBB117_8
	.section	.rodata,"a",@progbits
	.p2align	6, 0x0
	.amdhsa_kernel _ZN2at6native32elementwise_kernel_manual_unrollILi128ELi8EZNS0_22gpu_kernel_impl_nocastINS0_11FillFunctorIN3c1011Float8_e5m2EEEEEvRNS_18TensorIteratorBaseERKT_EUlibE_EEviT1_
		.amdhsa_group_segment_fixed_size 0
		.amdhsa_private_segment_fixed_size 0
		.amdhsa_kernarg_size 288
		.amdhsa_user_sgpr_count 15
		.amdhsa_user_sgpr_dispatch_ptr 0
		.amdhsa_user_sgpr_queue_ptr 0
		.amdhsa_user_sgpr_kernarg_segment_ptr 1
		.amdhsa_user_sgpr_dispatch_id 0
		.amdhsa_user_sgpr_private_segment_size 0
		.amdhsa_wavefront_size32 1
		.amdhsa_uses_dynamic_stack 0
		.amdhsa_enable_private_segment 0
		.amdhsa_system_sgpr_workgroup_id_x 1
		.amdhsa_system_sgpr_workgroup_id_y 0
		.amdhsa_system_sgpr_workgroup_id_z 0
		.amdhsa_system_sgpr_workgroup_info 0
		.amdhsa_system_vgpr_workitem_id 0
		.amdhsa_next_free_vgpr 18
		.amdhsa_next_free_sgpr 52
		.amdhsa_reserve_vcc 1
		.amdhsa_float_round_mode_32 0
		.amdhsa_float_round_mode_16_64 0
		.amdhsa_float_denorm_mode_32 3
		.amdhsa_float_denorm_mode_16_64 3
		.amdhsa_dx10_clamp 1
		.amdhsa_ieee_mode 1
		.amdhsa_fp16_overflow 0
		.amdhsa_workgroup_processor_mode 1
		.amdhsa_memory_ordered 1
		.amdhsa_forward_progress 0
		.amdhsa_shared_vgpr_count 0
		.amdhsa_exception_fp_ieee_invalid_op 0
		.amdhsa_exception_fp_denorm_src 0
		.amdhsa_exception_fp_ieee_div_zero 0
		.amdhsa_exception_fp_ieee_overflow 0
		.amdhsa_exception_fp_ieee_underflow 0
		.amdhsa_exception_fp_ieee_inexact 0
		.amdhsa_exception_int_div_zero 0
	.end_amdhsa_kernel
	.section	.text._ZN2at6native32elementwise_kernel_manual_unrollILi128ELi8EZNS0_22gpu_kernel_impl_nocastINS0_11FillFunctorIN3c1011Float8_e5m2EEEEEvRNS_18TensorIteratorBaseERKT_EUlibE_EEviT1_,"axG",@progbits,_ZN2at6native32elementwise_kernel_manual_unrollILi128ELi8EZNS0_22gpu_kernel_impl_nocastINS0_11FillFunctorIN3c1011Float8_e5m2EEEEEvRNS_18TensorIteratorBaseERKT_EUlibE_EEviT1_,comdat
.Lfunc_end117:
	.size	_ZN2at6native32elementwise_kernel_manual_unrollILi128ELi8EZNS0_22gpu_kernel_impl_nocastINS0_11FillFunctorIN3c1011Float8_e5m2EEEEEvRNS_18TensorIteratorBaseERKT_EUlibE_EEviT1_, .Lfunc_end117-_ZN2at6native32elementwise_kernel_manual_unrollILi128ELi8EZNS0_22gpu_kernel_impl_nocastINS0_11FillFunctorIN3c1011Float8_e5m2EEEEEvRNS_18TensorIteratorBaseERKT_EUlibE_EEviT1_
                                        ; -- End function
	.section	.AMDGPU.csdata,"",@progbits
; Kernel info:
; codeLenInByte = 11652
; NumSgprs: 54
; NumVgprs: 18
; ScratchSize: 0
; MemoryBound: 0
; FloatMode: 240
; IeeeMode: 1
; LDSByteSize: 0 bytes/workgroup (compile time only)
; SGPRBlocks: 6
; VGPRBlocks: 2
; NumSGPRsForWavesPerEU: 54
; NumVGPRsForWavesPerEU: 18
; Occupancy: 16
; WaveLimiterHint : 1
; COMPUTE_PGM_RSRC2:SCRATCH_EN: 0
; COMPUTE_PGM_RSRC2:USER_SGPR: 15
; COMPUTE_PGM_RSRC2:TRAP_HANDLER: 0
; COMPUTE_PGM_RSRC2:TGID_X_EN: 1
; COMPUTE_PGM_RSRC2:TGID_Y_EN: 0
; COMPUTE_PGM_RSRC2:TGID_Z_EN: 0
; COMPUTE_PGM_RSRC2:TIDIG_COMP_CNT: 0
	.section	.text._ZN2at6native32elementwise_kernel_manual_unrollILi128ELi4EZNS0_15gpu_kernel_implINS0_11FillFunctorIN3c1011Float8_e5m2EEEEEvRNS_18TensorIteratorBaseERKT_EUlibE_EEviT1_,"axG",@progbits,_ZN2at6native32elementwise_kernel_manual_unrollILi128ELi4EZNS0_15gpu_kernel_implINS0_11FillFunctorIN3c1011Float8_e5m2EEEEEvRNS_18TensorIteratorBaseERKT_EUlibE_EEviT1_,comdat
	.protected	_ZN2at6native32elementwise_kernel_manual_unrollILi128ELi4EZNS0_15gpu_kernel_implINS0_11FillFunctorIN3c1011Float8_e5m2EEEEEvRNS_18TensorIteratorBaseERKT_EUlibE_EEviT1_ ; -- Begin function _ZN2at6native32elementwise_kernel_manual_unrollILi128ELi4EZNS0_15gpu_kernel_implINS0_11FillFunctorIN3c1011Float8_e5m2EEEEEvRNS_18TensorIteratorBaseERKT_EUlibE_EEviT1_
	.globl	_ZN2at6native32elementwise_kernel_manual_unrollILi128ELi4EZNS0_15gpu_kernel_implINS0_11FillFunctorIN3c1011Float8_e5m2EEEEEvRNS_18TensorIteratorBaseERKT_EUlibE_EEviT1_
	.p2align	8
	.type	_ZN2at6native32elementwise_kernel_manual_unrollILi128ELi4EZNS0_15gpu_kernel_implINS0_11FillFunctorIN3c1011Float8_e5m2EEEEEvRNS_18TensorIteratorBaseERKT_EUlibE_EEviT1_,@function
_ZN2at6native32elementwise_kernel_manual_unrollILi128ELi4EZNS0_15gpu_kernel_implINS0_11FillFunctorIN3c1011Float8_e5m2EEEEEvRNS_18TensorIteratorBaseERKT_EUlibE_EEviT1_: ; @_ZN2at6native32elementwise_kernel_manual_unrollILi128ELi4EZNS0_15gpu_kernel_implINS0_11FillFunctorIN3c1011Float8_e5m2EEEEEvRNS_18TensorIteratorBaseERKT_EUlibE_EEviT1_
; %bb.0:
	s_clause 0x1
	s_load_b128 s[4:7], s[0:1], 0x8
	s_load_b32 s22, s[0:1], 0x0
	v_lshl_or_b32 v20, s15, 9, v0
	s_mov_b32 s3, 0
	s_mov_b32 s1, 0
	s_mov_b32 s0, exec_lo
	s_delay_alu instid0(VALU_DEP_1) | instskip(SKIP_2) | instid1(VALU_DEP_2)
	v_or_b32_e32 v0, 0x180, v20
	s_waitcnt lgkmcnt(0)
	v_lshrrev_b16 v10, 8, s7
	v_cmpx_le_i32_e64 s22, v0
	s_xor_b32 s8, exec_lo, s0
	s_cbranch_execz .LBB118_151
; %bb.1:
	s_lshl_b32 s0, s7, 8
	s_lshl_b32 s1, s7, 25
	s_and_b32 s0, s0, 0x7f00
	s_lshr_b32 s2, s1, 4
	s_or_b32 s0, s0, 0.5
	s_or_b32 s2, s2, 0x70000000
	v_add_f32_e64 v0, s0, -0.5
	s_lshl_b32 s0, s7, 24
	v_mul_f32_e64 v1, 0x7800000, s2
	s_and_b32 s0, s0, 0x80000000
	s_cmp_lt_u32 s1, 0x8000000
	s_mov_b32 s25, 0
	s_cselect_b32 vcc_lo, -1, 0
	s_mov_b32 s26, -1
	v_cndmask_b32_e32 v2, v1, v0, vcc_lo
	s_mov_b32 s23, 0
	s_mov_b32 s24, exec_lo
	s_delay_alu instid0(VALU_DEP_1) | instskip(SKIP_3) | instid1(VALU_DEP_4)
	v_readfirstlane_b32 s2, v2
	v_and_b32_e32 v3, 0x400000, v2
	v_bfe_u32 v0, v2, 23, 8
	v_and_b32_e32 v1, 0x3fffff, v2
	s_or_b32 s9, s0, s2
	s_delay_alu instid0(VALU_DEP_3) | instskip(SKIP_1) | instid1(VALU_DEP_3)
	v_cmp_ne_u32_e32 vcc_lo, 0, v3
	v_trunc_f32_e32 v3, s9
	v_or_b32_e32 v1, v0, v1
	v_cmp_eq_u32_e64 s1, 0xff, v0
	s_and_b32 s17, s9, 0x7fffffff
	v_add_f32_e64 v17, 0x46000000, |s9|
	v_mul_f32_e32 v0, 0x2f800000, v3
	v_cmp_ne_u32_e64 s0, 0, v1
	v_mul_f32_e64 v8, 0x2f800000, |v3|
	v_add_f32_e64 v15, 0x42800000, |s9|
	v_cvt_f16_f32_e32 v12, s9
	v_floor_f32_e32 v0, v0
	s_and_b32 s11, vcc_lo, s0
	s_cmp_lt_u32 s17, 0x43800000
	v_readfirstlane_b32 s0, v17
	s_cselect_b32 s20, -1, 0
	v_fmamk_f32 v1, v0, 0xcf800000, v3
	v_cvt_u32_f32_e32 v7, v0
	v_bfe_u32 v0, v2, 21, 1
	v_lshrrev_b32_e32 v4, 23, v2
	s_cmp_gt_u32 s17, 0x3bffffff
	v_cvt_u32_f32_e32 v6, v1
	v_cndmask_b32_e64 v1, 0, 1, s11
	v_add_nc_u32_e32 v0, s9, v0
	v_bfe_u32 v5, v2, 16, 1
	s_cselect_b32 s18, -1, 0
	s_bfe_u32 s2, s2, 0x10014
	v_add_nc_u32_e32 v21, v4, v1
	v_add_nc_u32_e32 v4, 0x88fffff, v0
	v_cvt_f64_f32_e32 v[0:1], s9
	s_add_i32 s2, s9, s2
	s_and_b32 s0, s0, 0xff
	s_add_i32 s10, s2, 0x487ffff
	v_lshrrev_b32_e32 v18, 21, v4
	v_add_nc_u32_e32 v4, s9, v5
	s_lshr_b32 s19, s10, 20
	s_cmp_lg_u32 s0, 0
	v_floor_f32_e32 v5, v8
	s_cselect_b32 s21, -1, 0
	s_lshr_b32 s0, s9, 24
	v_add_nc_u32_e32 v4, 0x7fff, v4
	s_and_b32 s10, s0, 0x80
	v_readfirstlane_b32 s12, v15
	s_cmp_lt_u32 s17, 0x47800000
	v_add_f32_e64 v8, 0x46800000, |s9|
	v_fma_f32 v9, 0xcf800000, v5, |v3|
	s_cselect_b32 s13, -1, 0
	s_cmp_gt_u32 s17, 0x37ffffff
	v_lshrrev_b32_e32 v4, 16, v4
	v_cmp_o_f32_e64 vcc_lo, s9, s9
	s_cselect_b32 s0, -1, 0
	s_and_b32 s12, s12, 0xff
	v_readfirstlane_b32 s16, v8
	v_cvt_u32_f32_e32 v8, v9
	v_ashrrev_i32_e32 v3, 31, v3
	s_cmp_lg_u32 s12, 0
	v_cndmask_b32_e32 v16, 0x7fc0, v4, vcc_lo
	v_cvt_u32_f32_e32 v4, v5
	s_cselect_b32 s14, -1, 0
	s_cmp_gt_u32 s17, 0x43efffff
	v_xor_b32_e32 v5, v8, v3
	s_cselect_b32 s11, -1, 0
	s_cmp_lt_u32 s17, 0x3c800000
	v_cmp_neq_f32_e32 vcc_lo, 0, v2
	s_cselect_b32 s12, -1, 0
	s_add_i32 s2, s2, 0x407ffff
	v_xor_b32_e32 v2, v4, v3
	s_lshr_b32 s15, s2, 20
	s_and_b32 s2, s2, 0xff00000
	v_cndmask_b32_e64 v14, 0, 1, vcc_lo
	v_sub_co_u32 v4, vcc_lo, v5, v3
	s_cmp_lg_u32 s2, 0x7f00000
	v_cvt_u32_f32_e32 v19, s9
	v_and_b32_e32 v13, 0xffff, v12
	v_sub_co_ci_u32_e32 v5, vcc_lo, v2, v3, vcc_lo
	v_cvt_i32_f32_e32 v11, s9
	s_cselect_b32 s15, s15, 0x7e
	s_cmp_gt_u32 s17, 0x7f800000
	s_movk_i32 s2, 0x7f
	s_delay_alu instid0(SALU_CYCLE_1)
	s_cselect_b32 s17, s2, 0x7e
	v_cmpx_gt_i32_e64 s22, v20
	s_cbranch_execz .LBB118_100
; %bb.2:
	v_mul_lo_u32 v2, v20, s6
	v_cmp_gt_i16_e32 vcc_lo, 11, v10
	s_delay_alu instid0(VALU_DEP_2) | instskip(SKIP_1) | instid1(VALU_DEP_1)
	v_ashrrev_i32_e32 v3, 31, v2
	v_add_co_u32 v8, s2, s4, v2
	v_add_co_ci_u32_e64 v9, s2, s5, v3, s2
	s_cbranch_vccnz .LBB118_9
; %bb.3:
	v_cmp_lt_i16_e32 vcc_lo, 25, v10
	s_cbranch_vccz .LBB118_12
; %bb.4:
	v_cmp_lt_i16_e32 vcc_lo, 28, v10
	s_cbranch_vccz .LBB118_13
	;; [unrolled: 3-line block ×4, first 2 shown]
; %bb.7:
	v_cmp_eq_u16_e32 vcc_lo, 46, v10
	s_mov_b32 s26, 0
	s_mov_b32 s2, -1
	s_cbranch_vccz .LBB118_16
; %bb.8:
	s_mov_b32 s23, -1
	s_mov_b32 s2, 0
	global_store_b32 v[8:9], v16, off
	s_branch .LBB118_16
.LBB118_9:
	s_mov_b32 s2, 0
	s_and_b32 vcc_lo, exec_lo, s26
	s_cbranch_vccnz .LBB118_60
.LBB118_10:
	s_and_not1_b32 vcc_lo, exec_lo, s23
	s_cbranch_vccnz .LBB118_98
.LBB118_11:
	v_add_nc_u32_e32 v20, 0x80, v20
	s_mov_b32 s26, -1
	s_branch .LBB118_99
.LBB118_12:
	s_mov_b32 s2, 0
	s_and_b32 vcc_lo, exec_lo, s26
	s_cbranch_vccnz .LBB118_38
	s_branch .LBB118_59
.LBB118_13:
	s_mov_b32 s2, 0
	s_branch .LBB118_24
.LBB118_14:
	s_mov_b32 s2, 0
	s_branch .LBB118_20
.LBB118_15:
	s_mov_b32 s2, 0
.LBB118_16:
	s_and_b32 vcc_lo, exec_lo, s26
	s_cbranch_vccz .LBB118_19
; %bb.17:
	v_cmp_eq_u16_e32 vcc_lo, 44, v10
	s_mov_b32 s2, -1
	s_cbranch_vccz .LBB118_19
; %bb.18:
	v_cndmask_b32_e64 v2, v21, 0xff, s1
	s_mov_b32 s23, -1
	s_mov_b32 s2, 0
	s_mov_b32 s26, 0
	global_store_b8 v[8:9], v2, off
	s_branch .LBB118_20
.LBB118_19:
	s_mov_b32 s26, 0
.LBB118_20:
	s_delay_alu instid0(SALU_CYCLE_1)
	s_and_b32 vcc_lo, exec_lo, s26
	s_cbranch_vccz .LBB118_23
; %bb.21:
	v_cmp_eq_u16_e32 vcc_lo, 29, v10
	s_mov_b32 s2, -1
	s_cbranch_vccz .LBB118_23
; %bb.22:
	s_mov_b32 s23, -1
	s_mov_b32 s2, 0
	global_store_b64 v[8:9], v[6:7], off
.LBB118_23:
	s_mov_b32 s26, 0
.LBB118_24:
	s_delay_alu instid0(SALU_CYCLE_1)
	s_and_b32 vcc_lo, exec_lo, s26
	s_cbranch_vccz .LBB118_37
; %bb.25:
	v_cmp_gt_i16_e32 vcc_lo, 27, v10
	s_mov_b32 s23, -1
	s_cbranch_vccnz .LBB118_31
; %bb.26:
	v_cmp_lt_i16_e32 vcc_lo, 27, v10
	s_cbranch_vccz .LBB118_28
; %bb.27:
	s_mov_b32 s23, 0
	global_store_b32 v[8:9], v19, off
.LBB118_28:
	s_and_not1_b32 vcc_lo, exec_lo, s23
	s_cbranch_vccnz .LBB118_30
; %bb.29:
	global_store_b16 v[8:9], v19, off
.LBB118_30:
	s_mov_b32 s23, 0
.LBB118_31:
	s_delay_alu instid0(SALU_CYCLE_1)
	s_and_not1_b32 vcc_lo, exec_lo, s23
	s_cbranch_vccnz .LBB118_36
; %bb.32:
	v_mov_b32_e32 v2, 0x80
	s_and_not1_b32 vcc_lo, exec_lo, s20
	s_cbranch_vccnz .LBB118_35
; %bb.33:
	v_mov_b32_e32 v2, 0
	s_or_b32 s23, s18, s21
	s_delay_alu instid0(SALU_CYCLE_1)
	s_and_not1_b32 vcc_lo, exec_lo, s23
	s_cbranch_vccnz .LBB118_35
; %bb.34:
	v_cndmask_b32_e64 v2, v17, s19, s18
	s_delay_alu instid0(VALU_DEP_1)
	v_or_b32_e32 v2, s10, v2
.LBB118_35:
	global_store_b8 v[8:9], v2, off
.LBB118_36:
	s_mov_b32 s23, -1
.LBB118_37:
	s_branch .LBB118_59
.LBB118_38:
	v_cmp_lt_i16_e32 vcc_lo, 22, v10
	s_mov_b32 s26, -1
	s_cbranch_vccz .LBB118_51
; %bb.39:
	v_cmp_gt_i16_e32 vcc_lo, 24, v10
	s_mov_b32 s23, -1
	s_cbranch_vccnz .LBB118_48
; %bb.40:
	v_cmp_lt_i16_e32 vcc_lo, 24, v10
	s_cbranch_vccz .LBB118_45
; %bb.41:
	v_mov_b32_e32 v2, 0x80
	s_and_not1_b32 vcc_lo, exec_lo, s13
	s_cbranch_vccnz .LBB118_44
; %bb.42:
	v_mov_b32_e32 v2, 0
	s_or_b32 s23, s0, s14
	s_delay_alu instid0(SALU_CYCLE_1)
	s_and_not1_b32 vcc_lo, exec_lo, s23
	s_cbranch_vccnz .LBB118_44
; %bb.43:
	v_cndmask_b32_e64 v2, v15, v18, s0
	s_delay_alu instid0(VALU_DEP_1)
	v_or_b32_e32 v2, s10, v2
.LBB118_44:
	s_mov_b32 s23, 0
	global_store_b8 v[8:9], v2, off
.LBB118_45:
	s_and_b32 vcc_lo, exec_lo, s23
	s_cbranch_vccz .LBB118_47
; %bb.46:
	s_and_b32 s23, s12, exec_lo
	s_cselect_b32 s23, s16, s15
	s_and_b32 s26, s11, exec_lo
	s_cselect_b32 s23, s17, s23
	s_delay_alu instid0(SALU_CYCLE_1) | instskip(NEXT) | instid1(SALU_CYCLE_1)
	s_or_b32 s23, s23, s10
	v_mov_b32_e32 v2, s23
	global_store_b8 v[8:9], v2, off
.LBB118_47:
	s_mov_b32 s23, 0
.LBB118_48:
	s_delay_alu instid0(SALU_CYCLE_1)
	s_and_not1_b32 vcc_lo, exec_lo, s23
	s_cbranch_vccnz .LBB118_50
; %bb.49:
	v_mov_b32_e32 v2, s7
	global_store_b8 v[8:9], v2, off
.LBB118_50:
	s_mov_b32 s26, 0
	s_mov_b32 s23, -1
.LBB118_51:
	s_and_not1_b32 vcc_lo, exec_lo, s26
	s_cbranch_vccnz .LBB118_59
; %bb.52:
	v_cmp_lt_i16_e32 vcc_lo, 14, v10
	s_mov_b32 s26, -1
	s_cbranch_vccz .LBB118_56
; %bb.53:
	v_cmp_eq_u16_e32 vcc_lo, 15, v10
	s_mov_b32 s2, -1
	s_cbranch_vccz .LBB118_55
; %bb.54:
	s_mov_b32 s23, -1
	s_mov_b32 s2, 0
	global_store_b16 v[8:9], v16, off
.LBB118_55:
	s_mov_b32 s26, 0
.LBB118_56:
	s_delay_alu instid0(SALU_CYCLE_1)
	s_and_b32 vcc_lo, exec_lo, s26
	s_cbranch_vccz .LBB118_59
; %bb.57:
	v_cmp_eq_u16_e32 vcc_lo, 11, v10
	s_mov_b32 s2, -1
	s_cbranch_vccz .LBB118_59
; %bb.58:
	s_mov_b32 s23, -1
	s_mov_b32 s2, 0
	global_store_b8 v[8:9], v14, off
.LBB118_59:
	s_branch .LBB118_10
.LBB118_60:
	v_cmp_gt_i16_e32 vcc_lo, 5, v10
	s_mov_b32 s23, -1
	s_cbranch_vccnz .LBB118_81
; %bb.61:
	v_cmp_gt_i16_e32 vcc_lo, 8, v10
	s_cbranch_vccnz .LBB118_71
; %bb.62:
	v_cmp_gt_i16_e32 vcc_lo, 9, v10
	s_cbranch_vccnz .LBB118_68
; %bb.63:
	v_cmp_lt_i16_e32 vcc_lo, 9, v10
	s_cbranch_vccz .LBB118_65
; %bb.64:
	v_mov_b32_e32 v2, 0
	s_mov_b32 s23, 0
	s_delay_alu instid0(VALU_DEP_1)
	v_mov_b32_e32 v3, v2
	global_store_b128 v[8:9], v[0:3], off
.LBB118_65:
	s_and_not1_b32 vcc_lo, exec_lo, s23
	s_cbranch_vccnz .LBB118_67
; %bb.66:
	v_dual_mov_b32 v2, s9 :: v_dual_mov_b32 v3, 0
	global_store_b64 v[8:9], v[2:3], off
.LBB118_67:
	s_mov_b32 s23, 0
.LBB118_68:
	s_delay_alu instid0(SALU_CYCLE_1)
	s_and_not1_b32 vcc_lo, exec_lo, s23
	s_cbranch_vccnz .LBB118_70
; %bb.69:
	global_store_b32 v[8:9], v13, off
.LBB118_70:
	s_mov_b32 s23, 0
.LBB118_71:
	s_delay_alu instid0(SALU_CYCLE_1)
	s_and_not1_b32 vcc_lo, exec_lo, s23
	s_cbranch_vccnz .LBB118_80
; %bb.72:
	v_cmp_gt_i16_e32 vcc_lo, 6, v10
	s_mov_b32 s23, -1
	s_cbranch_vccnz .LBB118_78
; %bb.73:
	v_cmp_lt_i16_e32 vcc_lo, 6, v10
	s_cbranch_vccz .LBB118_75
; %bb.74:
	s_mov_b32 s23, 0
	global_store_b64 v[8:9], v[0:1], off
.LBB118_75:
	s_and_not1_b32 vcc_lo, exec_lo, s23
	s_cbranch_vccnz .LBB118_77
; %bb.76:
	v_mov_b32_e32 v2, s9
	global_store_b32 v[8:9], v2, off
.LBB118_77:
	s_mov_b32 s23, 0
.LBB118_78:
	s_delay_alu instid0(SALU_CYCLE_1)
	s_and_not1_b32 vcc_lo, exec_lo, s23
	s_cbranch_vccnz .LBB118_80
; %bb.79:
	global_store_b16 v[8:9], v12, off
.LBB118_80:
	s_mov_b32 s23, 0
.LBB118_81:
	s_delay_alu instid0(SALU_CYCLE_1)
	s_and_not1_b32 vcc_lo, exec_lo, s23
	s_cbranch_vccnz .LBB118_97
; %bb.82:
	v_cmp_gt_i16_e32 vcc_lo, 2, v10
	s_mov_b32 s23, -1
	s_cbranch_vccnz .LBB118_92
; %bb.83:
	v_cmp_gt_i16_e32 vcc_lo, 3, v10
	s_cbranch_vccnz .LBB118_89
; %bb.84:
	v_cmp_lt_i16_e32 vcc_lo, 3, v10
	s_cbranch_vccz .LBB118_86
; %bb.85:
	s_mov_b32 s23, 0
	global_store_b64 v[8:9], v[4:5], off
.LBB118_86:
	s_and_not1_b32 vcc_lo, exec_lo, s23
	s_cbranch_vccnz .LBB118_88
; %bb.87:
	global_store_b32 v[8:9], v11, off
.LBB118_88:
	s_mov_b32 s23, 0
.LBB118_89:
	s_delay_alu instid0(SALU_CYCLE_1)
	s_and_not1_b32 vcc_lo, exec_lo, s23
	s_cbranch_vccnz .LBB118_91
; %bb.90:
	global_store_b16 v[8:9], v11, off
.LBB118_91:
	s_mov_b32 s23, 0
.LBB118_92:
	s_delay_alu instid0(SALU_CYCLE_1)
	s_and_not1_b32 vcc_lo, exec_lo, s23
	s_cbranch_vccnz .LBB118_97
; %bb.93:
	v_cmp_lt_i16_e32 vcc_lo, 0, v10
	s_mov_b32 s23, -1
	s_cbranch_vccz .LBB118_95
; %bb.94:
	s_mov_b32 s23, 0
	global_store_b8 v[8:9], v11, off
.LBB118_95:
	s_and_not1_b32 vcc_lo, exec_lo, s23
	s_cbranch_vccnz .LBB118_97
; %bb.96:
	global_store_b8 v[8:9], v4, off
.LBB118_97:
	s_branch .LBB118_11
.LBB118_98:
	s_mov_b32 s26, 0
                                        ; implicit-def: $vgpr20
.LBB118_99:
	s_and_b32 s23, s2, exec_lo
	s_or_not1_b32 s26, s26, exec_lo
.LBB118_100:
	s_or_b32 exec_lo, exec_lo, s24
	s_mov_b32 s2, 0
                                        ; implicit-def: $vgpr8_vgpr9
	s_and_saveexec_b32 s24, s26
	s_cbranch_execz .LBB118_109
; %bb.101:
	s_mov_b32 s2, -1
	s_mov_b32 s25, s23
	s_mov_b32 s26, exec_lo
	v_cmpx_gt_i32_e64 s22, v20
	s_cbranch_execz .LBB118_326
; %bb.102:
	v_mul_lo_u32 v2, v20, s6
	v_cmp_gt_i16_e32 vcc_lo, 11, v10
	s_delay_alu instid0(VALU_DEP_2) | instskip(SKIP_1) | instid1(VALU_DEP_1)
	v_ashrrev_i32_e32 v3, 31, v2
	v_add_co_u32 v8, s2, s4, v2
	v_add_co_ci_u32_e64 v9, s2, s5, v3, s2
	s_cbranch_vccnz .LBB118_219
; %bb.103:
	v_cmp_lt_i16_e32 vcc_lo, 25, v10
	s_cbranch_vccz .LBB118_222
; %bb.104:
	v_cmp_lt_i16_e32 vcc_lo, 28, v10
	s_cbranch_vccz .LBB118_223
	;; [unrolled: 3-line block ×4, first 2 shown]
; %bb.107:
	v_cmp_eq_u16_e32 vcc_lo, 46, v10
	s_mov_b32 s27, 0
	s_mov_b32 s2, -1
	s_mov_b32 s25, 0
	s_cbranch_vccz .LBB118_241
; %bb.108:
	s_mov_b32 s25, -1
	s_mov_b32 s2, 0
	global_store_b32 v[8:9], v16, off
	s_branch .LBB118_241
.LBB118_109:
	s_or_b32 exec_lo, exec_lo, s24
	s_mov_b32 s0, 0
	s_and_saveexec_b32 s1, s23
	s_cbranch_execnz .LBB118_771
.LBB118_110:
	s_or_b32 exec_lo, exec_lo, s1
	s_and_saveexec_b32 s1, s25
	s_delay_alu instid0(SALU_CYCLE_1)
	s_xor_b32 s1, exec_lo, s1
	s_cbranch_execz .LBB118_112
.LBB118_111:
	global_store_b8 v[8:9], v14, off
.LBB118_112:
	s_or_b32 exec_lo, exec_lo, s1
	s_and_saveexec_b32 s1, s2
	s_delay_alu instid0(SALU_CYCLE_1)
	s_xor_b32 s1, exec_lo, s1
	s_cbranch_execz .LBB118_150
; %bb.113:
	v_cmp_gt_i16_e32 vcc_lo, 5, v10
	s_mov_b32 s2, -1
	s_cbranch_vccnz .LBB118_134
; %bb.114:
	v_cmp_gt_i16_e32 vcc_lo, 8, v10
	s_cbranch_vccnz .LBB118_124
; %bb.115:
	v_cmp_gt_i16_e32 vcc_lo, 9, v10
	s_cbranch_vccnz .LBB118_121
; %bb.116:
	v_cmp_lt_i16_e32 vcc_lo, 9, v10
	s_cbranch_vccz .LBB118_118
; %bb.117:
	v_mov_b32_e32 v2, 0
	s_mov_b32 s2, 0
	s_delay_alu instid0(VALU_DEP_1)
	v_mov_b32_e32 v3, v2
	global_store_b128 v[8:9], v[0:3], off
.LBB118_118:
	s_and_not1_b32 vcc_lo, exec_lo, s2
	s_cbranch_vccnz .LBB118_120
; %bb.119:
	v_dual_mov_b32 v2, s9 :: v_dual_mov_b32 v3, 0
	global_store_b64 v[8:9], v[2:3], off
.LBB118_120:
	s_mov_b32 s2, 0
.LBB118_121:
	s_delay_alu instid0(SALU_CYCLE_1)
	s_and_not1_b32 vcc_lo, exec_lo, s2
	s_cbranch_vccnz .LBB118_123
; %bb.122:
	global_store_b32 v[8:9], v13, off
.LBB118_123:
	s_mov_b32 s2, 0
.LBB118_124:
	s_delay_alu instid0(SALU_CYCLE_1)
	s_and_not1_b32 vcc_lo, exec_lo, s2
	s_cbranch_vccnz .LBB118_133
; %bb.125:
	v_cmp_gt_i16_e32 vcc_lo, 6, v10
	s_mov_b32 s2, -1
	s_cbranch_vccnz .LBB118_131
; %bb.126:
	v_cmp_lt_i16_e32 vcc_lo, 6, v10
	s_cbranch_vccz .LBB118_128
; %bb.127:
	s_mov_b32 s2, 0
	global_store_b64 v[8:9], v[0:1], off
.LBB118_128:
	s_and_not1_b32 vcc_lo, exec_lo, s2
	s_cbranch_vccnz .LBB118_130
; %bb.129:
	v_mov_b32_e32 v0, s9
	global_store_b32 v[8:9], v0, off
.LBB118_130:
	s_mov_b32 s2, 0
.LBB118_131:
	s_delay_alu instid0(SALU_CYCLE_1)
	s_and_not1_b32 vcc_lo, exec_lo, s2
	s_cbranch_vccnz .LBB118_133
; %bb.132:
	global_store_b16 v[8:9], v12, off
.LBB118_133:
	s_mov_b32 s2, 0
.LBB118_134:
	s_delay_alu instid0(SALU_CYCLE_1)
	s_and_not1_b32 vcc_lo, exec_lo, s2
	s_cbranch_vccnz .LBB118_150
; %bb.135:
	v_cmp_gt_i16_e32 vcc_lo, 2, v10
	s_mov_b32 s2, -1
	s_cbranch_vccnz .LBB118_145
; %bb.136:
	v_cmp_gt_i16_e32 vcc_lo, 3, v10
	s_cbranch_vccnz .LBB118_142
; %bb.137:
	v_cmp_lt_i16_e32 vcc_lo, 3, v10
	s_cbranch_vccz .LBB118_139
; %bb.138:
	s_mov_b32 s2, 0
	global_store_b64 v[8:9], v[4:5], off
.LBB118_139:
	s_and_not1_b32 vcc_lo, exec_lo, s2
	s_cbranch_vccnz .LBB118_141
; %bb.140:
	global_store_b32 v[8:9], v11, off
.LBB118_141:
	s_mov_b32 s2, 0
.LBB118_142:
	s_delay_alu instid0(SALU_CYCLE_1)
	s_and_not1_b32 vcc_lo, exec_lo, s2
	s_cbranch_vccnz .LBB118_144
; %bb.143:
	global_store_b16 v[8:9], v11, off
.LBB118_144:
	s_mov_b32 s2, 0
.LBB118_145:
	s_delay_alu instid0(SALU_CYCLE_1)
	s_and_not1_b32 vcc_lo, exec_lo, s2
	s_cbranch_vccnz .LBB118_150
; %bb.146:
	v_cmp_lt_i16_e32 vcc_lo, 0, v10
	s_mov_b32 s2, -1
	s_cbranch_vccz .LBB118_148
; %bb.147:
	s_mov_b32 s2, 0
	global_store_b8 v[8:9], v11, off
.LBB118_148:
	s_and_not1_b32 vcc_lo, exec_lo, s2
	s_cbranch_vccnz .LBB118_150
; %bb.149:
	global_store_b8 v[8:9], v4, off
.LBB118_150:
	s_or_b32 exec_lo, exec_lo, s1
	s_delay_alu instid0(SALU_CYCLE_1)
	s_and_b32 s1, s0, exec_lo
                                        ; implicit-def: $vgpr10
                                        ; implicit-def: $vgpr20
.LBB118_151:
	s_or_saveexec_b32 s2, s8
	s_mov_b32 s0, 0
                                        ; implicit-def: $vgpr0_vgpr1
	s_xor_b32 exec_lo, exec_lo, s2
	s_cbranch_execz .LBB118_665
; %bb.152:
	v_mul_lo_u32 v2, s6, v20
	v_cmp_gt_i16_e32 vcc_lo, 11, v10
	s_delay_alu instid0(VALU_DEP_2) | instskip(SKIP_1) | instid1(VALU_DEP_1)
	v_ashrrev_i32_e32 v1, 31, v2
	v_add_co_u32 v0, s0, s4, v2
	v_add_co_ci_u32_e64 v1, s0, s5, v1, s0
	s_cbranch_vccnz .LBB118_180
; %bb.153:
	v_cmp_lt_i16_e32 vcc_lo, 25, v10
	s_mov_b32 s3, -1
	s_mov_b32 s8, 0
	s_mov_b32 s9, 0
	;; [unrolled: 1-line block ×3, first 2 shown]
	s_cbranch_vccz .LBB118_233
; %bb.154:
	v_cmp_lt_i16_e32 vcc_lo, 28, v10
	s_cbranch_vccz .LBB118_169
; %bb.155:
	v_cmp_lt_i16_e32 vcc_lo, 43, v10
	;; [unrolled: 3-line block ×3, first 2 shown]
	s_cbranch_vccz .LBB118_159
; %bb.157:
	v_cmp_eq_u16_e32 vcc_lo, 46, v10
	s_mov_b32 s0, -1
	s_mov_b32 s3, 0
	s_cbranch_vccz .LBB118_159
; %bb.158:
	s_lshl_b32 s0, s7, 8
	s_lshl_b32 s9, s7, 25
	s_and_b32 s0, s0, 0x7f00
	s_lshr_b32 s10, s9, 4
	s_or_b32 s0, s0, 0.5
	s_or_b32 s10, s10, 0x70000000
	v_add_f32_e64 v3, s0, -0.5
	v_mul_f32_e64 v4, 0x7800000, s10
	s_cmp_lt_u32 s9, 0x8000000
	s_mov_b32 s9, -1
	s_cselect_b32 vcc_lo, -1, 0
	s_lshl_b32 s0, s7, 24
	v_cndmask_b32_e32 v3, v4, v3, vcc_lo
	s_and_b32 s0, s0, 0x80000000
	s_delay_alu instid0(VALU_DEP_1) | instid1(SALU_CYCLE_1)
	v_or_b32_e32 v4, s0, v3
	v_bfe_u32 v3, v3, 16, 1
	s_mov_b32 s0, 0
	s_delay_alu instid0(VALU_DEP_2) | instskip(NEXT) | instid1(VALU_DEP_2)
	v_cmp_o_f32_e32 vcc_lo, v4, v4
	v_add_nc_u32_e32 v3, v4, v3
	s_delay_alu instid0(VALU_DEP_1) | instskip(NEXT) | instid1(VALU_DEP_1)
	v_add_nc_u32_e32 v3, 0x7fff, v3
	v_lshrrev_b32_e32 v3, 16, v3
	s_delay_alu instid0(VALU_DEP_1)
	v_cndmask_b32_e32 v3, 0x7fc0, v3, vcc_lo
	global_store_b32 v[0:1], v3, off
.LBB118_159:
	s_and_b32 vcc_lo, exec_lo, s3
	s_cbranch_vccz .LBB118_164
; %bb.160:
	v_cmp_eq_u16_e32 vcc_lo, 44, v10
	s_mov_b32 s0, -1
	s_cbranch_vccz .LBB118_164
; %bb.161:
	s_lshl_b32 s0, s7, 8
	s_lshl_b32 s3, s7, 25
	s_and_b32 s0, s0, 0x7f00
	s_lshr_b32 s9, s3, 4
	s_or_b32 s0, s0, 0.5
	s_or_b32 s9, s9, 0x70000000
	v_add_f32_e64 v3, s0, -0.5
	v_mul_f32_e64 v4, 0x7800000, s9
	s_cmp_lt_u32 s3, 0x8000000
	s_cselect_b32 vcc_lo, -1, 0
	s_delay_alu instid0(VALU_DEP_1) | instskip(NEXT) | instid1(VALU_DEP_1)
	v_dual_cndmask_b32 v3, v4, v3 :: v_dual_mov_b32 v4, 0xff
	v_readfirstlane_b32 s0, v3
	s_delay_alu instid0(VALU_DEP_1) | instskip(NEXT) | instid1(SALU_CYCLE_1)
	s_bfe_u32 s3, s0, 0x80017
	s_cmpk_eq_i32 s3, 0xff
	s_cbranch_scc1 .LBB118_163
; %bb.162:
	s_bitcmp1_b32 s0, 22
	v_lshrrev_b32_e32 v3, 23, v3
	s_cselect_b32 s9, -1, 0
	s_and_b32 s0, s0, 0x3fffff
	s_delay_alu instid0(SALU_CYCLE_1) | instskip(NEXT) | instid1(SALU_CYCLE_1)
	s_or_b32 s0, s3, s0
	s_cmp_lg_u32 s0, 0
	s_cselect_b32 s0, -1, 0
	s_delay_alu instid0(SALU_CYCLE_1) | instskip(NEXT) | instid1(SALU_CYCLE_1)
	s_and_b32 s0, s9, s0
	v_cndmask_b32_e64 v4, 0, 1, s0
	s_delay_alu instid0(VALU_DEP_1)
	v_add_nc_u32_e32 v4, v3, v4
.LBB118_163:
	s_mov_b32 s0, 0
	s_mov_b32 s9, -1
	global_store_b8 v[0:1], v4, off
.LBB118_164:
	s_mov_b32 s3, 0
.LBB118_165:
	s_delay_alu instid0(SALU_CYCLE_1)
	s_and_b32 vcc_lo, exec_lo, s3
	s_cbranch_vccz .LBB118_168
; %bb.166:
	v_cmp_eq_u16_e32 vcc_lo, 29, v10
	s_mov_b32 s0, -1
	s_cbranch_vccz .LBB118_168
; %bb.167:
	s_lshl_b32 s0, s7, 8
	s_lshl_b32 s3, s7, 25
	s_and_b32 s0, s0, 0x7f00
	s_lshr_b32 s9, s3, 4
	s_or_b32 s0, s0, 0.5
	s_or_b32 s9, s9, 0x70000000
	v_add_f32_e64 v3, s0, -0.5
	v_mul_f32_e64 v4, 0x7800000, s9
	s_cmp_lt_u32 s3, 0x8000000
	s_mov_b32 s9, -1
	s_cselect_b32 vcc_lo, -1, 0
	s_lshl_b32 s0, s7, 24
	v_cndmask_b32_e32 v3, v4, v3, vcc_lo
	s_and_b32 s0, s0, 0x80000000
	s_delay_alu instid0(VALU_DEP_1) | instid1(SALU_CYCLE_1)
	v_or_b32_e32 v3, s0, v3
	s_mov_b32 s0, 0
	s_delay_alu instid0(VALU_DEP_1) | instskip(NEXT) | instid1(VALU_DEP_1)
	v_trunc_f32_e32 v3, v3
	v_mul_f32_e32 v4, 0x2f800000, v3
	s_delay_alu instid0(VALU_DEP_1) | instskip(NEXT) | instid1(VALU_DEP_1)
	v_floor_f32_e32 v4, v4
	v_fmamk_f32 v3, v4, 0xcf800000, v3
	v_cvt_u32_f32_e32 v4, v4
	s_delay_alu instid0(VALU_DEP_2)
	v_cvt_u32_f32_e32 v3, v3
	global_store_b64 v[0:1], v[3:4], off
.LBB118_168:
	s_mov_b32 s3, 0
.LBB118_169:
	s_delay_alu instid0(SALU_CYCLE_1)
	s_and_b32 vcc_lo, exec_lo, s3
	s_cbranch_vccz .LBB118_232
; %bb.170:
	v_cmp_gt_i16_e32 vcc_lo, 27, v10
	s_mov_b32 s3, -1
	s_cbranch_vccnz .LBB118_176
; %bb.171:
	v_cmp_lt_i16_e32 vcc_lo, 27, v10
	s_cbranch_vccz .LBB118_173
; %bb.172:
	s_lshl_b32 s3, s7, 8
	s_lshl_b32 s9, s7, 25
	s_and_b32 s3, s3, 0x7f00
	s_lshr_b32 s10, s9, 4
	s_or_b32 s3, s3, 0.5
	s_or_b32 s10, s10, 0x70000000
	v_add_f32_e64 v3, s3, -0.5
	v_mul_f32_e64 v4, 0x7800000, s10
	s_cmp_lt_u32 s9, 0x8000000
	s_cselect_b32 vcc_lo, -1, 0
	s_lshl_b32 s3, s7, 24
	s_delay_alu instid0(VALU_DEP_1)
	v_cndmask_b32_e32 v3, v4, v3, vcc_lo
	s_and_b32 s3, s3, 0x80000000
	s_delay_alu instid0(VALU_DEP_1) | instid1(SALU_CYCLE_1)
	v_or_b32_e32 v3, s3, v3
	s_mov_b32 s3, 0
	s_delay_alu instid0(VALU_DEP_1)
	v_cvt_u32_f32_e32 v3, v3
	global_store_b32 v[0:1], v3, off
.LBB118_173:
	s_and_not1_b32 vcc_lo, exec_lo, s3
	s_cbranch_vccnz .LBB118_175
; %bb.174:
	s_lshl_b32 s3, s7, 8
	s_lshl_b32 s9, s7, 25
	s_and_b32 s3, s3, 0x7f00
	s_lshr_b32 s10, s9, 4
	s_or_b32 s3, s3, 0.5
	s_or_b32 s10, s10, 0x70000000
	v_add_f32_e64 v3, s3, -0.5
	v_mul_f32_e64 v4, 0x7800000, s10
	s_cmp_lt_u32 s9, 0x8000000
	s_cselect_b32 vcc_lo, -1, 0
	s_lshl_b32 s3, s7, 24
	s_delay_alu instid0(VALU_DEP_1)
	v_cndmask_b32_e32 v3, v4, v3, vcc_lo
	s_and_b32 s3, s3, 0x80000000
	s_delay_alu instid0(VALU_DEP_1) | instid1(SALU_CYCLE_1)
	v_or_b32_e32 v3, s3, v3
	s_delay_alu instid0(VALU_DEP_1)
	v_cvt_u32_f32_e32 v3, v3
	global_store_b16 v[0:1], v3, off
.LBB118_175:
	s_mov_b32 s3, 0
.LBB118_176:
	s_delay_alu instid0(SALU_CYCLE_1)
	s_and_not1_b32 vcc_lo, exec_lo, s3
	s_cbranch_vccnz .LBB118_231
; %bb.177:
	s_lshl_b32 s3, s7, 8
	s_lshl_b32 s9, s7, 25
	s_and_b32 s3, s3, 0x7f00
	s_lshr_b32 s10, s9, 4
	s_or_b32 s3, s3, 0.5
	s_or_b32 s10, s10, 0x70000000
	v_add_f32_e64 v3, s3, -0.5
	v_mul_f32_e64 v4, 0x7800000, s10
	s_cmp_lt_u32 s9, 0x8000000
	s_cselect_b32 vcc_lo, -1, 0
	s_lshl_b32 s9, s7, 24
	s_delay_alu instid0(VALU_DEP_1) | instskip(SKIP_1) | instid1(VALU_DEP_1)
	v_dual_cndmask_b32 v3, v4, v3 :: v_dual_mov_b32 v4, 0x80
	s_and_b32 s9, s9, 0x80000000
	v_readfirstlane_b32 s3, v3
	s_delay_alu instid0(VALU_DEP_1) | instskip(NEXT) | instid1(SALU_CYCLE_1)
	s_or_b32 s3, s9, s3
	s_and_b32 s9, s3, 0x7fffffff
	s_delay_alu instid0(SALU_CYCLE_1)
	s_cmp_gt_u32 s9, 0x437fffff
	s_cbranch_scc1 .LBB118_230
; %bb.178:
	s_cmp_gt_u32 s9, 0x3bffffff
	s_cbranch_scc0 .LBB118_225
; %bb.179:
	v_bfe_u32 v3, v3, 20, 1
	s_mov_b32 s10, 0
	s_mov_b32 s9, -1
	s_delay_alu instid0(VALU_DEP_1) | instskip(NEXT) | instid1(VALU_DEP_1)
	v_add_nc_u32_e32 v3, s3, v3
	v_add_nc_u32_e32 v3, 0x487ffff, v3
	s_delay_alu instid0(VALU_DEP_1)
	v_lshrrev_b32_e32 v3, 20, v3
	s_branch .LBB118_226
.LBB118_180:
	s_mov_b32 s9, 0
	s_mov_b32 s3, s1
	s_cbranch_execz .LBB118_372
; %bb.181:
	v_cmp_gt_i16_e32 vcc_lo, 5, v10
	s_mov_b32 s0, -1
	s_cbranch_vccnz .LBB118_202
; %bb.182:
	v_cmp_gt_i16_e32 vcc_lo, 8, v10
	s_cbranch_vccnz .LBB118_192
; %bb.183:
	v_cmp_gt_i16_e32 vcc_lo, 9, v10
	s_cbranch_vccnz .LBB118_189
; %bb.184:
	v_cmp_lt_i16_e32 vcc_lo, 9, v10
	s_cbranch_vccz .LBB118_186
; %bb.185:
	s_lshl_b32 s0, s7, 8
	s_lshl_b32 s8, s7, 25
	s_and_b32 s0, s0, 0x7f00
	s_lshr_b32 s9, s8, 4
	s_or_b32 s0, s0, 0.5
	s_or_b32 s9, s9, 0x70000000
	v_add_f32_e64 v3, s0, -0.5
	v_mul_f32_e64 v4, 0x7800000, s9
	s_cmp_lt_u32 s8, 0x8000000
	v_mov_b32_e32 v5, 0
	s_cselect_b32 vcc_lo, -1, 0
	s_lshl_b32 s0, s7, 24
	v_cndmask_b32_e32 v3, v4, v3, vcc_lo
	s_and_b32 s0, s0, 0x80000000
	v_mov_b32_e32 v6, v5
	s_delay_alu instid0(VALU_DEP_2) | instskip(SKIP_1) | instid1(VALU_DEP_1)
	v_or_b32_e32 v3, s0, v3
	s_mov_b32 s0, 0
	v_cvt_f64_f32_e32 v[3:4], v3
	global_store_b128 v[0:1], v[3:6], off
.LBB118_186:
	s_and_not1_b32 vcc_lo, exec_lo, s0
	s_cbranch_vccnz .LBB118_188
; %bb.187:
	s_lshl_b32 s0, s7, 8
	s_lshl_b32 s8, s7, 25
	s_and_b32 s0, s0, 0x7f00
	s_lshr_b32 s9, s8, 4
	s_or_b32 s0, s0, 0.5
	s_or_b32 s9, s9, 0x70000000
	v_add_f32_e64 v3, s0, -0.5
	v_mul_f32_e64 v4, 0x7800000, s9
	s_cmp_lt_u32 s8, 0x8000000
	s_cselect_b32 vcc_lo, -1, 0
	s_lshl_b32 s0, s7, 24
	s_delay_alu instid0(VALU_DEP_1)
	v_dual_cndmask_b32 v3, v4, v3 :: v_dual_mov_b32 v4, 0
	s_and_b32 s0, s0, 0x80000000
	s_delay_alu instid0(VALU_DEP_1) | instid1(SALU_CYCLE_1)
	v_or_b32_e32 v3, s0, v3
	global_store_b64 v[0:1], v[3:4], off
.LBB118_188:
	s_mov_b32 s0, 0
.LBB118_189:
	s_delay_alu instid0(SALU_CYCLE_1)
	s_and_not1_b32 vcc_lo, exec_lo, s0
	s_cbranch_vccnz .LBB118_191
; %bb.190:
	s_lshl_b32 s0, s7, 8
	s_lshl_b32 s8, s7, 25
	s_and_b32 s0, s0, 0x7f00
	s_lshr_b32 s9, s8, 4
	s_or_b32 s0, s0, 0.5
	s_or_b32 s9, s9, 0x70000000
	v_add_f32_e64 v3, s0, -0.5
	v_mul_f32_e64 v4, 0x7800000, s9
	s_cmp_lt_u32 s8, 0x8000000
	s_cselect_b32 vcc_lo, -1, 0
	s_lshl_b32 s0, s7, 24
	s_delay_alu instid0(VALU_DEP_1)
	v_cndmask_b32_e32 v3, v4, v3, vcc_lo
	s_and_b32 s0, s0, 0x80000000
	s_delay_alu instid0(VALU_DEP_1) | instid1(SALU_CYCLE_1)
	v_or_b32_e32 v3, s0, v3
	s_delay_alu instid0(VALU_DEP_1) | instskip(NEXT) | instid1(VALU_DEP_1)
	v_cvt_f16_f32_e32 v3, v3
	v_and_b32_e32 v3, 0xffff, v3
	global_store_b32 v[0:1], v3, off
.LBB118_191:
	s_mov_b32 s0, 0
.LBB118_192:
	s_delay_alu instid0(SALU_CYCLE_1)
	s_and_not1_b32 vcc_lo, exec_lo, s0
	s_cbranch_vccnz .LBB118_201
; %bb.193:
	v_cmp_gt_i16_e32 vcc_lo, 6, v10
	s_mov_b32 s0, -1
	s_cbranch_vccnz .LBB118_199
; %bb.194:
	v_cmp_lt_i16_e32 vcc_lo, 6, v10
	s_cbranch_vccz .LBB118_196
; %bb.195:
	s_lshl_b32 s0, s7, 8
	s_lshl_b32 s8, s7, 25
	s_and_b32 s0, s0, 0x7f00
	s_lshr_b32 s9, s8, 4
	s_or_b32 s0, s0, 0.5
	s_or_b32 s9, s9, 0x70000000
	v_add_f32_e64 v3, s0, -0.5
	v_mul_f32_e64 v4, 0x7800000, s9
	s_cmp_lt_u32 s8, 0x8000000
	s_cselect_b32 vcc_lo, -1, 0
	s_lshl_b32 s0, s7, 24
	s_delay_alu instid0(VALU_DEP_1)
	v_cndmask_b32_e32 v3, v4, v3, vcc_lo
	s_and_b32 s0, s0, 0x80000000
	s_delay_alu instid0(VALU_DEP_1) | instid1(SALU_CYCLE_1)
	v_or_b32_e32 v3, s0, v3
	s_mov_b32 s0, 0
	s_delay_alu instid0(VALU_DEP_1)
	v_cvt_f64_f32_e32 v[3:4], v3
	global_store_b64 v[0:1], v[3:4], off
.LBB118_196:
	s_and_not1_b32 vcc_lo, exec_lo, s0
	s_cbranch_vccnz .LBB118_198
; %bb.197:
	s_lshl_b32 s0, s7, 8
	s_lshl_b32 s8, s7, 25
	s_and_b32 s0, s0, 0x7f00
	s_lshr_b32 s9, s8, 4
	s_or_b32 s0, s0, 0.5
	s_or_b32 s9, s9, 0x70000000
	v_add_f32_e64 v3, s0, -0.5
	v_mul_f32_e64 v4, 0x7800000, s9
	s_cmp_lt_u32 s8, 0x8000000
	s_cselect_b32 vcc_lo, -1, 0
	s_lshl_b32 s0, s7, 24
	s_delay_alu instid0(VALU_DEP_1)
	v_cndmask_b32_e32 v3, v4, v3, vcc_lo
	s_and_b32 s0, s0, 0x80000000
	s_delay_alu instid0(VALU_DEP_1) | instid1(SALU_CYCLE_1)
	v_or_b32_e32 v3, s0, v3
	global_store_b32 v[0:1], v3, off
.LBB118_198:
	s_mov_b32 s0, 0
.LBB118_199:
	s_delay_alu instid0(SALU_CYCLE_1)
	s_and_not1_b32 vcc_lo, exec_lo, s0
	s_cbranch_vccnz .LBB118_201
; %bb.200:
	s_lshl_b32 s0, s7, 8
	s_lshl_b32 s8, s7, 25
	s_and_b32 s0, s0, 0x7f00
	s_lshr_b32 s9, s8, 4
	s_or_b32 s0, s0, 0.5
	s_or_b32 s9, s9, 0x70000000
	v_add_f32_e64 v3, s0, -0.5
	v_mul_f32_e64 v4, 0x7800000, s9
	s_cmp_lt_u32 s8, 0x8000000
	s_cselect_b32 vcc_lo, -1, 0
	s_lshl_b32 s0, s7, 24
	s_delay_alu instid0(VALU_DEP_1)
	v_cndmask_b32_e32 v3, v4, v3, vcc_lo
	s_and_b32 s0, s0, 0x80000000
	s_delay_alu instid0(VALU_DEP_1) | instid1(SALU_CYCLE_1)
	v_or_b32_e32 v3, s0, v3
	s_delay_alu instid0(VALU_DEP_1)
	v_cvt_f16_f32_e32 v3, v3
	global_store_b16 v[0:1], v3, off
.LBB118_201:
	s_mov_b32 s0, 0
.LBB118_202:
	s_delay_alu instid0(SALU_CYCLE_1)
	s_and_not1_b32 vcc_lo, exec_lo, s0
	s_cbranch_vccnz .LBB118_218
; %bb.203:
	v_cmp_gt_i16_e32 vcc_lo, 2, v10
	s_mov_b32 s0, -1
	s_cbranch_vccnz .LBB118_213
; %bb.204:
	v_cmp_gt_i16_e32 vcc_lo, 3, v10
	s_cbranch_vccnz .LBB118_210
; %bb.205:
	v_cmp_lt_i16_e32 vcc_lo, 3, v10
	s_cbranch_vccz .LBB118_207
; %bb.206:
	s_lshl_b32 s0, s7, 8
	s_lshl_b32 s8, s7, 25
	s_and_b32 s0, s0, 0x7f00
	s_lshr_b32 s9, s8, 4
	s_or_b32 s0, s0, 0.5
	s_or_b32 s9, s9, 0x70000000
	v_add_f32_e64 v3, s0, -0.5
	v_mul_f32_e64 v4, 0x7800000, s9
	s_cmp_lt_u32 s8, 0x8000000
	s_cselect_b32 vcc_lo, -1, 0
	s_lshl_b32 s0, s7, 24
	s_delay_alu instid0(VALU_DEP_1)
	v_cndmask_b32_e32 v3, v4, v3, vcc_lo
	s_and_b32 s0, s0, 0x80000000
	s_delay_alu instid0(VALU_DEP_1) | instid1(SALU_CYCLE_1)
	v_or_b32_e32 v3, s0, v3
	s_mov_b32 s0, 0
	s_delay_alu instid0(VALU_DEP_1) | instskip(NEXT) | instid1(VALU_DEP_1)
	v_trunc_f32_e32 v3, v3
	v_mul_f32_e64 v4, 0x2f800000, |v3|
	v_ashrrev_i32_e32 v6, 31, v3
	s_delay_alu instid0(VALU_DEP_2) | instskip(NEXT) | instid1(VALU_DEP_1)
	v_floor_f32_e32 v4, v4
	v_fma_f32 v5, 0xcf800000, v4, |v3|
	v_cvt_u32_f32_e32 v4, v4
	s_delay_alu instid0(VALU_DEP_2) | instskip(NEXT) | instid1(VALU_DEP_2)
	v_cvt_u32_f32_e32 v3, v5
	v_xor_b32_e32 v4, v4, v6
	s_delay_alu instid0(VALU_DEP_2) | instskip(NEXT) | instid1(VALU_DEP_1)
	v_xor_b32_e32 v3, v3, v6
	v_sub_co_u32 v3, vcc_lo, v3, v6
	s_delay_alu instid0(VALU_DEP_3)
	v_sub_co_ci_u32_e32 v4, vcc_lo, v4, v6, vcc_lo
	global_store_b64 v[0:1], v[3:4], off
.LBB118_207:
	s_and_not1_b32 vcc_lo, exec_lo, s0
	s_cbranch_vccnz .LBB118_209
; %bb.208:
	s_lshl_b32 s0, s7, 8
	s_lshl_b32 s8, s7, 25
	s_and_b32 s0, s0, 0x7f00
	s_lshr_b32 s9, s8, 4
	s_or_b32 s0, s0, 0.5
	s_or_b32 s9, s9, 0x70000000
	v_add_f32_e64 v3, s0, -0.5
	v_mul_f32_e64 v4, 0x7800000, s9
	s_cmp_lt_u32 s8, 0x8000000
	s_cselect_b32 vcc_lo, -1, 0
	s_lshl_b32 s0, s7, 24
	s_delay_alu instid0(VALU_DEP_1)
	v_cndmask_b32_e32 v3, v4, v3, vcc_lo
	s_and_b32 s0, s0, 0x80000000
	s_delay_alu instid0(VALU_DEP_1) | instid1(SALU_CYCLE_1)
	v_or_b32_e32 v3, s0, v3
	s_delay_alu instid0(VALU_DEP_1)
	v_cvt_i32_f32_e32 v3, v3
	global_store_b32 v[0:1], v3, off
.LBB118_209:
	s_mov_b32 s0, 0
.LBB118_210:
	s_delay_alu instid0(SALU_CYCLE_1)
	s_and_not1_b32 vcc_lo, exec_lo, s0
	s_cbranch_vccnz .LBB118_212
; %bb.211:
	s_lshl_b32 s0, s7, 8
	s_lshl_b32 s8, s7, 25
	s_and_b32 s0, s0, 0x7f00
	s_lshr_b32 s9, s8, 4
	s_or_b32 s0, s0, 0.5
	s_or_b32 s9, s9, 0x70000000
	v_add_f32_e64 v3, s0, -0.5
	v_mul_f32_e64 v4, 0x7800000, s9
	s_cmp_lt_u32 s8, 0x8000000
	s_cselect_b32 vcc_lo, -1, 0
	s_lshl_b32 s0, s7, 24
	s_delay_alu instid0(VALU_DEP_1)
	v_cndmask_b32_e32 v3, v4, v3, vcc_lo
	s_and_b32 s0, s0, 0x80000000
	s_delay_alu instid0(VALU_DEP_1) | instid1(SALU_CYCLE_1)
	v_or_b32_e32 v3, s0, v3
	s_delay_alu instid0(VALU_DEP_1)
	v_cvt_i32_f32_e32 v3, v3
	global_store_b16 v[0:1], v3, off
.LBB118_212:
	s_mov_b32 s0, 0
.LBB118_213:
	s_delay_alu instid0(SALU_CYCLE_1)
	s_and_not1_b32 vcc_lo, exec_lo, s0
	s_cbranch_vccnz .LBB118_218
; %bb.214:
	v_cmp_lt_i16_e32 vcc_lo, 0, v10
	s_mov_b32 s0, -1
	s_cbranch_vccz .LBB118_216
; %bb.215:
	s_lshl_b32 s0, s7, 8
	s_lshl_b32 s8, s7, 25
	s_and_b32 s0, s0, 0x7f00
	s_lshr_b32 s9, s8, 4
	s_or_b32 s0, s0, 0.5
	s_or_b32 s9, s9, 0x70000000
	v_add_f32_e64 v3, s0, -0.5
	v_mul_f32_e64 v4, 0x7800000, s9
	s_cmp_lt_u32 s8, 0x8000000
	s_cselect_b32 vcc_lo, -1, 0
	s_lshl_b32 s0, s7, 24
	s_delay_alu instid0(VALU_DEP_1)
	v_cndmask_b32_e32 v3, v4, v3, vcc_lo
	s_and_b32 s0, s0, 0x80000000
	s_delay_alu instid0(VALU_DEP_1) | instid1(SALU_CYCLE_1)
	v_or_b32_e32 v3, s0, v3
	s_mov_b32 s0, 0
	s_delay_alu instid0(VALU_DEP_1)
	v_cvt_i32_f32_e32 v3, v3
	global_store_b8 v[0:1], v3, off
.LBB118_216:
	s_and_not1_b32 vcc_lo, exec_lo, s0
	s_cbranch_vccnz .LBB118_218
; %bb.217:
	s_lshl_b32 s0, s7, 8
	s_lshl_b32 s8, s7, 25
	s_and_b32 s0, s0, 0x7f00
	s_lshr_b32 s9, s8, 4
	s_or_b32 s0, s0, 0.5
	s_or_b32 s9, s9, 0x70000000
	v_add_f32_e64 v3, s0, -0.5
	v_mul_f32_e64 v4, 0x7800000, s9
	s_cmp_lt_u32 s8, 0x8000000
	s_cselect_b32 vcc_lo, -1, 0
	s_lshl_b32 s0, s7, 24
	s_delay_alu instid0(VALU_DEP_1)
	v_cndmask_b32_e32 v3, v4, v3, vcc_lo
	s_and_b32 s0, s0, 0x80000000
	s_delay_alu instid0(VALU_DEP_1) | instid1(SALU_CYCLE_1)
	v_or_b32_e32 v3, s0, v3
	s_delay_alu instid0(VALU_DEP_1) | instskip(NEXT) | instid1(VALU_DEP_1)
	v_trunc_f32_e32 v3, v3
	v_mul_f32_e64 v4, 0x2f800000, |v3|
	s_delay_alu instid0(VALU_DEP_1) | instskip(NEXT) | instid1(VALU_DEP_1)
	v_floor_f32_e32 v4, v4
	v_fma_f32 v4, 0xcf800000, v4, |v3|
	v_ashrrev_i32_e32 v3, 31, v3
	s_delay_alu instid0(VALU_DEP_2) | instskip(NEXT) | instid1(VALU_DEP_1)
	v_cvt_u32_f32_e32 v4, v4
	v_xor_b32_e32 v4, v4, v3
	s_delay_alu instid0(VALU_DEP_1)
	v_sub_nc_u32_e32 v3, v4, v3
	global_store_b8 v[0:1], v3, off
.LBB118_218:
	s_branch .LBB118_373
.LBB118_219:
	s_mov_b32 s25, 0
	s_mov_b32 s2, s23
	s_cbranch_execnz .LBB118_286
.LBB118_220:
	s_and_not1_b32 vcc_lo, exec_lo, s25
	s_cbranch_vccnz .LBB118_324
.LBB118_221:
	v_add_nc_u32_e32 v20, 0x80, v20
	s_mov_b32 s27, -1
	s_branch .LBB118_325
.LBB118_222:
	s_mov_b32 s27, -1
	s_mov_b32 s25, 0
	s_mov_b32 s2, s23
	s_branch .LBB118_263
.LBB118_223:
	s_mov_b32 s27, -1
	s_mov_b32 s25, 0
	s_mov_b32 s2, s23
	s_branch .LBB118_249
.LBB118_224:
	s_mov_b32 s27, -1
	s_mov_b32 s25, 0
	s_mov_b32 s2, s23
	s_branch .LBB118_245
.LBB118_225:
	s_mov_b32 s10, -1
	s_mov_b32 s9, 0
                                        ; implicit-def: $vgpr3
.LBB118_226:
	s_and_not1_b32 vcc_lo, exec_lo, s10
                                        ; implicit-def: $sgpr10
	s_cbranch_vccnz .LBB118_228
; %bb.227:
	v_add_f32_e64 v3, 0x46000000, |s3|
	s_mov_b32 s10, 0
	s_delay_alu instid0(VALU_DEP_1) | instskip(NEXT) | instid1(VALU_DEP_1)
	v_and_b32_e32 v3, 0xff, v3
	v_cmp_ne_u32_e64 s9, 0, v3
.LBB118_228:
	v_mov_b32_e32 v4, s10
	s_delay_alu instid0(VALU_DEP_2)
	s_and_not1_b32 vcc_lo, exec_lo, s9
	s_cbranch_vccnz .LBB118_230
; %bb.229:
	s_lshr_b32 s3, s3, 24
	s_delay_alu instid0(SALU_CYCLE_1) | instskip(NEXT) | instid1(SALU_CYCLE_1)
	s_and_b32 s3, s3, 0x80
	v_or_b32_e32 v4, s3, v3
.LBB118_230:
	global_store_b8 v[0:1], v4, off
.LBB118_231:
	s_mov_b32 s9, -1
.LBB118_232:
	s_mov_b32 s3, 0
.LBB118_233:
	s_delay_alu instid0(SALU_CYCLE_1)
	s_and_b32 vcc_lo, exec_lo, s3
	s_cbranch_vccz .LBB118_368
; %bb.234:
	v_cmp_lt_i16_e32 vcc_lo, 22, v10
	s_mov_b32 s3, -1
	s_cbranch_vccz .LBB118_361
; %bb.235:
	v_cmp_gt_i16_e32 vcc_lo, 24, v10
	s_cbranch_vccnz .LBB118_358
; %bb.236:
	v_cmp_lt_i16_e32 vcc_lo, 24, v10
	s_cbranch_vccz .LBB118_345
; %bb.237:
	s_lshl_b32 s3, s7, 8
	s_lshl_b32 s8, s7, 25
	s_and_b32 s3, s3, 0x7f00
	s_lshr_b32 s9, s8, 4
	s_or_b32 s3, s3, 0.5
	s_or_b32 s9, s9, 0x70000000
	v_add_f32_e64 v3, s3, -0.5
	v_mul_f32_e64 v4, 0x7800000, s9
	s_cmp_lt_u32 s8, 0x8000000
	s_cselect_b32 vcc_lo, -1, 0
	s_lshl_b32 s8, s7, 24
	s_delay_alu instid0(VALU_DEP_1) | instskip(SKIP_1) | instid1(VALU_DEP_1)
	v_dual_cndmask_b32 v3, v4, v3 :: v_dual_mov_b32 v4, 0x80
	s_and_b32 s8, s8, 0x80000000
	v_readfirstlane_b32 s3, v3
	s_delay_alu instid0(VALU_DEP_1) | instskip(NEXT) | instid1(SALU_CYCLE_1)
	s_or_b32 s3, s8, s3
	s_and_b32 s8, s3, 0x7fffffff
	s_delay_alu instid0(SALU_CYCLE_1)
	s_cmp_gt_u32 s8, 0x477fffff
	s_cbranch_scc1 .LBB118_344
; %bb.238:
	s_cmp_gt_u32 s8, 0x37ffffff
	s_cbranch_scc0 .LBB118_339
; %bb.239:
	v_bfe_u32 v3, v3, 21, 1
	s_mov_b32 s9, 0
	s_mov_b32 s8, -1
	s_delay_alu instid0(VALU_DEP_1) | instskip(NEXT) | instid1(VALU_DEP_1)
	v_add_nc_u32_e32 v3, s3, v3
	v_add_nc_u32_e32 v3, 0x88fffff, v3
	s_delay_alu instid0(VALU_DEP_1)
	v_lshrrev_b32_e32 v3, 21, v3
	s_branch .LBB118_340
.LBB118_240:
	s_mov_b32 s27, -1
	s_mov_b32 s25, 0
	s_mov_b32 s2, s23
.LBB118_241:
	s_and_b32 vcc_lo, exec_lo, s27
	s_cbranch_vccz .LBB118_244
; %bb.242:
	v_cmp_eq_u16_e32 vcc_lo, 44, v10
	s_mov_b32 s2, -1
	s_cbranch_vccz .LBB118_244
; %bb.243:
	v_cndmask_b32_e64 v2, v21, 0xff, s1
	s_mov_b32 s25, -1
	s_mov_b32 s2, 0
	global_store_b8 v[8:9], v2, off
.LBB118_244:
	s_mov_b32 s27, 0
.LBB118_245:
	s_delay_alu instid0(SALU_CYCLE_1)
	s_and_b32 vcc_lo, exec_lo, s27
	s_cbranch_vccz .LBB118_248
; %bb.246:
	v_cmp_eq_u16_e32 vcc_lo, 29, v10
	s_mov_b32 s2, -1
	s_cbranch_vccz .LBB118_248
; %bb.247:
	s_mov_b32 s25, -1
	s_mov_b32 s2, 0
	global_store_b64 v[8:9], v[6:7], off
.LBB118_248:
	s_mov_b32 s27, 0
.LBB118_249:
	s_delay_alu instid0(SALU_CYCLE_1)
	s_and_b32 vcc_lo, exec_lo, s27
	s_cbranch_vccz .LBB118_262
; %bb.250:
	v_cmp_gt_i16_e32 vcc_lo, 27, v10
	s_mov_b32 s25, -1
	s_cbranch_vccnz .LBB118_256
; %bb.251:
	v_cmp_lt_i16_e32 vcc_lo, 27, v10
	s_cbranch_vccz .LBB118_253
; %bb.252:
	s_mov_b32 s25, 0
	global_store_b32 v[8:9], v19, off
.LBB118_253:
	s_and_not1_b32 vcc_lo, exec_lo, s25
	s_cbranch_vccnz .LBB118_255
; %bb.254:
	global_store_b16 v[8:9], v19, off
.LBB118_255:
	s_mov_b32 s25, 0
.LBB118_256:
	s_delay_alu instid0(SALU_CYCLE_1)
	s_and_not1_b32 vcc_lo, exec_lo, s25
	s_cbranch_vccnz .LBB118_261
; %bb.257:
	v_mov_b32_e32 v2, 0x80
	s_and_not1_b32 vcc_lo, exec_lo, s20
	s_cbranch_vccnz .LBB118_260
; %bb.258:
	v_mov_b32_e32 v2, 0
	s_or_b32 s25, s18, s21
	s_delay_alu instid0(SALU_CYCLE_1)
	s_and_not1_b32 vcc_lo, exec_lo, s25
	s_cbranch_vccnz .LBB118_260
; %bb.259:
	v_cndmask_b32_e64 v2, v17, s19, s18
	s_delay_alu instid0(VALU_DEP_1)
	v_or_b32_e32 v2, s10, v2
.LBB118_260:
	global_store_b8 v[8:9], v2, off
.LBB118_261:
	s_mov_b32 s25, -1
.LBB118_262:
	s_mov_b32 s27, 0
.LBB118_263:
	s_delay_alu instid0(SALU_CYCLE_1)
	s_and_b32 vcc_lo, exec_lo, s27
	s_cbranch_vccz .LBB118_285
; %bb.264:
	v_cmp_lt_i16_e32 vcc_lo, 22, v10
	s_mov_b32 s27, -1
	s_cbranch_vccz .LBB118_277
; %bb.265:
	v_cmp_gt_i16_e32 vcc_lo, 24, v10
	s_mov_b32 s25, -1
	s_cbranch_vccnz .LBB118_274
; %bb.266:
	v_cmp_lt_i16_e32 vcc_lo, 24, v10
	s_cbranch_vccz .LBB118_271
; %bb.267:
	v_mov_b32_e32 v2, 0x80
	s_and_not1_b32 vcc_lo, exec_lo, s13
	s_cbranch_vccnz .LBB118_270
; %bb.268:
	v_mov_b32_e32 v2, 0
	s_or_b32 s25, s0, s14
	s_delay_alu instid0(SALU_CYCLE_1)
	s_and_not1_b32 vcc_lo, exec_lo, s25
	s_cbranch_vccnz .LBB118_270
; %bb.269:
	v_cndmask_b32_e64 v2, v15, v18, s0
	s_delay_alu instid0(VALU_DEP_1)
	v_or_b32_e32 v2, s10, v2
.LBB118_270:
	s_mov_b32 s25, 0
	global_store_b8 v[8:9], v2, off
.LBB118_271:
	s_and_b32 vcc_lo, exec_lo, s25
	s_cbranch_vccz .LBB118_273
; %bb.272:
	s_and_b32 s25, s12, exec_lo
	s_cselect_b32 s25, s16, s15
	s_and_b32 s27, s11, exec_lo
	s_cselect_b32 s25, s17, s25
	s_delay_alu instid0(SALU_CYCLE_1) | instskip(NEXT) | instid1(SALU_CYCLE_1)
	s_or_b32 s25, s25, s10
	v_mov_b32_e32 v2, s25
	global_store_b8 v[8:9], v2, off
.LBB118_273:
	s_mov_b32 s25, 0
.LBB118_274:
	s_delay_alu instid0(SALU_CYCLE_1)
	s_and_not1_b32 vcc_lo, exec_lo, s25
	s_cbranch_vccnz .LBB118_276
; %bb.275:
	v_mov_b32_e32 v2, s7
	global_store_b8 v[8:9], v2, off
.LBB118_276:
	s_mov_b32 s27, 0
	s_mov_b32 s25, -1
.LBB118_277:
	s_and_not1_b32 vcc_lo, exec_lo, s27
	s_cbranch_vccnz .LBB118_285
; %bb.278:
	v_cmp_lt_i16_e32 vcc_lo, 14, v10
	s_mov_b32 s27, -1
	s_cbranch_vccz .LBB118_282
; %bb.279:
	v_cmp_eq_u16_e32 vcc_lo, 15, v10
	s_mov_b32 s2, -1
	s_cbranch_vccz .LBB118_281
; %bb.280:
	s_mov_b32 s25, -1
	s_mov_b32 s2, 0
	global_store_b16 v[8:9], v16, off
.LBB118_281:
	s_mov_b32 s27, 0
.LBB118_282:
	s_delay_alu instid0(SALU_CYCLE_1)
	s_and_b32 vcc_lo, exec_lo, s27
	s_cbranch_vccz .LBB118_285
; %bb.283:
	v_cmp_eq_u16_e32 vcc_lo, 11, v10
	s_mov_b32 s2, -1
	s_cbranch_vccz .LBB118_285
; %bb.284:
	s_mov_b32 s25, -1
	s_mov_b32 s2, 0
	global_store_b8 v[8:9], v14, off
.LBB118_285:
	s_branch .LBB118_220
.LBB118_286:
	v_cmp_gt_i16_e32 vcc_lo, 5, v10
	s_mov_b32 s25, -1
	s_cbranch_vccnz .LBB118_307
; %bb.287:
	v_cmp_gt_i16_e32 vcc_lo, 8, v10
	s_cbranch_vccnz .LBB118_297
; %bb.288:
	v_cmp_gt_i16_e32 vcc_lo, 9, v10
	s_cbranch_vccnz .LBB118_294
; %bb.289:
	v_cmp_lt_i16_e32 vcc_lo, 9, v10
	s_cbranch_vccz .LBB118_291
; %bb.290:
	v_mov_b32_e32 v2, 0
	s_mov_b32 s25, 0
	s_delay_alu instid0(VALU_DEP_1)
	v_mov_b32_e32 v3, v2
	global_store_b128 v[8:9], v[0:3], off
.LBB118_291:
	s_and_not1_b32 vcc_lo, exec_lo, s25
	s_cbranch_vccnz .LBB118_293
; %bb.292:
	v_dual_mov_b32 v2, s9 :: v_dual_mov_b32 v3, 0
	global_store_b64 v[8:9], v[2:3], off
.LBB118_293:
	s_mov_b32 s25, 0
.LBB118_294:
	s_delay_alu instid0(SALU_CYCLE_1)
	s_and_not1_b32 vcc_lo, exec_lo, s25
	s_cbranch_vccnz .LBB118_296
; %bb.295:
	global_store_b32 v[8:9], v13, off
.LBB118_296:
	s_mov_b32 s25, 0
.LBB118_297:
	s_delay_alu instid0(SALU_CYCLE_1)
	s_and_not1_b32 vcc_lo, exec_lo, s25
	s_cbranch_vccnz .LBB118_306
; %bb.298:
	v_cmp_gt_i16_e32 vcc_lo, 6, v10
	s_mov_b32 s25, -1
	s_cbranch_vccnz .LBB118_304
; %bb.299:
	v_cmp_lt_i16_e32 vcc_lo, 6, v10
	s_cbranch_vccz .LBB118_301
; %bb.300:
	s_mov_b32 s25, 0
	global_store_b64 v[8:9], v[0:1], off
.LBB118_301:
	s_and_not1_b32 vcc_lo, exec_lo, s25
	s_cbranch_vccnz .LBB118_303
; %bb.302:
	v_mov_b32_e32 v2, s9
	global_store_b32 v[8:9], v2, off
.LBB118_303:
	s_mov_b32 s25, 0
.LBB118_304:
	s_delay_alu instid0(SALU_CYCLE_1)
	s_and_not1_b32 vcc_lo, exec_lo, s25
	s_cbranch_vccnz .LBB118_306
; %bb.305:
	global_store_b16 v[8:9], v12, off
.LBB118_306:
	s_mov_b32 s25, 0
.LBB118_307:
	s_delay_alu instid0(SALU_CYCLE_1)
	s_and_not1_b32 vcc_lo, exec_lo, s25
	s_cbranch_vccnz .LBB118_323
; %bb.308:
	v_cmp_gt_i16_e32 vcc_lo, 2, v10
	s_mov_b32 s25, -1
	s_cbranch_vccnz .LBB118_318
; %bb.309:
	v_cmp_gt_i16_e32 vcc_lo, 3, v10
	s_cbranch_vccnz .LBB118_315
; %bb.310:
	v_cmp_lt_i16_e32 vcc_lo, 3, v10
	s_cbranch_vccz .LBB118_312
; %bb.311:
	s_mov_b32 s25, 0
	global_store_b64 v[8:9], v[4:5], off
.LBB118_312:
	s_and_not1_b32 vcc_lo, exec_lo, s25
	s_cbranch_vccnz .LBB118_314
; %bb.313:
	global_store_b32 v[8:9], v11, off
.LBB118_314:
	s_mov_b32 s25, 0
.LBB118_315:
	s_delay_alu instid0(SALU_CYCLE_1)
	s_and_not1_b32 vcc_lo, exec_lo, s25
	s_cbranch_vccnz .LBB118_317
; %bb.316:
	global_store_b16 v[8:9], v11, off
.LBB118_317:
	s_mov_b32 s25, 0
.LBB118_318:
	s_delay_alu instid0(SALU_CYCLE_1)
	s_and_not1_b32 vcc_lo, exec_lo, s25
	s_cbranch_vccnz .LBB118_323
; %bb.319:
	v_cmp_lt_i16_e32 vcc_lo, 0, v10
	s_mov_b32 s25, -1
	s_cbranch_vccz .LBB118_321
; %bb.320:
	s_mov_b32 s25, 0
	global_store_b8 v[8:9], v11, off
.LBB118_321:
	s_and_not1_b32 vcc_lo, exec_lo, s25
	s_cbranch_vccnz .LBB118_323
; %bb.322:
	global_store_b8 v[8:9], v4, off
.LBB118_323:
	s_branch .LBB118_221
.LBB118_324:
	s_mov_b32 s27, 0
                                        ; implicit-def: $vgpr20
.LBB118_325:
	s_and_not1_b32 s25, s23, exec_lo
	s_and_b32 s2, s2, exec_lo
	s_delay_alu instid0(SALU_CYCLE_1)
	s_or_b32 s25, s25, s2
	s_or_not1_b32 s2, s27, exec_lo
.LBB118_326:
	s_or_b32 exec_lo, exec_lo, s26
	s_mov_b32 s27, 0
	s_mov_b32 s29, 0
                                        ; implicit-def: $vgpr8_vgpr9
	s_and_saveexec_b32 s26, s2
	s_cbranch_execz .LBB118_770
; %bb.327:
	s_mov_b32 s30, -1
	s_mov_b32 s28, s25
	s_mov_b32 s27, exec_lo
	v_cmpx_gt_i32_e64 s22, v20
	s_cbranch_execz .LBB118_548
; %bb.328:
	v_mul_lo_u32 v2, v20, s6
	v_cmp_gt_i16_e32 vcc_lo, 11, v10
	s_delay_alu instid0(VALU_DEP_2) | instskip(SKIP_1) | instid1(VALU_DEP_1)
	v_ashrrev_i32_e32 v3, 31, v2
	v_add_co_u32 v8, s2, s4, v2
	v_add_co_ci_u32_e64 v9, s2, s5, v3, s2
	s_cbranch_vccnz .LBB118_335
; %bb.329:
	v_cmp_lt_i16_e32 vcc_lo, 25, v10
	s_cbranch_vccz .LBB118_336
; %bb.330:
	v_cmp_lt_i16_e32 vcc_lo, 28, v10
	s_cbranch_vccz .LBB118_337
	;; [unrolled: 3-line block ×4, first 2 shown]
; %bb.333:
	v_cmp_eq_u16_e32 vcc_lo, 46, v10
	s_mov_b32 s2, -1
	s_mov_b32 s28, 0
	s_cbranch_vccz .LBB118_460
; %bb.334:
	s_mov_b32 s28, -1
	s_mov_b32 s2, 0
	global_store_b32 v[8:9], v16, off
	s_branch .LBB118_460
.LBB118_335:
	s_mov_b32 s29, -1
	s_mov_b32 s28, 0
	s_mov_b32 s2, s25
	s_branch .LBB118_505
.LBB118_336:
	s_mov_b32 s29, -1
	s_mov_b32 s28, 0
	s_mov_b32 s2, s25
	s_branch .LBB118_482
.LBB118_337:
	s_mov_b32 s29, -1
	s_mov_b32 s28, 0
	s_mov_b32 s2, s25
	s_branch .LBB118_468
.LBB118_338:
	s_mov_b32 s29, -1
	s_mov_b32 s28, 0
	s_mov_b32 s2, s25
	s_branch .LBB118_464
.LBB118_339:
	s_mov_b32 s9, -1
	s_mov_b32 s8, 0
                                        ; implicit-def: $vgpr3
.LBB118_340:
	s_and_not1_b32 vcc_lo, exec_lo, s9
                                        ; implicit-def: $sgpr9
	s_cbranch_vccnz .LBB118_342
; %bb.341:
	v_add_f32_e64 v3, 0x42800000, |s3|
	s_mov_b32 s9, 0
	s_delay_alu instid0(VALU_DEP_1) | instskip(NEXT) | instid1(VALU_DEP_1)
	v_and_b32_e32 v3, 0xff, v3
	v_cmp_ne_u32_e64 s8, 0, v3
.LBB118_342:
	v_mov_b32_e32 v4, s9
	s_delay_alu instid0(VALU_DEP_2)
	s_and_not1_b32 vcc_lo, exec_lo, s8
	s_cbranch_vccnz .LBB118_344
; %bb.343:
	s_lshr_b32 s3, s3, 24
	s_delay_alu instid0(SALU_CYCLE_1) | instskip(NEXT) | instid1(SALU_CYCLE_1)
	s_and_b32 s3, s3, 0x80
	v_or_b32_e32 v4, s3, v3
.LBB118_344:
	s_mov_b32 s3, 0
	global_store_b8 v[0:1], v4, off
.LBB118_345:
	s_and_b32 vcc_lo, exec_lo, s3
	s_cbranch_vccz .LBB118_357
; %bb.346:
	s_lshl_b32 s3, s7, 8
	s_lshl_b32 s8, s7, 25
	s_and_b32 s3, s3, 0x7f00
	s_lshr_b32 s9, s8, 4
	s_or_b32 s3, s3, 0.5
	s_or_b32 s9, s9, 0x70000000
	v_add_f32_e64 v3, s3, -0.5
	v_mul_f32_e64 v4, 0x7800000, s9
	s_cmp_lt_u32 s8, 0x8000000
	s_cselect_b32 vcc_lo, -1, 0
	s_lshl_b32 s3, s7, 24
	s_delay_alu instid0(VALU_DEP_1) | instskip(SKIP_1) | instid1(VALU_DEP_1)
	v_cndmask_b32_e32 v3, v4, v3, vcc_lo
	s_and_b32 s3, s3, 0x80000000
	v_readfirstlane_b32 s9, v3
	s_delay_alu instid0(VALU_DEP_1) | instskip(NEXT) | instid1(SALU_CYCLE_1)
	s_or_b32 s3, s3, s9
	s_and_b32 s8, s3, 0x7fffffff
	s_delay_alu instid0(SALU_CYCLE_1)
	s_cmp_lt_u32 s8, 0x43f00000
	s_cbranch_scc0 .LBB118_349
; %bb.347:
	s_cmp_gt_u32 s8, 0x3c7fffff
	s_cbranch_scc0 .LBB118_350
; %bb.348:
	s_bfe_u32 s9, s9, 0x10014
	s_delay_alu instid0(SALU_CYCLE_1) | instskip(NEXT) | instid1(SALU_CYCLE_1)
	s_add_i32 s9, s3, s9
	s_add_i32 s9, s9, 0x407ffff
	s_delay_alu instid0(SALU_CYCLE_1)
	s_and_b32 s10, s9, 0xff00000
	s_lshr_b32 s9, s9, 20
	s_cmp_lg_u32 s10, 0x7f00000
	s_cselect_b32 s10, s9, 0x7e
	s_mov_b32 s9, 0
	s_branch .LBB118_351
.LBB118_349:
	s_mov_b32 s9, -1
                                        ; implicit-def: $vgpr3
	s_branch .LBB118_354
.LBB118_350:
	s_mov_b32 s9, -1
                                        ; implicit-def: $sgpr10
.LBB118_351:
	v_mov_b32_e32 v3, s10
	s_and_not1_b32 vcc_lo, exec_lo, s9
	s_cbranch_vccnz .LBB118_353
; %bb.352:
	v_add_f32_e64 v3, 0x46800000, |s3|
.LBB118_353:
	s_mov_b32 s9, 0
.LBB118_354:
	s_delay_alu instid0(SALU_CYCLE_1)
	s_and_not1_b32 vcc_lo, exec_lo, s9
	s_cbranch_vccnz .LBB118_356
; %bb.355:
	s_cmp_gt_u32 s8, 0x7f800000
	s_movk_i32 s8, 0x7f
	s_delay_alu instid0(SALU_CYCLE_1) | instskip(NEXT) | instid1(SALU_CYCLE_1)
	s_cselect_b32 s8, s8, 0x7e
	v_mov_b32_e32 v3, s8
.LBB118_356:
	s_lshr_b32 s3, s3, 24
	s_delay_alu instid0(SALU_CYCLE_1)
	s_and_b32 s3, s3, 0x80
	s_delay_alu instid0(VALU_DEP_1) | instid1(SALU_CYCLE_1)
	v_or_b32_e32 v3, s3, v3
	global_store_b8 v[0:1], v3, off
.LBB118_357:
	s_mov_b32 s3, 0
.LBB118_358:
	s_delay_alu instid0(SALU_CYCLE_1)
	s_and_not1_b32 vcc_lo, exec_lo, s3
	s_cbranch_vccnz .LBB118_360
; %bb.359:
	v_mov_b32_e32 v3, s7
	global_store_b8 v[0:1], v3, off
.LBB118_360:
	s_mov_b32 s3, 0
	s_mov_b32 s9, -1
.LBB118_361:
	s_and_not1_b32 vcc_lo, exec_lo, s3
	s_mov_b32 s8, 0
	s_cbranch_vccnz .LBB118_368
; %bb.362:
	v_cmp_lt_i16_e32 vcc_lo, 14, v10
	s_mov_b32 s3, -1
	s_cbranch_vccz .LBB118_366
; %bb.363:
	v_cmp_eq_u16_e32 vcc_lo, 15, v10
	s_mov_b32 s0, -1
	s_cbranch_vccz .LBB118_365
; %bb.364:
	s_lshl_b32 s0, s7, 8
	s_lshl_b32 s3, s7, 25
	s_and_b32 s0, s0, 0x7f00
	s_lshr_b32 s8, s3, 4
	s_or_b32 s0, s0, 0.5
	s_or_b32 s8, s8, 0x70000000
	v_add_f32_e64 v3, s0, -0.5
	v_mul_f32_e64 v4, 0x7800000, s8
	s_cmp_lt_u32 s3, 0x8000000
	s_mov_b32 s9, -1
	s_cselect_b32 vcc_lo, -1, 0
	s_lshl_b32 s0, s7, 24
	v_cndmask_b32_e32 v3, v4, v3, vcc_lo
	s_and_b32 s0, s0, 0x80000000
	s_delay_alu instid0(VALU_DEP_1) | instid1(SALU_CYCLE_1)
	v_or_b32_e32 v4, s0, v3
	v_bfe_u32 v3, v3, 16, 1
	s_mov_b32 s0, 0
	s_delay_alu instid0(VALU_DEP_2) | instskip(NEXT) | instid1(VALU_DEP_2)
	v_cmp_o_f32_e32 vcc_lo, v4, v4
	v_add_nc_u32_e32 v3, v4, v3
	s_delay_alu instid0(VALU_DEP_1) | instskip(NEXT) | instid1(VALU_DEP_1)
	v_add_nc_u32_e32 v3, 0x7fff, v3
	v_lshrrev_b32_e32 v3, 16, v3
	s_delay_alu instid0(VALU_DEP_1)
	v_cndmask_b32_e32 v3, 0x7fc0, v3, vcc_lo
	global_store_b16 v[0:1], v3, off
.LBB118_365:
	s_mov_b32 s3, 0
.LBB118_366:
	s_delay_alu instid0(SALU_CYCLE_1)
	s_and_b32 vcc_lo, exec_lo, s3
	s_mov_b32 s8, 0
	s_cbranch_vccz .LBB118_368
; %bb.367:
	v_cmp_ne_u16_e64 s0, 11, v10
	s_mov_b32 s8, -1
.LBB118_368:
	s_delay_alu instid0(VALU_DEP_1)
	s_and_b32 vcc_lo, exec_lo, s0
	s_mov_b32 s3, s1
	s_cbranch_vccnz .LBB118_440
; %bb.369:
	s_and_not1_b32 vcc_lo, exec_lo, s8
	s_cbranch_vccnz .LBB118_371
.LBB118_370:
	s_lshl_b32 s0, s7, 8
	s_lshl_b32 s8, s7, 25
	s_and_b32 s0, s0, 0x7f00
	s_lshr_b32 s9, s8, 4
	s_or_b32 s0, s0, 0.5
	s_or_b32 s9, s9, 0x70000000
	v_add_f32_e64 v3, s0, -0.5
	v_mul_f32_e64 v4, 0x7800000, s9
	s_cmp_lt_u32 s8, 0x8000000
	s_mov_b32 s9, -1
	s_cselect_b32 vcc_lo, -1, 0
	s_delay_alu instid0(VALU_DEP_1) | instskip(NEXT) | instid1(VALU_DEP_1)
	v_cndmask_b32_e32 v3, v4, v3, vcc_lo
	v_cmp_neq_f32_e32 vcc_lo, 0, v3
	v_cndmask_b32_e64 v3, 0, 1, vcc_lo
	global_store_b8 v[0:1], v3, off
.LBB118_371:
.LBB118_372:
	s_and_not1_b32 vcc_lo, exec_lo, s9
	s_cbranch_vccnz .LBB118_663
.LBB118_373:
	s_lshl_b32 s6, s6, 7
	v_cmp_gt_i16_e32 vcc_lo, 11, v10
	v_add_nc_u32_e32 v2, s6, v2
	s_delay_alu instid0(VALU_DEP_1) | instskip(SKIP_1) | instid1(VALU_DEP_1)
	v_ashrrev_i32_e32 v1, 31, v2
	v_add_co_u32 v0, s0, s4, v2
	v_add_co_ci_u32_e64 v1, s0, s5, v1, s0
	s_cbranch_vccnz .LBB118_401
; %bb.374:
	v_cmp_lt_i16_e32 vcc_lo, 25, v10
	s_mov_b32 s10, -1
	s_mov_b32 s8, 0
	s_mov_b32 s9, 0
	;; [unrolled: 1-line block ×3, first 2 shown]
	s_cbranch_vccz .LBB118_452
; %bb.375:
	v_cmp_lt_i16_e32 vcc_lo, 28, v10
	s_cbranch_vccz .LBB118_390
; %bb.376:
	v_cmp_lt_i16_e32 vcc_lo, 43, v10
	;; [unrolled: 3-line block ×3, first 2 shown]
	s_cbranch_vccz .LBB118_380
; %bb.378:
	v_cmp_eq_u16_e32 vcc_lo, 46, v10
	s_mov_b32 s0, -1
	s_mov_b32 s10, 0
	s_cbranch_vccz .LBB118_380
; %bb.379:
	s_lshl_b32 s0, s7, 8
	s_lshl_b32 s9, s7, 25
	s_and_b32 s0, s0, 0x7f00
	s_lshr_b32 s11, s9, 4
	s_or_b32 s0, s0, 0.5
	s_or_b32 s11, s11, 0x70000000
	v_add_f32_e64 v3, s0, -0.5
	v_mul_f32_e64 v4, 0x7800000, s11
	s_cmp_lt_u32 s9, 0x8000000
	s_mov_b32 s9, -1
	s_cselect_b32 vcc_lo, -1, 0
	s_lshl_b32 s0, s7, 24
	v_cndmask_b32_e32 v3, v4, v3, vcc_lo
	s_and_b32 s0, s0, 0x80000000
	s_delay_alu instid0(VALU_DEP_1) | instid1(SALU_CYCLE_1)
	v_or_b32_e32 v4, s0, v3
	v_bfe_u32 v3, v3, 16, 1
	s_mov_b32 s0, 0
	s_delay_alu instid0(VALU_DEP_2) | instskip(NEXT) | instid1(VALU_DEP_2)
	v_cmp_o_f32_e32 vcc_lo, v4, v4
	v_add_nc_u32_e32 v3, v4, v3
	s_delay_alu instid0(VALU_DEP_1) | instskip(NEXT) | instid1(VALU_DEP_1)
	v_add_nc_u32_e32 v3, 0x7fff, v3
	v_lshrrev_b32_e32 v3, 16, v3
	s_delay_alu instid0(VALU_DEP_1)
	v_cndmask_b32_e32 v3, 0x7fc0, v3, vcc_lo
	global_store_b32 v[0:1], v3, off
.LBB118_380:
	s_and_b32 vcc_lo, exec_lo, s10
	s_cbranch_vccz .LBB118_385
; %bb.381:
	v_cmp_eq_u16_e32 vcc_lo, 44, v10
	s_mov_b32 s0, -1
	s_cbranch_vccz .LBB118_385
; %bb.382:
	s_lshl_b32 s0, s7, 8
	s_lshl_b32 s9, s7, 25
	s_and_b32 s0, s0, 0x7f00
	s_lshr_b32 s10, s9, 4
	s_or_b32 s0, s0, 0.5
	s_or_b32 s10, s10, 0x70000000
	v_add_f32_e64 v3, s0, -0.5
	v_mul_f32_e64 v4, 0x7800000, s10
	s_cmp_lt_u32 s9, 0x8000000
	s_cselect_b32 vcc_lo, -1, 0
	s_delay_alu instid0(VALU_DEP_1) | instskip(NEXT) | instid1(VALU_DEP_1)
	v_dual_cndmask_b32 v3, v4, v3 :: v_dual_mov_b32 v4, 0xff
	v_readfirstlane_b32 s0, v3
	s_delay_alu instid0(VALU_DEP_1) | instskip(NEXT) | instid1(SALU_CYCLE_1)
	s_bfe_u32 s9, s0, 0x80017
	s_cmpk_eq_i32 s9, 0xff
	s_cbranch_scc1 .LBB118_384
; %bb.383:
	s_bitcmp1_b32 s0, 22
	v_lshrrev_b32_e32 v3, 23, v3
	s_cselect_b32 s10, -1, 0
	s_and_b32 s0, s0, 0x3fffff
	s_delay_alu instid0(SALU_CYCLE_1) | instskip(NEXT) | instid1(SALU_CYCLE_1)
	s_or_b32 s0, s9, s0
	s_cmp_lg_u32 s0, 0
	s_cselect_b32 s0, -1, 0
	s_delay_alu instid0(SALU_CYCLE_1) | instskip(NEXT) | instid1(SALU_CYCLE_1)
	s_and_b32 s0, s10, s0
	v_cndmask_b32_e64 v4, 0, 1, s0
	s_delay_alu instid0(VALU_DEP_1)
	v_add_nc_u32_e32 v4, v3, v4
.LBB118_384:
	s_mov_b32 s0, 0
	s_mov_b32 s9, -1
	global_store_b8 v[0:1], v4, off
.LBB118_385:
	s_mov_b32 s10, 0
.LBB118_386:
	s_delay_alu instid0(SALU_CYCLE_1)
	s_and_b32 vcc_lo, exec_lo, s10
	s_cbranch_vccz .LBB118_389
; %bb.387:
	v_cmp_eq_u16_e32 vcc_lo, 29, v10
	s_mov_b32 s0, -1
	s_cbranch_vccz .LBB118_389
; %bb.388:
	s_lshl_b32 s0, s7, 8
	s_lshl_b32 s9, s7, 25
	s_and_b32 s0, s0, 0x7f00
	s_lshr_b32 s10, s9, 4
	s_or_b32 s0, s0, 0.5
	s_or_b32 s10, s10, 0x70000000
	v_add_f32_e64 v3, s0, -0.5
	v_mul_f32_e64 v4, 0x7800000, s10
	s_cmp_lt_u32 s9, 0x8000000
	s_mov_b32 s9, -1
	s_cselect_b32 vcc_lo, -1, 0
	s_lshl_b32 s0, s7, 24
	v_cndmask_b32_e32 v3, v4, v3, vcc_lo
	s_and_b32 s0, s0, 0x80000000
	s_delay_alu instid0(VALU_DEP_1) | instid1(SALU_CYCLE_1)
	v_or_b32_e32 v3, s0, v3
	s_mov_b32 s0, 0
	s_delay_alu instid0(VALU_DEP_1) | instskip(NEXT) | instid1(VALU_DEP_1)
	v_trunc_f32_e32 v3, v3
	v_mul_f32_e32 v4, 0x2f800000, v3
	s_delay_alu instid0(VALU_DEP_1) | instskip(NEXT) | instid1(VALU_DEP_1)
	v_floor_f32_e32 v4, v4
	v_fmamk_f32 v3, v4, 0xcf800000, v3
	v_cvt_u32_f32_e32 v4, v4
	s_delay_alu instid0(VALU_DEP_2)
	v_cvt_u32_f32_e32 v3, v3
	global_store_b64 v[0:1], v[3:4], off
.LBB118_389:
	s_mov_b32 s10, 0
.LBB118_390:
	s_delay_alu instid0(SALU_CYCLE_1)
	s_and_b32 vcc_lo, exec_lo, s10
	s_cbranch_vccz .LBB118_451
; %bb.391:
	v_cmp_gt_i16_e32 vcc_lo, 27, v10
	s_mov_b32 s9, -1
	s_cbranch_vccnz .LBB118_397
; %bb.392:
	v_cmp_lt_i16_e32 vcc_lo, 27, v10
	s_cbranch_vccz .LBB118_394
; %bb.393:
	s_lshl_b32 s9, s7, 8
	s_lshl_b32 s10, s7, 25
	s_and_b32 s9, s9, 0x7f00
	s_lshr_b32 s11, s10, 4
	s_or_b32 s9, s9, 0.5
	s_or_b32 s11, s11, 0x70000000
	v_add_f32_e64 v3, s9, -0.5
	v_mul_f32_e64 v4, 0x7800000, s11
	s_cmp_lt_u32 s10, 0x8000000
	s_cselect_b32 vcc_lo, -1, 0
	s_lshl_b32 s9, s7, 24
	s_delay_alu instid0(VALU_DEP_1)
	v_cndmask_b32_e32 v3, v4, v3, vcc_lo
	s_and_b32 s9, s9, 0x80000000
	s_delay_alu instid0(VALU_DEP_1) | instid1(SALU_CYCLE_1)
	v_or_b32_e32 v3, s9, v3
	s_mov_b32 s9, 0
	s_delay_alu instid0(VALU_DEP_1)
	v_cvt_u32_f32_e32 v3, v3
	global_store_b32 v[0:1], v3, off
.LBB118_394:
	s_and_not1_b32 vcc_lo, exec_lo, s9
	s_cbranch_vccnz .LBB118_396
; %bb.395:
	s_lshl_b32 s9, s7, 8
	s_lshl_b32 s10, s7, 25
	s_and_b32 s9, s9, 0x7f00
	s_lshr_b32 s11, s10, 4
	s_or_b32 s9, s9, 0.5
	s_or_b32 s11, s11, 0x70000000
	v_add_f32_e64 v3, s9, -0.5
	v_mul_f32_e64 v4, 0x7800000, s11
	s_cmp_lt_u32 s10, 0x8000000
	s_cselect_b32 vcc_lo, -1, 0
	s_lshl_b32 s9, s7, 24
	s_delay_alu instid0(VALU_DEP_1)
	v_cndmask_b32_e32 v3, v4, v3, vcc_lo
	s_and_b32 s9, s9, 0x80000000
	s_delay_alu instid0(VALU_DEP_1) | instid1(SALU_CYCLE_1)
	v_or_b32_e32 v3, s9, v3
	s_delay_alu instid0(VALU_DEP_1)
	v_cvt_u32_f32_e32 v3, v3
	global_store_b16 v[0:1], v3, off
.LBB118_396:
	s_mov_b32 s9, 0
.LBB118_397:
	s_delay_alu instid0(SALU_CYCLE_1)
	s_and_not1_b32 vcc_lo, exec_lo, s9
	s_cbranch_vccnz .LBB118_450
; %bb.398:
	s_lshl_b32 s9, s7, 8
	s_lshl_b32 s10, s7, 25
	s_and_b32 s9, s9, 0x7f00
	s_lshr_b32 s11, s10, 4
	s_or_b32 s9, s9, 0.5
	s_or_b32 s11, s11, 0x70000000
	v_add_f32_e64 v3, s9, -0.5
	v_mul_f32_e64 v4, 0x7800000, s11
	s_cmp_lt_u32 s10, 0x8000000
	s_cselect_b32 vcc_lo, -1, 0
	s_lshl_b32 s10, s7, 24
	s_delay_alu instid0(VALU_DEP_1) | instskip(SKIP_1) | instid1(VALU_DEP_1)
	v_dual_cndmask_b32 v3, v4, v3 :: v_dual_mov_b32 v4, 0x80
	s_and_b32 s10, s10, 0x80000000
	v_readfirstlane_b32 s9, v3
	s_delay_alu instid0(VALU_DEP_1) | instskip(NEXT) | instid1(SALU_CYCLE_1)
	s_or_b32 s9, s10, s9
	s_and_b32 s10, s9, 0x7fffffff
	s_delay_alu instid0(SALU_CYCLE_1)
	s_cmp_gt_u32 s10, 0x437fffff
	s_cbranch_scc1 .LBB118_449
; %bb.399:
	s_cmp_gt_u32 s10, 0x3bffffff
	s_cbranch_scc0 .LBB118_444
; %bb.400:
	v_bfe_u32 v3, v3, 20, 1
	s_mov_b32 s11, 0
	s_mov_b32 s10, -1
	s_delay_alu instid0(VALU_DEP_1) | instskip(NEXT) | instid1(VALU_DEP_1)
	v_add_nc_u32_e32 v3, s9, v3
	v_add_nc_u32_e32 v3, 0x487ffff, v3
	s_delay_alu instid0(VALU_DEP_1)
	v_lshrrev_b32_e32 v3, 20, v3
	s_branch .LBB118_445
.LBB118_401:
	s_mov_b32 s9, 0
	s_cbranch_execz .LBB118_595
; %bb.402:
	v_cmp_gt_i16_e32 vcc_lo, 5, v10
	s_mov_b32 s0, -1
	s_cbranch_vccnz .LBB118_423
; %bb.403:
	v_cmp_gt_i16_e32 vcc_lo, 8, v10
	s_cbranch_vccnz .LBB118_413
; %bb.404:
	v_cmp_gt_i16_e32 vcc_lo, 9, v10
	s_cbranch_vccnz .LBB118_410
; %bb.405:
	v_cmp_lt_i16_e32 vcc_lo, 9, v10
	s_cbranch_vccz .LBB118_407
; %bb.406:
	s_lshl_b32 s0, s7, 8
	s_lshl_b32 s8, s7, 25
	s_and_b32 s0, s0, 0x7f00
	s_lshr_b32 s9, s8, 4
	s_or_b32 s0, s0, 0.5
	s_or_b32 s9, s9, 0x70000000
	v_add_f32_e64 v3, s0, -0.5
	v_mul_f32_e64 v4, 0x7800000, s9
	s_cmp_lt_u32 s8, 0x8000000
	v_mov_b32_e32 v5, 0
	s_cselect_b32 vcc_lo, -1, 0
	s_lshl_b32 s0, s7, 24
	v_cndmask_b32_e32 v3, v4, v3, vcc_lo
	s_and_b32 s0, s0, 0x80000000
	v_mov_b32_e32 v6, v5
	s_delay_alu instid0(VALU_DEP_2) | instskip(SKIP_1) | instid1(VALU_DEP_1)
	v_or_b32_e32 v3, s0, v3
	s_mov_b32 s0, 0
	v_cvt_f64_f32_e32 v[3:4], v3
	global_store_b128 v[0:1], v[3:6], off
.LBB118_407:
	s_and_not1_b32 vcc_lo, exec_lo, s0
	s_cbranch_vccnz .LBB118_409
; %bb.408:
	s_lshl_b32 s0, s7, 8
	s_lshl_b32 s8, s7, 25
	s_and_b32 s0, s0, 0x7f00
	s_lshr_b32 s9, s8, 4
	s_or_b32 s0, s0, 0.5
	s_or_b32 s9, s9, 0x70000000
	v_add_f32_e64 v3, s0, -0.5
	v_mul_f32_e64 v4, 0x7800000, s9
	s_cmp_lt_u32 s8, 0x8000000
	s_cselect_b32 vcc_lo, -1, 0
	s_lshl_b32 s0, s7, 24
	s_delay_alu instid0(VALU_DEP_1)
	v_dual_cndmask_b32 v3, v4, v3 :: v_dual_mov_b32 v4, 0
	s_and_b32 s0, s0, 0x80000000
	s_delay_alu instid0(VALU_DEP_1) | instid1(SALU_CYCLE_1)
	v_or_b32_e32 v3, s0, v3
	global_store_b64 v[0:1], v[3:4], off
.LBB118_409:
	s_mov_b32 s0, 0
.LBB118_410:
	s_delay_alu instid0(SALU_CYCLE_1)
	s_and_not1_b32 vcc_lo, exec_lo, s0
	s_cbranch_vccnz .LBB118_412
; %bb.411:
	s_lshl_b32 s0, s7, 8
	s_lshl_b32 s8, s7, 25
	s_and_b32 s0, s0, 0x7f00
	s_lshr_b32 s9, s8, 4
	s_or_b32 s0, s0, 0.5
	s_or_b32 s9, s9, 0x70000000
	v_add_f32_e64 v3, s0, -0.5
	v_mul_f32_e64 v4, 0x7800000, s9
	s_cmp_lt_u32 s8, 0x8000000
	s_cselect_b32 vcc_lo, -1, 0
	s_lshl_b32 s0, s7, 24
	s_delay_alu instid0(VALU_DEP_1)
	v_cndmask_b32_e32 v3, v4, v3, vcc_lo
	s_and_b32 s0, s0, 0x80000000
	s_delay_alu instid0(VALU_DEP_1) | instid1(SALU_CYCLE_1)
	v_or_b32_e32 v3, s0, v3
	s_delay_alu instid0(VALU_DEP_1) | instskip(NEXT) | instid1(VALU_DEP_1)
	v_cvt_f16_f32_e32 v3, v3
	v_and_b32_e32 v3, 0xffff, v3
	global_store_b32 v[0:1], v3, off
.LBB118_412:
	s_mov_b32 s0, 0
.LBB118_413:
	s_delay_alu instid0(SALU_CYCLE_1)
	s_and_not1_b32 vcc_lo, exec_lo, s0
	s_cbranch_vccnz .LBB118_422
; %bb.414:
	v_cmp_gt_i16_e32 vcc_lo, 6, v10
	s_mov_b32 s0, -1
	s_cbranch_vccnz .LBB118_420
; %bb.415:
	v_cmp_lt_i16_e32 vcc_lo, 6, v10
	s_cbranch_vccz .LBB118_417
; %bb.416:
	s_lshl_b32 s0, s7, 8
	s_lshl_b32 s8, s7, 25
	s_and_b32 s0, s0, 0x7f00
	s_lshr_b32 s9, s8, 4
	s_or_b32 s0, s0, 0.5
	s_or_b32 s9, s9, 0x70000000
	v_add_f32_e64 v3, s0, -0.5
	v_mul_f32_e64 v4, 0x7800000, s9
	s_cmp_lt_u32 s8, 0x8000000
	s_cselect_b32 vcc_lo, -1, 0
	s_lshl_b32 s0, s7, 24
	s_delay_alu instid0(VALU_DEP_1)
	v_cndmask_b32_e32 v3, v4, v3, vcc_lo
	s_and_b32 s0, s0, 0x80000000
	s_delay_alu instid0(VALU_DEP_1) | instid1(SALU_CYCLE_1)
	v_or_b32_e32 v3, s0, v3
	s_mov_b32 s0, 0
	s_delay_alu instid0(VALU_DEP_1)
	v_cvt_f64_f32_e32 v[3:4], v3
	global_store_b64 v[0:1], v[3:4], off
.LBB118_417:
	s_and_not1_b32 vcc_lo, exec_lo, s0
	s_cbranch_vccnz .LBB118_419
; %bb.418:
	s_lshl_b32 s0, s7, 8
	s_lshl_b32 s8, s7, 25
	s_and_b32 s0, s0, 0x7f00
	s_lshr_b32 s9, s8, 4
	s_or_b32 s0, s0, 0.5
	s_or_b32 s9, s9, 0x70000000
	v_add_f32_e64 v3, s0, -0.5
	v_mul_f32_e64 v4, 0x7800000, s9
	s_cmp_lt_u32 s8, 0x8000000
	s_cselect_b32 vcc_lo, -1, 0
	s_lshl_b32 s0, s7, 24
	s_delay_alu instid0(VALU_DEP_1)
	v_cndmask_b32_e32 v3, v4, v3, vcc_lo
	s_and_b32 s0, s0, 0x80000000
	s_delay_alu instid0(VALU_DEP_1) | instid1(SALU_CYCLE_1)
	v_or_b32_e32 v3, s0, v3
	global_store_b32 v[0:1], v3, off
.LBB118_419:
	s_mov_b32 s0, 0
.LBB118_420:
	s_delay_alu instid0(SALU_CYCLE_1)
	s_and_not1_b32 vcc_lo, exec_lo, s0
	s_cbranch_vccnz .LBB118_422
; %bb.421:
	s_lshl_b32 s0, s7, 8
	s_lshl_b32 s8, s7, 25
	s_and_b32 s0, s0, 0x7f00
	s_lshr_b32 s9, s8, 4
	s_or_b32 s0, s0, 0.5
	s_or_b32 s9, s9, 0x70000000
	v_add_f32_e64 v3, s0, -0.5
	v_mul_f32_e64 v4, 0x7800000, s9
	s_cmp_lt_u32 s8, 0x8000000
	s_cselect_b32 vcc_lo, -1, 0
	s_lshl_b32 s0, s7, 24
	s_delay_alu instid0(VALU_DEP_1)
	v_cndmask_b32_e32 v3, v4, v3, vcc_lo
	s_and_b32 s0, s0, 0x80000000
	s_delay_alu instid0(VALU_DEP_1) | instid1(SALU_CYCLE_1)
	v_or_b32_e32 v3, s0, v3
	s_delay_alu instid0(VALU_DEP_1)
	v_cvt_f16_f32_e32 v3, v3
	global_store_b16 v[0:1], v3, off
.LBB118_422:
	s_mov_b32 s0, 0
.LBB118_423:
	s_delay_alu instid0(SALU_CYCLE_1)
	s_and_not1_b32 vcc_lo, exec_lo, s0
	s_cbranch_vccnz .LBB118_439
; %bb.424:
	v_cmp_gt_i16_e32 vcc_lo, 2, v10
	s_mov_b32 s0, -1
	s_cbranch_vccnz .LBB118_434
; %bb.425:
	v_cmp_gt_i16_e32 vcc_lo, 3, v10
	s_cbranch_vccnz .LBB118_431
; %bb.426:
	v_cmp_lt_i16_e32 vcc_lo, 3, v10
	s_cbranch_vccz .LBB118_428
; %bb.427:
	s_lshl_b32 s0, s7, 8
	s_lshl_b32 s8, s7, 25
	s_and_b32 s0, s0, 0x7f00
	s_lshr_b32 s9, s8, 4
	s_or_b32 s0, s0, 0.5
	s_or_b32 s9, s9, 0x70000000
	v_add_f32_e64 v3, s0, -0.5
	v_mul_f32_e64 v4, 0x7800000, s9
	s_cmp_lt_u32 s8, 0x8000000
	s_cselect_b32 vcc_lo, -1, 0
	s_lshl_b32 s0, s7, 24
	s_delay_alu instid0(VALU_DEP_1)
	v_cndmask_b32_e32 v3, v4, v3, vcc_lo
	s_and_b32 s0, s0, 0x80000000
	s_delay_alu instid0(VALU_DEP_1) | instid1(SALU_CYCLE_1)
	v_or_b32_e32 v3, s0, v3
	s_mov_b32 s0, 0
	s_delay_alu instid0(VALU_DEP_1) | instskip(NEXT) | instid1(VALU_DEP_1)
	v_trunc_f32_e32 v3, v3
	v_mul_f32_e64 v4, 0x2f800000, |v3|
	v_ashrrev_i32_e32 v6, 31, v3
	s_delay_alu instid0(VALU_DEP_2) | instskip(NEXT) | instid1(VALU_DEP_1)
	v_floor_f32_e32 v4, v4
	v_fma_f32 v5, 0xcf800000, v4, |v3|
	v_cvt_u32_f32_e32 v4, v4
	s_delay_alu instid0(VALU_DEP_2) | instskip(NEXT) | instid1(VALU_DEP_2)
	v_cvt_u32_f32_e32 v3, v5
	v_xor_b32_e32 v4, v4, v6
	s_delay_alu instid0(VALU_DEP_2) | instskip(NEXT) | instid1(VALU_DEP_1)
	v_xor_b32_e32 v3, v3, v6
	v_sub_co_u32 v3, vcc_lo, v3, v6
	s_delay_alu instid0(VALU_DEP_3)
	v_sub_co_ci_u32_e32 v4, vcc_lo, v4, v6, vcc_lo
	global_store_b64 v[0:1], v[3:4], off
.LBB118_428:
	s_and_not1_b32 vcc_lo, exec_lo, s0
	s_cbranch_vccnz .LBB118_430
; %bb.429:
	s_lshl_b32 s0, s7, 8
	s_lshl_b32 s8, s7, 25
	s_and_b32 s0, s0, 0x7f00
	s_lshr_b32 s9, s8, 4
	s_or_b32 s0, s0, 0.5
	s_or_b32 s9, s9, 0x70000000
	v_add_f32_e64 v3, s0, -0.5
	v_mul_f32_e64 v4, 0x7800000, s9
	s_cmp_lt_u32 s8, 0x8000000
	s_cselect_b32 vcc_lo, -1, 0
	s_lshl_b32 s0, s7, 24
	s_delay_alu instid0(VALU_DEP_1)
	v_cndmask_b32_e32 v3, v4, v3, vcc_lo
	s_and_b32 s0, s0, 0x80000000
	s_delay_alu instid0(VALU_DEP_1) | instid1(SALU_CYCLE_1)
	v_or_b32_e32 v3, s0, v3
	s_delay_alu instid0(VALU_DEP_1)
	v_cvt_i32_f32_e32 v3, v3
	global_store_b32 v[0:1], v3, off
.LBB118_430:
	s_mov_b32 s0, 0
.LBB118_431:
	s_delay_alu instid0(SALU_CYCLE_1)
	s_and_not1_b32 vcc_lo, exec_lo, s0
	s_cbranch_vccnz .LBB118_433
; %bb.432:
	s_lshl_b32 s0, s7, 8
	s_lshl_b32 s8, s7, 25
	s_and_b32 s0, s0, 0x7f00
	s_lshr_b32 s9, s8, 4
	s_or_b32 s0, s0, 0.5
	s_or_b32 s9, s9, 0x70000000
	v_add_f32_e64 v3, s0, -0.5
	v_mul_f32_e64 v4, 0x7800000, s9
	s_cmp_lt_u32 s8, 0x8000000
	s_cselect_b32 vcc_lo, -1, 0
	s_lshl_b32 s0, s7, 24
	s_delay_alu instid0(VALU_DEP_1)
	v_cndmask_b32_e32 v3, v4, v3, vcc_lo
	s_and_b32 s0, s0, 0x80000000
	s_delay_alu instid0(VALU_DEP_1) | instid1(SALU_CYCLE_1)
	v_or_b32_e32 v3, s0, v3
	s_delay_alu instid0(VALU_DEP_1)
	v_cvt_i32_f32_e32 v3, v3
	global_store_b16 v[0:1], v3, off
.LBB118_433:
	s_mov_b32 s0, 0
.LBB118_434:
	s_delay_alu instid0(SALU_CYCLE_1)
	s_and_not1_b32 vcc_lo, exec_lo, s0
	s_cbranch_vccnz .LBB118_439
; %bb.435:
	v_cmp_lt_i16_e32 vcc_lo, 0, v10
	s_mov_b32 s0, -1
	s_cbranch_vccz .LBB118_437
; %bb.436:
	s_lshl_b32 s0, s7, 8
	s_lshl_b32 s8, s7, 25
	s_and_b32 s0, s0, 0x7f00
	s_lshr_b32 s9, s8, 4
	s_or_b32 s0, s0, 0.5
	s_or_b32 s9, s9, 0x70000000
	v_add_f32_e64 v3, s0, -0.5
	v_mul_f32_e64 v4, 0x7800000, s9
	s_cmp_lt_u32 s8, 0x8000000
	s_cselect_b32 vcc_lo, -1, 0
	s_lshl_b32 s0, s7, 24
	s_delay_alu instid0(VALU_DEP_1)
	v_cndmask_b32_e32 v3, v4, v3, vcc_lo
	s_and_b32 s0, s0, 0x80000000
	s_delay_alu instid0(VALU_DEP_1) | instid1(SALU_CYCLE_1)
	v_or_b32_e32 v3, s0, v3
	s_mov_b32 s0, 0
	s_delay_alu instid0(VALU_DEP_1)
	v_cvt_i32_f32_e32 v3, v3
	global_store_b8 v[0:1], v3, off
.LBB118_437:
	s_and_not1_b32 vcc_lo, exec_lo, s0
	s_cbranch_vccnz .LBB118_439
; %bb.438:
	s_lshl_b32 s0, s7, 8
	s_lshl_b32 s8, s7, 25
	s_and_b32 s0, s0, 0x7f00
	s_lshr_b32 s9, s8, 4
	s_or_b32 s0, s0, 0.5
	s_or_b32 s9, s9, 0x70000000
	v_add_f32_e64 v3, s0, -0.5
	v_mul_f32_e64 v4, 0x7800000, s9
	s_cmp_lt_u32 s8, 0x8000000
	s_cselect_b32 vcc_lo, -1, 0
	s_lshl_b32 s0, s7, 24
	s_delay_alu instid0(VALU_DEP_1)
	v_cndmask_b32_e32 v3, v4, v3, vcc_lo
	s_and_b32 s0, s0, 0x80000000
	s_delay_alu instid0(VALU_DEP_1) | instid1(SALU_CYCLE_1)
	v_or_b32_e32 v3, s0, v3
	s_delay_alu instid0(VALU_DEP_1) | instskip(NEXT) | instid1(VALU_DEP_1)
	v_trunc_f32_e32 v3, v3
	v_mul_f32_e64 v4, 0x2f800000, |v3|
	s_delay_alu instid0(VALU_DEP_1) | instskip(NEXT) | instid1(VALU_DEP_1)
	v_floor_f32_e32 v4, v4
	v_fma_f32 v4, 0xcf800000, v4, |v3|
	v_ashrrev_i32_e32 v3, 31, v3
	s_delay_alu instid0(VALU_DEP_2) | instskip(NEXT) | instid1(VALU_DEP_1)
	v_cvt_u32_f32_e32 v4, v4
	v_xor_b32_e32 v4, v4, v3
	s_delay_alu instid0(VALU_DEP_1)
	v_sub_nc_u32_e32 v3, v4, v3
	global_store_b8 v[0:1], v3, off
.LBB118_439:
	s_branch .LBB118_596
.LBB118_440:
	s_cbranch_execnz .LBB118_442
; %bb.441:
	s_or_b32 s3, s1, exec_lo
	s_cbranch_execz .LBB118_370
	s_branch .LBB118_371
.LBB118_442:
	s_trap 2
	s_sendmsg_rtn_b32 s0, sendmsg(MSG_RTN_GET_DOORBELL)
	s_mov_b32 ttmp2, m0
	s_waitcnt lgkmcnt(0)
	s_and_b32 s0, s0, 0x3ff
	s_delay_alu instid0(SALU_CYCLE_1) | instskip(NEXT) | instid1(SALU_CYCLE_1)
	s_bitset1_b32 s0, 10
	s_mov_b32 m0, s0
	s_sendmsg sendmsg(MSG_INTERRUPT)
	s_mov_b32 m0, ttmp2
.LBB118_443:                            ; =>This Inner Loop Header: Depth=1
	s_sethalt 5
	s_branch .LBB118_443
.LBB118_444:
	s_mov_b32 s11, -1
	s_mov_b32 s10, 0
                                        ; implicit-def: $vgpr3
.LBB118_445:
	s_and_not1_b32 vcc_lo, exec_lo, s11
                                        ; implicit-def: $sgpr11
	s_cbranch_vccnz .LBB118_447
; %bb.446:
	v_add_f32_e64 v3, 0x46000000, |s9|
	s_mov_b32 s11, 0
	s_delay_alu instid0(VALU_DEP_1) | instskip(NEXT) | instid1(VALU_DEP_1)
	v_and_b32_e32 v3, 0xff, v3
	v_cmp_ne_u32_e64 s10, 0, v3
.LBB118_447:
	v_mov_b32_e32 v4, s11
	s_delay_alu instid0(VALU_DEP_2)
	s_and_not1_b32 vcc_lo, exec_lo, s10
	s_cbranch_vccnz .LBB118_449
; %bb.448:
	s_lshr_b32 s9, s9, 24
	s_delay_alu instid0(SALU_CYCLE_1) | instskip(NEXT) | instid1(SALU_CYCLE_1)
	s_and_b32 s9, s9, 0x80
	v_or_b32_e32 v4, s9, v3
.LBB118_449:
	global_store_b8 v[0:1], v4, off
.LBB118_450:
	s_mov_b32 s9, -1
.LBB118_451:
	s_mov_b32 s10, 0
.LBB118_452:
	s_delay_alu instid0(SALU_CYCLE_1)
	s_and_b32 vcc_lo, exec_lo, s10
	s_cbranch_vccz .LBB118_591
; %bb.453:
	v_cmp_lt_i16_e32 vcc_lo, 22, v10
	s_mov_b32 s8, -1
	s_cbranch_vccz .LBB118_584
; %bb.454:
	v_cmp_gt_i16_e32 vcc_lo, 24, v10
	s_cbranch_vccnz .LBB118_581
; %bb.455:
	v_cmp_lt_i16_e32 vcc_lo, 24, v10
	s_cbranch_vccz .LBB118_568
; %bb.456:
	s_lshl_b32 s8, s7, 8
	s_lshl_b32 s9, s7, 25
	s_and_b32 s8, s8, 0x7f00
	s_lshr_b32 s10, s9, 4
	s_or_b32 s8, s8, 0.5
	s_or_b32 s10, s10, 0x70000000
	v_add_f32_e64 v3, s8, -0.5
	v_mul_f32_e64 v4, 0x7800000, s10
	s_cmp_lt_u32 s9, 0x8000000
	s_cselect_b32 vcc_lo, -1, 0
	s_lshl_b32 s9, s7, 24
	s_delay_alu instid0(VALU_DEP_1) | instskip(SKIP_1) | instid1(VALU_DEP_1)
	v_dual_cndmask_b32 v3, v4, v3 :: v_dual_mov_b32 v4, 0x80
	s_and_b32 s9, s9, 0x80000000
	v_readfirstlane_b32 s8, v3
	s_delay_alu instid0(VALU_DEP_1) | instskip(NEXT) | instid1(SALU_CYCLE_1)
	s_or_b32 s8, s9, s8
	s_and_b32 s9, s8, 0x7fffffff
	s_delay_alu instid0(SALU_CYCLE_1)
	s_cmp_gt_u32 s9, 0x477fffff
	s_cbranch_scc1 .LBB118_567
; %bb.457:
	s_cmp_gt_u32 s9, 0x37ffffff
	s_cbranch_scc0 .LBB118_562
; %bb.458:
	v_bfe_u32 v3, v3, 21, 1
	s_mov_b32 s10, 0
	s_mov_b32 s9, -1
	s_delay_alu instid0(VALU_DEP_1) | instskip(NEXT) | instid1(VALU_DEP_1)
	v_add_nc_u32_e32 v3, s8, v3
	v_add_nc_u32_e32 v3, 0x88fffff, v3
	s_delay_alu instid0(VALU_DEP_1)
	v_lshrrev_b32_e32 v3, 21, v3
	s_branch .LBB118_563
.LBB118_459:
	s_mov_b32 s29, -1
	s_mov_b32 s28, 0
	s_mov_b32 s2, s25
.LBB118_460:
	s_and_b32 vcc_lo, exec_lo, s29
	s_cbranch_vccz .LBB118_463
; %bb.461:
	v_cmp_eq_u16_e32 vcc_lo, 44, v10
	s_mov_b32 s2, -1
	s_cbranch_vccz .LBB118_463
; %bb.462:
	v_cndmask_b32_e64 v2, v21, 0xff, s1
	s_mov_b32 s28, -1
	s_mov_b32 s2, 0
	global_store_b8 v[8:9], v2, off
.LBB118_463:
	s_mov_b32 s29, 0
.LBB118_464:
	s_delay_alu instid0(SALU_CYCLE_1)
	s_and_b32 vcc_lo, exec_lo, s29
	s_cbranch_vccz .LBB118_467
; %bb.465:
	v_cmp_eq_u16_e32 vcc_lo, 29, v10
	s_mov_b32 s2, -1
	s_cbranch_vccz .LBB118_467
; %bb.466:
	s_mov_b32 s28, -1
	s_mov_b32 s2, 0
	global_store_b64 v[8:9], v[6:7], off
.LBB118_467:
	s_mov_b32 s29, 0
.LBB118_468:
	s_delay_alu instid0(SALU_CYCLE_1)
	s_and_b32 vcc_lo, exec_lo, s29
	s_cbranch_vccz .LBB118_481
; %bb.469:
	v_cmp_gt_i16_e32 vcc_lo, 27, v10
	s_mov_b32 s28, -1
	s_cbranch_vccnz .LBB118_475
; %bb.470:
	v_cmp_lt_i16_e32 vcc_lo, 27, v10
	s_cbranch_vccz .LBB118_472
; %bb.471:
	s_mov_b32 s28, 0
	global_store_b32 v[8:9], v19, off
.LBB118_472:
	s_and_not1_b32 vcc_lo, exec_lo, s28
	s_cbranch_vccnz .LBB118_474
; %bb.473:
	global_store_b16 v[8:9], v19, off
.LBB118_474:
	s_mov_b32 s28, 0
.LBB118_475:
	s_delay_alu instid0(SALU_CYCLE_1)
	s_and_not1_b32 vcc_lo, exec_lo, s28
	s_cbranch_vccnz .LBB118_480
; %bb.476:
	v_mov_b32_e32 v2, 0x80
	s_and_not1_b32 vcc_lo, exec_lo, s20
	s_cbranch_vccnz .LBB118_479
; %bb.477:
	v_mov_b32_e32 v2, 0
	s_or_b32 s28, s18, s21
	s_delay_alu instid0(SALU_CYCLE_1)
	s_and_not1_b32 vcc_lo, exec_lo, s28
	s_cbranch_vccnz .LBB118_479
; %bb.478:
	v_cndmask_b32_e64 v2, v17, s19, s18
	s_delay_alu instid0(VALU_DEP_1)
	v_or_b32_e32 v2, s10, v2
.LBB118_479:
	global_store_b8 v[8:9], v2, off
.LBB118_480:
	s_mov_b32 s28, -1
.LBB118_481:
	s_mov_b32 s29, 0
.LBB118_482:
	s_delay_alu instid0(SALU_CYCLE_1)
	s_and_b32 vcc_lo, exec_lo, s29
	s_cbranch_vccz .LBB118_504
; %bb.483:
	v_cmp_lt_i16_e32 vcc_lo, 22, v10
	s_mov_b32 s29, -1
	s_cbranch_vccz .LBB118_496
; %bb.484:
	v_cmp_gt_i16_e32 vcc_lo, 24, v10
	s_mov_b32 s28, -1
	s_cbranch_vccnz .LBB118_493
; %bb.485:
	v_cmp_lt_i16_e32 vcc_lo, 24, v10
	s_cbranch_vccz .LBB118_490
; %bb.486:
	v_mov_b32_e32 v2, 0x80
	s_and_not1_b32 vcc_lo, exec_lo, s13
	s_cbranch_vccnz .LBB118_489
; %bb.487:
	v_mov_b32_e32 v2, 0
	s_or_b32 s28, s0, s14
	s_delay_alu instid0(SALU_CYCLE_1)
	s_and_not1_b32 vcc_lo, exec_lo, s28
	s_cbranch_vccnz .LBB118_489
; %bb.488:
	v_cndmask_b32_e64 v2, v15, v18, s0
	s_delay_alu instid0(VALU_DEP_1)
	v_or_b32_e32 v2, s10, v2
.LBB118_489:
	s_mov_b32 s28, 0
	global_store_b8 v[8:9], v2, off
.LBB118_490:
	s_and_b32 vcc_lo, exec_lo, s28
	s_cbranch_vccz .LBB118_492
; %bb.491:
	s_and_b32 s28, s12, exec_lo
	s_cselect_b32 s28, s16, s15
	s_and_b32 s29, s11, exec_lo
	s_cselect_b32 s28, s17, s28
	s_delay_alu instid0(SALU_CYCLE_1) | instskip(NEXT) | instid1(SALU_CYCLE_1)
	s_or_b32 s28, s28, s10
	v_mov_b32_e32 v2, s28
	global_store_b8 v[8:9], v2, off
.LBB118_492:
	s_mov_b32 s28, 0
.LBB118_493:
	s_delay_alu instid0(SALU_CYCLE_1)
	s_and_not1_b32 vcc_lo, exec_lo, s28
	s_cbranch_vccnz .LBB118_495
; %bb.494:
	v_mov_b32_e32 v2, s7
	global_store_b8 v[8:9], v2, off
.LBB118_495:
	s_mov_b32 s29, 0
	s_mov_b32 s28, -1
.LBB118_496:
	s_and_not1_b32 vcc_lo, exec_lo, s29
	s_cbranch_vccnz .LBB118_504
; %bb.497:
	v_cmp_lt_i16_e32 vcc_lo, 14, v10
	s_mov_b32 s29, -1
	s_cbranch_vccz .LBB118_501
; %bb.498:
	v_cmp_eq_u16_e32 vcc_lo, 15, v10
	s_mov_b32 s2, -1
	s_cbranch_vccz .LBB118_500
; %bb.499:
	s_mov_b32 s28, -1
	s_mov_b32 s2, 0
	global_store_b16 v[8:9], v16, off
.LBB118_500:
	s_mov_b32 s29, 0
.LBB118_501:
	s_delay_alu instid0(SALU_CYCLE_1)
	s_and_b32 vcc_lo, exec_lo, s29
	s_cbranch_vccz .LBB118_504
; %bb.502:
	v_cmp_eq_u16_e32 vcc_lo, 11, v10
	s_mov_b32 s2, -1
	s_cbranch_vccz .LBB118_504
; %bb.503:
	s_mov_b32 s28, -1
	s_mov_b32 s2, 0
	global_store_b8 v[8:9], v14, off
.LBB118_504:
	s_mov_b32 s29, 0
.LBB118_505:
	s_delay_alu instid0(SALU_CYCLE_1)
	s_and_b32 vcc_lo, exec_lo, s29
	s_cbranch_vccz .LBB118_544
; %bb.506:
	v_cmp_gt_i16_e32 vcc_lo, 5, v10
	s_mov_b32 s28, -1
	s_cbranch_vccnz .LBB118_527
; %bb.507:
	v_cmp_gt_i16_e32 vcc_lo, 8, v10
	s_cbranch_vccnz .LBB118_517
; %bb.508:
	v_cmp_gt_i16_e32 vcc_lo, 9, v10
	s_cbranch_vccnz .LBB118_514
; %bb.509:
	v_cmp_lt_i16_e32 vcc_lo, 9, v10
	s_cbranch_vccz .LBB118_511
; %bb.510:
	v_mov_b32_e32 v2, 0
	s_mov_b32 s28, 0
	s_delay_alu instid0(VALU_DEP_1)
	v_mov_b32_e32 v3, v2
	global_store_b128 v[8:9], v[0:3], off
.LBB118_511:
	s_and_not1_b32 vcc_lo, exec_lo, s28
	s_cbranch_vccnz .LBB118_513
; %bb.512:
	v_dual_mov_b32 v2, s9 :: v_dual_mov_b32 v3, 0
	global_store_b64 v[8:9], v[2:3], off
.LBB118_513:
	s_mov_b32 s28, 0
.LBB118_514:
	s_delay_alu instid0(SALU_CYCLE_1)
	s_and_not1_b32 vcc_lo, exec_lo, s28
	s_cbranch_vccnz .LBB118_516
; %bb.515:
	global_store_b32 v[8:9], v13, off
.LBB118_516:
	s_mov_b32 s28, 0
.LBB118_517:
	s_delay_alu instid0(SALU_CYCLE_1)
	s_and_not1_b32 vcc_lo, exec_lo, s28
	s_cbranch_vccnz .LBB118_526
; %bb.518:
	v_cmp_gt_i16_e32 vcc_lo, 6, v10
	s_mov_b32 s28, -1
	s_cbranch_vccnz .LBB118_524
; %bb.519:
	v_cmp_lt_i16_e32 vcc_lo, 6, v10
	s_cbranch_vccz .LBB118_521
; %bb.520:
	s_mov_b32 s28, 0
	global_store_b64 v[8:9], v[0:1], off
.LBB118_521:
	s_and_not1_b32 vcc_lo, exec_lo, s28
	s_cbranch_vccnz .LBB118_523
; %bb.522:
	v_mov_b32_e32 v2, s9
	global_store_b32 v[8:9], v2, off
.LBB118_523:
	s_mov_b32 s28, 0
.LBB118_524:
	s_delay_alu instid0(SALU_CYCLE_1)
	s_and_not1_b32 vcc_lo, exec_lo, s28
	s_cbranch_vccnz .LBB118_526
; %bb.525:
	global_store_b16 v[8:9], v12, off
.LBB118_526:
	s_mov_b32 s28, 0
.LBB118_527:
	s_delay_alu instid0(SALU_CYCLE_1)
	s_and_not1_b32 vcc_lo, exec_lo, s28
	s_cbranch_vccnz .LBB118_543
; %bb.528:
	v_cmp_gt_i16_e32 vcc_lo, 2, v10
	s_mov_b32 s28, -1
	s_cbranch_vccnz .LBB118_538
; %bb.529:
	v_cmp_gt_i16_e32 vcc_lo, 3, v10
	s_cbranch_vccnz .LBB118_535
; %bb.530:
	v_cmp_lt_i16_e32 vcc_lo, 3, v10
	s_cbranch_vccz .LBB118_532
; %bb.531:
	s_mov_b32 s28, 0
	global_store_b64 v[8:9], v[4:5], off
.LBB118_532:
	s_and_not1_b32 vcc_lo, exec_lo, s28
	s_cbranch_vccnz .LBB118_534
; %bb.533:
	global_store_b32 v[8:9], v11, off
.LBB118_534:
	s_mov_b32 s28, 0
.LBB118_535:
	s_delay_alu instid0(SALU_CYCLE_1)
	s_and_not1_b32 vcc_lo, exec_lo, s28
	s_cbranch_vccnz .LBB118_537
; %bb.536:
	global_store_b16 v[8:9], v11, off
.LBB118_537:
	s_mov_b32 s28, 0
.LBB118_538:
	s_delay_alu instid0(SALU_CYCLE_1)
	s_and_not1_b32 vcc_lo, exec_lo, s28
	s_cbranch_vccnz .LBB118_543
; %bb.539:
	v_cmp_lt_i16_e32 vcc_lo, 0, v10
	s_mov_b32 s28, -1
	s_cbranch_vccz .LBB118_541
; %bb.540:
	s_mov_b32 s28, 0
	global_store_b8 v[8:9], v11, off
.LBB118_541:
	s_and_not1_b32 vcc_lo, exec_lo, s28
	s_cbranch_vccnz .LBB118_543
; %bb.542:
	global_store_b8 v[8:9], v4, off
.LBB118_543:
	s_mov_b32 s28, -1
.LBB118_544:
	s_delay_alu instid0(SALU_CYCLE_1)
	s_and_not1_b32 vcc_lo, exec_lo, s28
	s_cbranch_vccnz .LBB118_546
; %bb.545:
	v_add_nc_u32_e32 v20, 0x80, v20
	s_mov_b32 s29, -1
	s_branch .LBB118_547
.LBB118_546:
	s_mov_b32 s29, 0
                                        ; implicit-def: $vgpr20
.LBB118_547:
	s_and_not1_b32 s28, s25, exec_lo
	s_and_b32 s2, s2, exec_lo
	s_or_not1_b32 s30, s29, exec_lo
	s_or_b32 s28, s28, s2
.LBB118_548:
	s_or_b32 exec_lo, exec_lo, s27
	s_mov_b32 s2, 0
	s_mov_b32 s29, 0
                                        ; implicit-def: $vgpr8_vgpr9
	s_and_saveexec_b32 s27, s30
	s_cbranch_execz .LBB118_769
; %bb.549:
	v_cmp_gt_i32_e32 vcc_lo, s22, v20
	s_mov_b32 s30, s28
                                        ; implicit-def: $vgpr8_vgpr9
	s_and_saveexec_b32 s22, vcc_lo
	s_cbranch_execz .LBB118_768
; %bb.550:
	v_mul_lo_u32 v2, v20, s6
	v_cmp_gt_i16_e32 vcc_lo, 11, v10
	s_delay_alu instid0(VALU_DEP_2) | instskip(SKIP_1) | instid1(VALU_DEP_1)
	v_ashrrev_i32_e32 v3, 31, v2
	v_add_co_u32 v8, s2, s4, v2
	v_add_co_ci_u32_e64 v9, s2, s5, v3, s2
	s_cbranch_vccnz .LBB118_561
; %bb.551:
	v_cmp_lt_i16_e32 vcc_lo, 25, v10
	s_mov_b32 s29, -1
	s_mov_b32 s2, s28
	s_cbranch_vccz .LBB118_745
; %bb.552:
	v_cmp_lt_i16_e32 vcc_lo, 28, v10
	s_mov_b32 s2, s28
	s_cbranch_vccz .LBB118_732
; %bb.553:
	v_cmp_lt_i16_e32 vcc_lo, 43, v10
	;; [unrolled: 4-line block ×3, first 2 shown]
	s_mov_b32 s2, s28
	s_cbranch_vccz .LBB118_558
; %bb.555:
	v_cmp_eq_u16_e32 vcc_lo, 46, v10
	s_mov_b32 s2, -1
	s_cbranch_vccz .LBB118_557
; %bb.556:
	s_mov_b32 s2, 0
	global_store_b32 v[8:9], v16, off
.LBB118_557:
	s_mov_b32 s29, 0
.LBB118_558:
	s_delay_alu instid0(SALU_CYCLE_1)
	s_and_b32 vcc_lo, exec_lo, s29
	s_cbranch_vccz .LBB118_727
; %bb.559:
	v_cmp_eq_u16_e32 vcc_lo, 44, v10
	s_mov_b32 s2, -1
	s_cbranch_vccz .LBB118_727
; %bb.560:
	v_cndmask_b32_e64 v2, v21, 0xff, s1
	s_mov_b32 s2, 0
	s_mov_b32 s29, 0
	global_store_b8 v[8:9], v2, off
	s_branch .LBB118_728
.LBB118_561:
	s_mov_b32 s0, 0
	s_mov_b32 s1, -1
	s_mov_b32 s2, s28
	s_branch .LBB118_767
.LBB118_562:
	s_mov_b32 s10, -1
	s_mov_b32 s9, 0
                                        ; implicit-def: $vgpr3
.LBB118_563:
	s_and_not1_b32 vcc_lo, exec_lo, s10
                                        ; implicit-def: $sgpr10
	s_cbranch_vccnz .LBB118_565
; %bb.564:
	v_add_f32_e64 v3, 0x42800000, |s8|
	s_mov_b32 s10, 0
	s_delay_alu instid0(VALU_DEP_1) | instskip(NEXT) | instid1(VALU_DEP_1)
	v_and_b32_e32 v3, 0xff, v3
	v_cmp_ne_u32_e64 s9, 0, v3
.LBB118_565:
	v_mov_b32_e32 v4, s10
	s_delay_alu instid0(VALU_DEP_2)
	s_and_not1_b32 vcc_lo, exec_lo, s9
	s_cbranch_vccnz .LBB118_567
; %bb.566:
	s_lshr_b32 s8, s8, 24
	s_delay_alu instid0(SALU_CYCLE_1) | instskip(NEXT) | instid1(SALU_CYCLE_1)
	s_and_b32 s8, s8, 0x80
	v_or_b32_e32 v4, s8, v3
.LBB118_567:
	s_mov_b32 s8, 0
	global_store_b8 v[0:1], v4, off
.LBB118_568:
	s_and_b32 vcc_lo, exec_lo, s8
	s_cbranch_vccz .LBB118_580
; %bb.569:
	s_lshl_b32 s8, s7, 8
	s_lshl_b32 s9, s7, 25
	s_and_b32 s8, s8, 0x7f00
	s_lshr_b32 s10, s9, 4
	s_or_b32 s8, s8, 0.5
	s_or_b32 s10, s10, 0x70000000
	v_add_f32_e64 v3, s8, -0.5
	v_mul_f32_e64 v4, 0x7800000, s10
	s_cmp_lt_u32 s9, 0x8000000
	s_cselect_b32 vcc_lo, -1, 0
	s_lshl_b32 s8, s7, 24
	s_delay_alu instid0(VALU_DEP_1) | instskip(SKIP_1) | instid1(VALU_DEP_1)
	v_cndmask_b32_e32 v3, v4, v3, vcc_lo
	s_and_b32 s8, s8, 0x80000000
	v_readfirstlane_b32 s10, v3
	s_delay_alu instid0(VALU_DEP_1) | instskip(NEXT) | instid1(SALU_CYCLE_1)
	s_or_b32 s8, s8, s10
	s_and_b32 s9, s8, 0x7fffffff
	s_delay_alu instid0(SALU_CYCLE_1)
	s_cmp_lt_u32 s9, 0x43f00000
	s_cbranch_scc0 .LBB118_572
; %bb.570:
	s_cmp_gt_u32 s9, 0x3c7fffff
	s_cbranch_scc0 .LBB118_573
; %bb.571:
	s_bfe_u32 s10, s10, 0x10014
	s_delay_alu instid0(SALU_CYCLE_1) | instskip(NEXT) | instid1(SALU_CYCLE_1)
	s_add_i32 s10, s8, s10
	s_add_i32 s10, s10, 0x407ffff
	s_delay_alu instid0(SALU_CYCLE_1)
	s_and_b32 s11, s10, 0xff00000
	s_lshr_b32 s10, s10, 20
	s_cmp_lg_u32 s11, 0x7f00000
	s_cselect_b32 s11, s10, 0x7e
	s_mov_b32 s10, 0
	s_branch .LBB118_574
.LBB118_572:
	s_mov_b32 s10, -1
                                        ; implicit-def: $vgpr3
	s_branch .LBB118_577
.LBB118_573:
	s_mov_b32 s10, -1
                                        ; implicit-def: $sgpr11
.LBB118_574:
	v_mov_b32_e32 v3, s11
	s_and_not1_b32 vcc_lo, exec_lo, s10
	s_cbranch_vccnz .LBB118_576
; %bb.575:
	v_add_f32_e64 v3, 0x46800000, |s8|
.LBB118_576:
	s_mov_b32 s10, 0
.LBB118_577:
	s_delay_alu instid0(SALU_CYCLE_1)
	s_and_not1_b32 vcc_lo, exec_lo, s10
	s_cbranch_vccnz .LBB118_579
; %bb.578:
	s_cmp_gt_u32 s9, 0x7f800000
	s_movk_i32 s9, 0x7f
	s_delay_alu instid0(SALU_CYCLE_1) | instskip(NEXT) | instid1(SALU_CYCLE_1)
	s_cselect_b32 s9, s9, 0x7e
	v_mov_b32_e32 v3, s9
.LBB118_579:
	s_lshr_b32 s8, s8, 24
	s_delay_alu instid0(SALU_CYCLE_1)
	s_and_b32 s8, s8, 0x80
	s_delay_alu instid0(VALU_DEP_1) | instid1(SALU_CYCLE_1)
	v_or_b32_e32 v3, s8, v3
	global_store_b8 v[0:1], v3, off
.LBB118_580:
	s_mov_b32 s8, 0
.LBB118_581:
	s_delay_alu instid0(SALU_CYCLE_1)
	s_and_not1_b32 vcc_lo, exec_lo, s8
	s_cbranch_vccnz .LBB118_583
; %bb.582:
	v_mov_b32_e32 v3, s7
	global_store_b8 v[0:1], v3, off
.LBB118_583:
	s_mov_b32 s8, 0
	s_mov_b32 s9, -1
.LBB118_584:
	s_and_not1_b32 vcc_lo, exec_lo, s8
	s_mov_b32 s8, 0
	s_cbranch_vccnz .LBB118_591
; %bb.585:
	v_cmp_lt_i16_e32 vcc_lo, 14, v10
	s_mov_b32 s8, -1
	s_cbranch_vccz .LBB118_589
; %bb.586:
	v_cmp_eq_u16_e32 vcc_lo, 15, v10
	s_mov_b32 s0, -1
	s_cbranch_vccz .LBB118_588
; %bb.587:
	s_lshl_b32 s0, s7, 8
	s_lshl_b32 s8, s7, 25
	s_and_b32 s0, s0, 0x7f00
	s_lshr_b32 s9, s8, 4
	s_or_b32 s0, s0, 0.5
	s_or_b32 s9, s9, 0x70000000
	v_add_f32_e64 v3, s0, -0.5
	v_mul_f32_e64 v4, 0x7800000, s9
	s_cmp_lt_u32 s8, 0x8000000
	s_mov_b32 s9, -1
	s_cselect_b32 vcc_lo, -1, 0
	s_lshl_b32 s0, s7, 24
	v_cndmask_b32_e32 v3, v4, v3, vcc_lo
	s_and_b32 s0, s0, 0x80000000
	s_delay_alu instid0(VALU_DEP_1) | instid1(SALU_CYCLE_1)
	v_or_b32_e32 v4, s0, v3
	v_bfe_u32 v3, v3, 16, 1
	s_mov_b32 s0, 0
	s_delay_alu instid0(VALU_DEP_2) | instskip(NEXT) | instid1(VALU_DEP_2)
	v_cmp_o_f32_e32 vcc_lo, v4, v4
	v_add_nc_u32_e32 v3, v4, v3
	s_delay_alu instid0(VALU_DEP_1) | instskip(NEXT) | instid1(VALU_DEP_1)
	v_add_nc_u32_e32 v3, 0x7fff, v3
	v_lshrrev_b32_e32 v3, 16, v3
	s_delay_alu instid0(VALU_DEP_1)
	v_cndmask_b32_e32 v3, 0x7fc0, v3, vcc_lo
	global_store_b16 v[0:1], v3, off
.LBB118_588:
	s_mov_b32 s8, 0
.LBB118_589:
	s_delay_alu instid0(SALU_CYCLE_1)
	s_and_b32 vcc_lo, exec_lo, s8
	s_mov_b32 s8, 0
	s_cbranch_vccz .LBB118_591
; %bb.590:
	v_cmp_ne_u16_e64 s0, 11, v10
	s_mov_b32 s8, -1
.LBB118_591:
	s_delay_alu instid0(VALU_DEP_1)
	s_and_b32 vcc_lo, exec_lo, s0
	s_cbranch_vccnz .LBB118_708
; %bb.592:
	s_and_not1_b32 vcc_lo, exec_lo, s8
	s_cbranch_vccnz .LBB118_594
.LBB118_593:
	s_lshl_b32 s0, s7, 8
	s_lshl_b32 s8, s7, 25
	s_and_b32 s0, s0, 0x7f00
	s_lshr_b32 s9, s8, 4
	s_or_b32 s0, s0, 0.5
	s_or_b32 s9, s9, 0x70000000
	v_add_f32_e64 v3, s0, -0.5
	v_mul_f32_e64 v4, 0x7800000, s9
	s_cmp_lt_u32 s8, 0x8000000
	s_mov_b32 s9, -1
	s_cselect_b32 vcc_lo, -1, 0
	s_delay_alu instid0(VALU_DEP_1) | instskip(NEXT) | instid1(VALU_DEP_1)
	v_cndmask_b32_e32 v3, v4, v3, vcc_lo
	v_cmp_neq_f32_e32 vcc_lo, 0, v3
	v_cndmask_b32_e64 v3, 0, 1, vcc_lo
	global_store_b8 v[0:1], v3, off
.LBB118_594:
.LBB118_595:
	s_and_not1_b32 vcc_lo, exec_lo, s9
	s_cbranch_vccnz .LBB118_663
.LBB118_596:
	v_add_nc_u32_e32 v2, s6, v2
	v_cmp_gt_i16_e32 vcc_lo, 11, v10
	s_delay_alu instid0(VALU_DEP_2) | instskip(SKIP_1) | instid1(VALU_DEP_1)
	v_ashrrev_i32_e32 v1, 31, v2
	v_add_co_u32 v0, s0, s4, v2
	v_add_co_ci_u32_e64 v1, s0, s5, v1, s0
	s_cbranch_vccnz .LBB118_624
; %bb.597:
	v_cmp_lt_i16_e32 vcc_lo, 25, v10
	s_mov_b32 s10, -1
	s_mov_b32 s8, 0
	s_mov_b32 s9, 0
	s_mov_b32 s0, 0
	s_cbranch_vccz .LBB118_720
; %bb.598:
	v_cmp_lt_i16_e32 vcc_lo, 28, v10
	s_cbranch_vccz .LBB118_613
; %bb.599:
	v_cmp_lt_i16_e32 vcc_lo, 43, v10
	s_cbranch_vccz .LBB118_609
; %bb.600:
	v_cmp_lt_i16_e32 vcc_lo, 45, v10
	s_cbranch_vccz .LBB118_603
; %bb.601:
	v_cmp_eq_u16_e32 vcc_lo, 46, v10
	s_mov_b32 s0, -1
	s_mov_b32 s10, 0
	s_cbranch_vccz .LBB118_603
; %bb.602:
	s_lshl_b32 s0, s7, 8
	s_lshl_b32 s9, s7, 25
	s_and_b32 s0, s0, 0x7f00
	s_lshr_b32 s11, s9, 4
	s_or_b32 s0, s0, 0.5
	s_or_b32 s11, s11, 0x70000000
	v_add_f32_e64 v3, s0, -0.5
	v_mul_f32_e64 v4, 0x7800000, s11
	s_cmp_lt_u32 s9, 0x8000000
	s_mov_b32 s9, -1
	s_cselect_b32 vcc_lo, -1, 0
	s_lshl_b32 s0, s7, 24
	v_cndmask_b32_e32 v3, v4, v3, vcc_lo
	s_and_b32 s0, s0, 0x80000000
	s_delay_alu instid0(VALU_DEP_1) | instid1(SALU_CYCLE_1)
	v_or_b32_e32 v4, s0, v3
	v_bfe_u32 v3, v3, 16, 1
	s_mov_b32 s0, 0
	s_delay_alu instid0(VALU_DEP_2) | instskip(NEXT) | instid1(VALU_DEP_2)
	v_cmp_o_f32_e32 vcc_lo, v4, v4
	v_add_nc_u32_e32 v3, v4, v3
	s_delay_alu instid0(VALU_DEP_1) | instskip(NEXT) | instid1(VALU_DEP_1)
	v_add_nc_u32_e32 v3, 0x7fff, v3
	v_lshrrev_b32_e32 v3, 16, v3
	s_delay_alu instid0(VALU_DEP_1)
	v_cndmask_b32_e32 v3, 0x7fc0, v3, vcc_lo
	global_store_b32 v[0:1], v3, off
.LBB118_603:
	s_and_b32 vcc_lo, exec_lo, s10
	s_cbranch_vccz .LBB118_608
; %bb.604:
	v_cmp_eq_u16_e32 vcc_lo, 44, v10
	s_mov_b32 s0, -1
	s_cbranch_vccz .LBB118_608
; %bb.605:
	s_lshl_b32 s0, s7, 8
	s_lshl_b32 s9, s7, 25
	s_and_b32 s0, s0, 0x7f00
	s_lshr_b32 s10, s9, 4
	s_or_b32 s0, s0, 0.5
	s_or_b32 s10, s10, 0x70000000
	v_add_f32_e64 v3, s0, -0.5
	v_mul_f32_e64 v4, 0x7800000, s10
	s_cmp_lt_u32 s9, 0x8000000
	s_cselect_b32 vcc_lo, -1, 0
	s_delay_alu instid0(VALU_DEP_1) | instskip(NEXT) | instid1(VALU_DEP_1)
	v_dual_cndmask_b32 v3, v4, v3 :: v_dual_mov_b32 v4, 0xff
	v_readfirstlane_b32 s0, v3
	s_delay_alu instid0(VALU_DEP_1) | instskip(NEXT) | instid1(SALU_CYCLE_1)
	s_bfe_u32 s9, s0, 0x80017
	s_cmpk_eq_i32 s9, 0xff
	s_cbranch_scc1 .LBB118_607
; %bb.606:
	s_bitcmp1_b32 s0, 22
	v_lshrrev_b32_e32 v3, 23, v3
	s_cselect_b32 s10, -1, 0
	s_and_b32 s0, s0, 0x3fffff
	s_delay_alu instid0(SALU_CYCLE_1) | instskip(NEXT) | instid1(SALU_CYCLE_1)
	s_or_b32 s0, s9, s0
	s_cmp_lg_u32 s0, 0
	s_cselect_b32 s0, -1, 0
	s_delay_alu instid0(SALU_CYCLE_1) | instskip(NEXT) | instid1(SALU_CYCLE_1)
	s_and_b32 s0, s10, s0
	v_cndmask_b32_e64 v4, 0, 1, s0
	s_delay_alu instid0(VALU_DEP_1)
	v_add_nc_u32_e32 v4, v3, v4
.LBB118_607:
	s_mov_b32 s0, 0
	s_mov_b32 s9, -1
	global_store_b8 v[0:1], v4, off
.LBB118_608:
	s_mov_b32 s10, 0
.LBB118_609:
	s_delay_alu instid0(SALU_CYCLE_1)
	s_and_b32 vcc_lo, exec_lo, s10
	s_cbranch_vccz .LBB118_612
; %bb.610:
	v_cmp_eq_u16_e32 vcc_lo, 29, v10
	s_mov_b32 s0, -1
	s_cbranch_vccz .LBB118_612
; %bb.611:
	s_lshl_b32 s0, s7, 8
	s_lshl_b32 s9, s7, 25
	s_and_b32 s0, s0, 0x7f00
	s_lshr_b32 s10, s9, 4
	s_or_b32 s0, s0, 0.5
	s_or_b32 s10, s10, 0x70000000
	v_add_f32_e64 v3, s0, -0.5
	v_mul_f32_e64 v4, 0x7800000, s10
	s_cmp_lt_u32 s9, 0x8000000
	s_mov_b32 s9, -1
	s_cselect_b32 vcc_lo, -1, 0
	s_lshl_b32 s0, s7, 24
	v_cndmask_b32_e32 v3, v4, v3, vcc_lo
	s_and_b32 s0, s0, 0x80000000
	s_delay_alu instid0(VALU_DEP_1) | instid1(SALU_CYCLE_1)
	v_or_b32_e32 v3, s0, v3
	s_mov_b32 s0, 0
	s_delay_alu instid0(VALU_DEP_1) | instskip(NEXT) | instid1(VALU_DEP_1)
	v_trunc_f32_e32 v3, v3
	v_mul_f32_e32 v4, 0x2f800000, v3
	s_delay_alu instid0(VALU_DEP_1) | instskip(NEXT) | instid1(VALU_DEP_1)
	v_floor_f32_e32 v4, v4
	v_fmamk_f32 v3, v4, 0xcf800000, v3
	v_cvt_u32_f32_e32 v4, v4
	s_delay_alu instid0(VALU_DEP_2)
	v_cvt_u32_f32_e32 v3, v3
	global_store_b64 v[0:1], v[3:4], off
.LBB118_612:
	s_mov_b32 s10, 0
.LBB118_613:
	s_delay_alu instid0(SALU_CYCLE_1)
	s_and_b32 vcc_lo, exec_lo, s10
	s_cbranch_vccz .LBB118_719
; %bb.614:
	v_cmp_gt_i16_e32 vcc_lo, 27, v10
	s_mov_b32 s9, -1
	s_cbranch_vccnz .LBB118_620
; %bb.615:
	v_cmp_lt_i16_e32 vcc_lo, 27, v10
	s_cbranch_vccz .LBB118_617
; %bb.616:
	s_lshl_b32 s9, s7, 8
	s_lshl_b32 s10, s7, 25
	s_and_b32 s9, s9, 0x7f00
	s_lshr_b32 s11, s10, 4
	s_or_b32 s9, s9, 0.5
	s_or_b32 s11, s11, 0x70000000
	v_add_f32_e64 v3, s9, -0.5
	v_mul_f32_e64 v4, 0x7800000, s11
	s_cmp_lt_u32 s10, 0x8000000
	s_cselect_b32 vcc_lo, -1, 0
	s_lshl_b32 s9, s7, 24
	s_delay_alu instid0(VALU_DEP_1)
	v_cndmask_b32_e32 v3, v4, v3, vcc_lo
	s_and_b32 s9, s9, 0x80000000
	s_delay_alu instid0(VALU_DEP_1) | instid1(SALU_CYCLE_1)
	v_or_b32_e32 v3, s9, v3
	s_mov_b32 s9, 0
	s_delay_alu instid0(VALU_DEP_1)
	v_cvt_u32_f32_e32 v3, v3
	global_store_b32 v[0:1], v3, off
.LBB118_617:
	s_and_not1_b32 vcc_lo, exec_lo, s9
	s_cbranch_vccnz .LBB118_619
; %bb.618:
	s_lshl_b32 s9, s7, 8
	s_lshl_b32 s10, s7, 25
	s_and_b32 s9, s9, 0x7f00
	s_lshr_b32 s11, s10, 4
	s_or_b32 s9, s9, 0.5
	s_or_b32 s11, s11, 0x70000000
	v_add_f32_e64 v3, s9, -0.5
	v_mul_f32_e64 v4, 0x7800000, s11
	s_cmp_lt_u32 s10, 0x8000000
	s_cselect_b32 vcc_lo, -1, 0
	s_lshl_b32 s9, s7, 24
	s_delay_alu instid0(VALU_DEP_1)
	v_cndmask_b32_e32 v3, v4, v3, vcc_lo
	s_and_b32 s9, s9, 0x80000000
	s_delay_alu instid0(VALU_DEP_1) | instid1(SALU_CYCLE_1)
	v_or_b32_e32 v3, s9, v3
	s_delay_alu instid0(VALU_DEP_1)
	v_cvt_u32_f32_e32 v3, v3
	global_store_b16 v[0:1], v3, off
.LBB118_619:
	s_mov_b32 s9, 0
.LBB118_620:
	s_delay_alu instid0(SALU_CYCLE_1)
	s_and_not1_b32 vcc_lo, exec_lo, s9
	s_cbranch_vccnz .LBB118_718
; %bb.621:
	s_lshl_b32 s9, s7, 8
	s_lshl_b32 s10, s7, 25
	s_and_b32 s9, s9, 0x7f00
	s_lshr_b32 s11, s10, 4
	s_or_b32 s9, s9, 0.5
	s_or_b32 s11, s11, 0x70000000
	v_add_f32_e64 v3, s9, -0.5
	v_mul_f32_e64 v4, 0x7800000, s11
	s_cmp_lt_u32 s10, 0x8000000
	s_cselect_b32 vcc_lo, -1, 0
	s_lshl_b32 s10, s7, 24
	s_delay_alu instid0(VALU_DEP_1) | instskip(SKIP_1) | instid1(VALU_DEP_1)
	v_dual_cndmask_b32 v3, v4, v3 :: v_dual_mov_b32 v4, 0x80
	s_and_b32 s10, s10, 0x80000000
	v_readfirstlane_b32 s9, v3
	s_delay_alu instid0(VALU_DEP_1) | instskip(NEXT) | instid1(SALU_CYCLE_1)
	s_or_b32 s9, s10, s9
	s_and_b32 s10, s9, 0x7fffffff
	s_delay_alu instid0(SALU_CYCLE_1)
	s_cmp_gt_u32 s10, 0x437fffff
	s_cbranch_scc1 .LBB118_717
; %bb.622:
	s_cmp_gt_u32 s10, 0x3bffffff
	s_cbranch_scc0 .LBB118_712
; %bb.623:
	v_bfe_u32 v3, v3, 20, 1
	s_mov_b32 s11, 0
	s_mov_b32 s10, -1
	s_delay_alu instid0(VALU_DEP_1) | instskip(NEXT) | instid1(VALU_DEP_1)
	v_add_nc_u32_e32 v3, s9, v3
	v_add_nc_u32_e32 v3, 0x487ffff, v3
	s_delay_alu instid0(VALU_DEP_1)
	v_lshrrev_b32_e32 v3, 20, v3
	s_branch .LBB118_713
.LBB118_624:
	s_mov_b32 s9, 0
	s_cbranch_execz .LBB118_808
; %bb.625:
	v_cmp_gt_i16_e32 vcc_lo, 5, v10
	s_mov_b32 s0, -1
	s_cbranch_vccnz .LBB118_646
; %bb.626:
	v_cmp_gt_i16_e32 vcc_lo, 8, v10
	s_cbranch_vccnz .LBB118_636
; %bb.627:
	v_cmp_gt_i16_e32 vcc_lo, 9, v10
	s_cbranch_vccnz .LBB118_633
; %bb.628:
	v_cmp_lt_i16_e32 vcc_lo, 9, v10
	s_cbranch_vccz .LBB118_630
; %bb.629:
	s_lshl_b32 s0, s7, 8
	s_lshl_b32 s8, s7, 25
	s_and_b32 s0, s0, 0x7f00
	s_lshr_b32 s9, s8, 4
	s_or_b32 s0, s0, 0.5
	s_or_b32 s9, s9, 0x70000000
	v_add_f32_e64 v3, s0, -0.5
	v_mul_f32_e64 v4, 0x7800000, s9
	s_cmp_lt_u32 s8, 0x8000000
	v_mov_b32_e32 v5, 0
	s_cselect_b32 vcc_lo, -1, 0
	s_lshl_b32 s0, s7, 24
	v_cndmask_b32_e32 v3, v4, v3, vcc_lo
	s_and_b32 s0, s0, 0x80000000
	v_mov_b32_e32 v6, v5
	s_delay_alu instid0(VALU_DEP_2) | instskip(SKIP_1) | instid1(VALU_DEP_1)
	v_or_b32_e32 v3, s0, v3
	s_mov_b32 s0, 0
	v_cvt_f64_f32_e32 v[3:4], v3
	global_store_b128 v[0:1], v[3:6], off
.LBB118_630:
	s_and_not1_b32 vcc_lo, exec_lo, s0
	s_cbranch_vccnz .LBB118_632
; %bb.631:
	s_lshl_b32 s0, s7, 8
	s_lshl_b32 s8, s7, 25
	s_and_b32 s0, s0, 0x7f00
	s_lshr_b32 s9, s8, 4
	s_or_b32 s0, s0, 0.5
	s_or_b32 s9, s9, 0x70000000
	v_add_f32_e64 v3, s0, -0.5
	v_mul_f32_e64 v4, 0x7800000, s9
	s_cmp_lt_u32 s8, 0x8000000
	s_cselect_b32 vcc_lo, -1, 0
	s_lshl_b32 s0, s7, 24
	s_delay_alu instid0(VALU_DEP_1)
	v_dual_cndmask_b32 v3, v4, v3 :: v_dual_mov_b32 v4, 0
	s_and_b32 s0, s0, 0x80000000
	s_delay_alu instid0(VALU_DEP_1) | instid1(SALU_CYCLE_1)
	v_or_b32_e32 v3, s0, v3
	global_store_b64 v[0:1], v[3:4], off
.LBB118_632:
	s_mov_b32 s0, 0
.LBB118_633:
	s_delay_alu instid0(SALU_CYCLE_1)
	s_and_not1_b32 vcc_lo, exec_lo, s0
	s_cbranch_vccnz .LBB118_635
; %bb.634:
	s_lshl_b32 s0, s7, 8
	s_lshl_b32 s8, s7, 25
	s_and_b32 s0, s0, 0x7f00
	s_lshr_b32 s9, s8, 4
	s_or_b32 s0, s0, 0.5
	s_or_b32 s9, s9, 0x70000000
	v_add_f32_e64 v3, s0, -0.5
	v_mul_f32_e64 v4, 0x7800000, s9
	s_cmp_lt_u32 s8, 0x8000000
	s_cselect_b32 vcc_lo, -1, 0
	s_lshl_b32 s0, s7, 24
	s_delay_alu instid0(VALU_DEP_1)
	v_cndmask_b32_e32 v3, v4, v3, vcc_lo
	s_and_b32 s0, s0, 0x80000000
	s_delay_alu instid0(VALU_DEP_1) | instid1(SALU_CYCLE_1)
	v_or_b32_e32 v3, s0, v3
	s_delay_alu instid0(VALU_DEP_1) | instskip(NEXT) | instid1(VALU_DEP_1)
	v_cvt_f16_f32_e32 v3, v3
	v_and_b32_e32 v3, 0xffff, v3
	global_store_b32 v[0:1], v3, off
.LBB118_635:
	s_mov_b32 s0, 0
.LBB118_636:
	s_delay_alu instid0(SALU_CYCLE_1)
	s_and_not1_b32 vcc_lo, exec_lo, s0
	s_cbranch_vccnz .LBB118_645
; %bb.637:
	v_cmp_gt_i16_e32 vcc_lo, 6, v10
	s_mov_b32 s0, -1
	s_cbranch_vccnz .LBB118_643
; %bb.638:
	v_cmp_lt_i16_e32 vcc_lo, 6, v10
	s_cbranch_vccz .LBB118_640
; %bb.639:
	s_lshl_b32 s0, s7, 8
	s_lshl_b32 s8, s7, 25
	s_and_b32 s0, s0, 0x7f00
	s_lshr_b32 s9, s8, 4
	s_or_b32 s0, s0, 0.5
	s_or_b32 s9, s9, 0x70000000
	v_add_f32_e64 v3, s0, -0.5
	v_mul_f32_e64 v4, 0x7800000, s9
	s_cmp_lt_u32 s8, 0x8000000
	s_cselect_b32 vcc_lo, -1, 0
	s_lshl_b32 s0, s7, 24
	s_delay_alu instid0(VALU_DEP_1)
	v_cndmask_b32_e32 v3, v4, v3, vcc_lo
	s_and_b32 s0, s0, 0x80000000
	s_delay_alu instid0(VALU_DEP_1) | instid1(SALU_CYCLE_1)
	v_or_b32_e32 v3, s0, v3
	s_mov_b32 s0, 0
	s_delay_alu instid0(VALU_DEP_1)
	v_cvt_f64_f32_e32 v[3:4], v3
	global_store_b64 v[0:1], v[3:4], off
.LBB118_640:
	s_and_not1_b32 vcc_lo, exec_lo, s0
	s_cbranch_vccnz .LBB118_642
; %bb.641:
	s_lshl_b32 s0, s7, 8
	s_lshl_b32 s8, s7, 25
	s_and_b32 s0, s0, 0x7f00
	s_lshr_b32 s9, s8, 4
	s_or_b32 s0, s0, 0.5
	s_or_b32 s9, s9, 0x70000000
	v_add_f32_e64 v3, s0, -0.5
	v_mul_f32_e64 v4, 0x7800000, s9
	s_cmp_lt_u32 s8, 0x8000000
	s_cselect_b32 vcc_lo, -1, 0
	s_lshl_b32 s0, s7, 24
	s_delay_alu instid0(VALU_DEP_1)
	v_cndmask_b32_e32 v3, v4, v3, vcc_lo
	s_and_b32 s0, s0, 0x80000000
	s_delay_alu instid0(VALU_DEP_1) | instid1(SALU_CYCLE_1)
	v_or_b32_e32 v3, s0, v3
	global_store_b32 v[0:1], v3, off
.LBB118_642:
	s_mov_b32 s0, 0
.LBB118_643:
	s_delay_alu instid0(SALU_CYCLE_1)
	s_and_not1_b32 vcc_lo, exec_lo, s0
	s_cbranch_vccnz .LBB118_645
; %bb.644:
	s_lshl_b32 s0, s7, 8
	s_lshl_b32 s8, s7, 25
	s_and_b32 s0, s0, 0x7f00
	s_lshr_b32 s9, s8, 4
	s_or_b32 s0, s0, 0.5
	s_or_b32 s9, s9, 0x70000000
	v_add_f32_e64 v3, s0, -0.5
	v_mul_f32_e64 v4, 0x7800000, s9
	s_cmp_lt_u32 s8, 0x8000000
	s_cselect_b32 vcc_lo, -1, 0
	s_lshl_b32 s0, s7, 24
	s_delay_alu instid0(VALU_DEP_1)
	v_cndmask_b32_e32 v3, v4, v3, vcc_lo
	s_and_b32 s0, s0, 0x80000000
	s_delay_alu instid0(VALU_DEP_1) | instid1(SALU_CYCLE_1)
	v_or_b32_e32 v3, s0, v3
	s_delay_alu instid0(VALU_DEP_1)
	v_cvt_f16_f32_e32 v3, v3
	global_store_b16 v[0:1], v3, off
.LBB118_645:
	s_mov_b32 s0, 0
.LBB118_646:
	s_delay_alu instid0(SALU_CYCLE_1)
	s_and_not1_b32 vcc_lo, exec_lo, s0
	s_cbranch_vccnz .LBB118_662
; %bb.647:
	v_cmp_gt_i16_e32 vcc_lo, 2, v10
	s_mov_b32 s0, -1
	s_cbranch_vccnz .LBB118_657
; %bb.648:
	v_cmp_gt_i16_e32 vcc_lo, 3, v10
	s_cbranch_vccnz .LBB118_654
; %bb.649:
	v_cmp_lt_i16_e32 vcc_lo, 3, v10
	s_cbranch_vccz .LBB118_651
; %bb.650:
	s_lshl_b32 s0, s7, 8
	s_lshl_b32 s8, s7, 25
	s_and_b32 s0, s0, 0x7f00
	s_lshr_b32 s9, s8, 4
	s_or_b32 s0, s0, 0.5
	s_or_b32 s9, s9, 0x70000000
	v_add_f32_e64 v3, s0, -0.5
	v_mul_f32_e64 v4, 0x7800000, s9
	s_cmp_lt_u32 s8, 0x8000000
	s_cselect_b32 vcc_lo, -1, 0
	s_lshl_b32 s0, s7, 24
	s_delay_alu instid0(VALU_DEP_1)
	v_cndmask_b32_e32 v3, v4, v3, vcc_lo
	s_and_b32 s0, s0, 0x80000000
	s_delay_alu instid0(VALU_DEP_1) | instid1(SALU_CYCLE_1)
	v_or_b32_e32 v3, s0, v3
	s_mov_b32 s0, 0
	s_delay_alu instid0(VALU_DEP_1) | instskip(NEXT) | instid1(VALU_DEP_1)
	v_trunc_f32_e32 v3, v3
	v_mul_f32_e64 v4, 0x2f800000, |v3|
	v_ashrrev_i32_e32 v6, 31, v3
	s_delay_alu instid0(VALU_DEP_2) | instskip(NEXT) | instid1(VALU_DEP_1)
	v_floor_f32_e32 v4, v4
	v_fma_f32 v5, 0xcf800000, v4, |v3|
	v_cvt_u32_f32_e32 v4, v4
	s_delay_alu instid0(VALU_DEP_2) | instskip(NEXT) | instid1(VALU_DEP_2)
	v_cvt_u32_f32_e32 v3, v5
	v_xor_b32_e32 v4, v4, v6
	s_delay_alu instid0(VALU_DEP_2) | instskip(NEXT) | instid1(VALU_DEP_1)
	v_xor_b32_e32 v3, v3, v6
	v_sub_co_u32 v3, vcc_lo, v3, v6
	s_delay_alu instid0(VALU_DEP_3)
	v_sub_co_ci_u32_e32 v4, vcc_lo, v4, v6, vcc_lo
	global_store_b64 v[0:1], v[3:4], off
.LBB118_651:
	s_and_not1_b32 vcc_lo, exec_lo, s0
	s_cbranch_vccnz .LBB118_653
; %bb.652:
	s_lshl_b32 s0, s7, 8
	s_lshl_b32 s8, s7, 25
	s_and_b32 s0, s0, 0x7f00
	s_lshr_b32 s9, s8, 4
	s_or_b32 s0, s0, 0.5
	s_or_b32 s9, s9, 0x70000000
	v_add_f32_e64 v3, s0, -0.5
	v_mul_f32_e64 v4, 0x7800000, s9
	s_cmp_lt_u32 s8, 0x8000000
	s_cselect_b32 vcc_lo, -1, 0
	s_lshl_b32 s0, s7, 24
	s_delay_alu instid0(VALU_DEP_1)
	v_cndmask_b32_e32 v3, v4, v3, vcc_lo
	s_and_b32 s0, s0, 0x80000000
	s_delay_alu instid0(VALU_DEP_1) | instid1(SALU_CYCLE_1)
	v_or_b32_e32 v3, s0, v3
	s_delay_alu instid0(VALU_DEP_1)
	v_cvt_i32_f32_e32 v3, v3
	global_store_b32 v[0:1], v3, off
.LBB118_653:
	s_mov_b32 s0, 0
.LBB118_654:
	s_delay_alu instid0(SALU_CYCLE_1)
	s_and_not1_b32 vcc_lo, exec_lo, s0
	s_cbranch_vccnz .LBB118_656
; %bb.655:
	s_lshl_b32 s0, s7, 8
	s_lshl_b32 s8, s7, 25
	s_and_b32 s0, s0, 0x7f00
	s_lshr_b32 s9, s8, 4
	s_or_b32 s0, s0, 0.5
	s_or_b32 s9, s9, 0x70000000
	v_add_f32_e64 v3, s0, -0.5
	v_mul_f32_e64 v4, 0x7800000, s9
	s_cmp_lt_u32 s8, 0x8000000
	s_cselect_b32 vcc_lo, -1, 0
	s_lshl_b32 s0, s7, 24
	s_delay_alu instid0(VALU_DEP_1)
	v_cndmask_b32_e32 v3, v4, v3, vcc_lo
	s_and_b32 s0, s0, 0x80000000
	s_delay_alu instid0(VALU_DEP_1) | instid1(SALU_CYCLE_1)
	v_or_b32_e32 v3, s0, v3
	s_delay_alu instid0(VALU_DEP_1)
	v_cvt_i32_f32_e32 v3, v3
	global_store_b16 v[0:1], v3, off
.LBB118_656:
	s_mov_b32 s0, 0
.LBB118_657:
	s_delay_alu instid0(SALU_CYCLE_1)
	s_and_not1_b32 vcc_lo, exec_lo, s0
	s_cbranch_vccnz .LBB118_662
; %bb.658:
	v_cmp_lt_i16_e32 vcc_lo, 0, v10
	s_mov_b32 s0, -1
	s_cbranch_vccz .LBB118_660
; %bb.659:
	s_lshl_b32 s0, s7, 8
	s_lshl_b32 s8, s7, 25
	s_and_b32 s0, s0, 0x7f00
	s_lshr_b32 s9, s8, 4
	s_or_b32 s0, s0, 0.5
	s_or_b32 s9, s9, 0x70000000
	v_add_f32_e64 v3, s0, -0.5
	v_mul_f32_e64 v4, 0x7800000, s9
	s_cmp_lt_u32 s8, 0x8000000
	s_cselect_b32 vcc_lo, -1, 0
	s_lshl_b32 s0, s7, 24
	s_delay_alu instid0(VALU_DEP_1)
	v_cndmask_b32_e32 v3, v4, v3, vcc_lo
	s_and_b32 s0, s0, 0x80000000
	s_delay_alu instid0(VALU_DEP_1) | instid1(SALU_CYCLE_1)
	v_or_b32_e32 v3, s0, v3
	s_mov_b32 s0, 0
	s_delay_alu instid0(VALU_DEP_1)
	v_cvt_i32_f32_e32 v3, v3
	global_store_b8 v[0:1], v3, off
.LBB118_660:
	s_and_not1_b32 vcc_lo, exec_lo, s0
	s_cbranch_vccnz .LBB118_662
; %bb.661:
	s_lshl_b32 s0, s7, 8
	s_lshl_b32 s8, s7, 25
	s_and_b32 s0, s0, 0x7f00
	s_lshr_b32 s9, s8, 4
	s_or_b32 s0, s0, 0.5
	s_or_b32 s9, s9, 0x70000000
	v_add_f32_e64 v3, s0, -0.5
	v_mul_f32_e64 v4, 0x7800000, s9
	s_cmp_lt_u32 s8, 0x8000000
	s_cselect_b32 vcc_lo, -1, 0
	s_lshl_b32 s0, s7, 24
	s_delay_alu instid0(VALU_DEP_1)
	v_cndmask_b32_e32 v3, v4, v3, vcc_lo
	s_and_b32 s0, s0, 0x80000000
	s_delay_alu instid0(VALU_DEP_1) | instid1(SALU_CYCLE_1)
	v_or_b32_e32 v3, s0, v3
	s_delay_alu instid0(VALU_DEP_1) | instskip(NEXT) | instid1(VALU_DEP_1)
	v_trunc_f32_e32 v3, v3
	v_mul_f32_e64 v4, 0x2f800000, |v3|
	s_delay_alu instid0(VALU_DEP_1) | instskip(NEXT) | instid1(VALU_DEP_1)
	v_floor_f32_e32 v4, v4
	v_fma_f32 v4, 0xcf800000, v4, |v3|
	v_ashrrev_i32_e32 v3, 31, v3
	s_delay_alu instid0(VALU_DEP_2) | instskip(NEXT) | instid1(VALU_DEP_1)
	v_cvt_u32_f32_e32 v4, v4
	v_xor_b32_e32 v4, v4, v3
	s_delay_alu instid0(VALU_DEP_1)
	v_sub_nc_u32_e32 v3, v4, v3
	global_store_b8 v[0:1], v3, off
.LBB118_662:
	s_branch .LBB118_809
.LBB118_663:
	s_mov_b32 s0, 0
	s_mov_b32 s4, 0
                                        ; implicit-def: $vgpr10
                                        ; implicit-def: $vgpr0_vgpr1
.LBB118_664:
	s_and_not1_b32 s1, s1, exec_lo
	s_and_b32 s5, s3, exec_lo
	s_and_b32 s0, s0, exec_lo
	;; [unrolled: 1-line block ×3, first 2 shown]
	s_or_b32 s1, s1, s5
.LBB118_665:
	s_or_b32 exec_lo, exec_lo, s2
	s_and_saveexec_b32 s2, s1
	s_cbranch_execz .LBB118_668
; %bb.666:
	; divergent unreachable
	s_or_b32 exec_lo, exec_lo, s2
	s_and_saveexec_b32 s1, s3
	s_delay_alu instid0(SALU_CYCLE_1)
	s_xor_b32 s1, exec_lo, s1
	s_cbranch_execnz .LBB118_669
.LBB118_667:
	s_or_b32 exec_lo, exec_lo, s1
	s_and_saveexec_b32 s1, s0
	s_cbranch_execnz .LBB118_670
	s_branch .LBB118_707
.LBB118_668:
	s_or_b32 exec_lo, exec_lo, s2
	s_and_saveexec_b32 s1, s3
	s_delay_alu instid0(SALU_CYCLE_1)
	s_xor_b32 s1, exec_lo, s1
	s_cbranch_execz .LBB118_667
.LBB118_669:
	s_lshl_b32 s2, s7, 8
	s_lshl_b32 s3, s7, 25
	s_and_b32 s2, s2, 0x7f00
	s_lshr_b32 s4, s3, 4
	s_or_b32 s2, s2, 0.5
	s_or_b32 s4, s4, 0x70000000
	v_add_f32_e64 v2, s2, -0.5
	v_mul_f32_e64 v3, 0x7800000, s4
	s_cmp_lt_u32 s3, 0x8000000
	s_cselect_b32 vcc_lo, -1, 0
	s_delay_alu instid0(VALU_DEP_1) | instskip(NEXT) | instid1(VALU_DEP_1)
	v_cndmask_b32_e32 v2, v3, v2, vcc_lo
	v_cmp_neq_f32_e32 vcc_lo, 0, v2
	v_cndmask_b32_e64 v2, 0, 1, vcc_lo
	global_store_b8 v[0:1], v2, off
	s_or_b32 exec_lo, exec_lo, s1
	s_and_saveexec_b32 s1, s0
	s_cbranch_execz .LBB118_707
.LBB118_670:
	v_cmp_gt_i16_e32 vcc_lo, 5, v10
	s_mov_b32 s0, -1
	s_cbranch_vccnz .LBB118_691
; %bb.671:
	v_cmp_gt_i16_e32 vcc_lo, 8, v10
	s_cbranch_vccnz .LBB118_681
; %bb.672:
	v_cmp_gt_i16_e32 vcc_lo, 9, v10
	s_cbranch_vccnz .LBB118_678
; %bb.673:
	v_cmp_lt_i16_e32 vcc_lo, 9, v10
	s_cbranch_vccz .LBB118_675
; %bb.674:
	s_lshl_b32 s0, s7, 8
	s_lshl_b32 s1, s7, 25
	s_and_b32 s0, s0, 0x7f00
	s_lshr_b32 s2, s1, 4
	s_or_b32 s0, s0, 0.5
	s_or_b32 s2, s2, 0x70000000
	v_add_f32_e64 v2, s0, -0.5
	v_mul_f32_e64 v3, 0x7800000, s2
	s_cmp_lt_u32 s1, 0x8000000
	v_mov_b32_e32 v4, 0
	s_cselect_b32 vcc_lo, -1, 0
	s_lshl_b32 s0, s7, 24
	v_cndmask_b32_e32 v2, v3, v2, vcc_lo
	s_and_b32 s0, s0, 0x80000000
	v_mov_b32_e32 v5, v4
	s_delay_alu instid0(VALU_DEP_2) | instskip(SKIP_1) | instid1(VALU_DEP_1)
	v_or_b32_e32 v2, s0, v2
	s_mov_b32 s0, 0
	v_cvt_f64_f32_e32 v[2:3], v2
	global_store_b128 v[0:1], v[2:5], off
.LBB118_675:
	s_and_not1_b32 vcc_lo, exec_lo, s0
	s_cbranch_vccnz .LBB118_677
; %bb.676:
	s_lshl_b32 s0, s7, 8
	s_lshl_b32 s1, s7, 25
	s_and_b32 s0, s0, 0x7f00
	s_lshr_b32 s2, s1, 4
	s_or_b32 s0, s0, 0.5
	s_or_b32 s2, s2, 0x70000000
	v_add_f32_e64 v2, s0, -0.5
	v_mul_f32_e64 v3, 0x7800000, s2
	s_cmp_lt_u32 s1, 0x8000000
	s_cselect_b32 vcc_lo, -1, 0
	s_lshl_b32 s0, s7, 24
	s_delay_alu instid0(VALU_DEP_1)
	v_dual_cndmask_b32 v2, v3, v2 :: v_dual_mov_b32 v3, 0
	s_and_b32 s0, s0, 0x80000000
	s_delay_alu instid0(VALU_DEP_1) | instid1(SALU_CYCLE_1)
	v_or_b32_e32 v2, s0, v2
	global_store_b64 v[0:1], v[2:3], off
.LBB118_677:
	s_mov_b32 s0, 0
.LBB118_678:
	s_delay_alu instid0(SALU_CYCLE_1)
	s_and_not1_b32 vcc_lo, exec_lo, s0
	s_cbranch_vccnz .LBB118_680
; %bb.679:
	s_lshl_b32 s0, s7, 8
	s_lshl_b32 s1, s7, 25
	s_and_b32 s0, s0, 0x7f00
	s_lshr_b32 s2, s1, 4
	s_or_b32 s0, s0, 0.5
	s_or_b32 s2, s2, 0x70000000
	v_add_f32_e64 v2, s0, -0.5
	v_mul_f32_e64 v3, 0x7800000, s2
	s_cmp_lt_u32 s1, 0x8000000
	s_cselect_b32 vcc_lo, -1, 0
	s_lshl_b32 s0, s7, 24
	s_delay_alu instid0(VALU_DEP_1)
	v_cndmask_b32_e32 v2, v3, v2, vcc_lo
	s_and_b32 s0, s0, 0x80000000
	s_delay_alu instid0(VALU_DEP_1) | instid1(SALU_CYCLE_1)
	v_or_b32_e32 v2, s0, v2
	s_delay_alu instid0(VALU_DEP_1) | instskip(NEXT) | instid1(VALU_DEP_1)
	v_cvt_f16_f32_e32 v2, v2
	v_and_b32_e32 v2, 0xffff, v2
	global_store_b32 v[0:1], v2, off
.LBB118_680:
	s_mov_b32 s0, 0
.LBB118_681:
	s_delay_alu instid0(SALU_CYCLE_1)
	s_and_not1_b32 vcc_lo, exec_lo, s0
	s_cbranch_vccnz .LBB118_690
; %bb.682:
	v_cmp_gt_i16_e32 vcc_lo, 6, v10
	s_mov_b32 s0, -1
	s_cbranch_vccnz .LBB118_688
; %bb.683:
	v_cmp_lt_i16_e32 vcc_lo, 6, v10
	s_cbranch_vccz .LBB118_685
; %bb.684:
	s_lshl_b32 s0, s7, 8
	s_lshl_b32 s1, s7, 25
	s_and_b32 s0, s0, 0x7f00
	s_lshr_b32 s2, s1, 4
	s_or_b32 s0, s0, 0.5
	s_or_b32 s2, s2, 0x70000000
	v_add_f32_e64 v2, s0, -0.5
	v_mul_f32_e64 v3, 0x7800000, s2
	s_cmp_lt_u32 s1, 0x8000000
	s_cselect_b32 vcc_lo, -1, 0
	s_lshl_b32 s0, s7, 24
	s_delay_alu instid0(VALU_DEP_1)
	v_cndmask_b32_e32 v2, v3, v2, vcc_lo
	s_and_b32 s0, s0, 0x80000000
	s_delay_alu instid0(VALU_DEP_1) | instid1(SALU_CYCLE_1)
	v_or_b32_e32 v2, s0, v2
	s_mov_b32 s0, 0
	s_delay_alu instid0(VALU_DEP_1)
	v_cvt_f64_f32_e32 v[2:3], v2
	global_store_b64 v[0:1], v[2:3], off
.LBB118_685:
	s_and_not1_b32 vcc_lo, exec_lo, s0
	s_cbranch_vccnz .LBB118_687
; %bb.686:
	s_lshl_b32 s0, s7, 8
	s_lshl_b32 s1, s7, 25
	s_and_b32 s0, s0, 0x7f00
	s_lshr_b32 s2, s1, 4
	s_or_b32 s0, s0, 0.5
	s_or_b32 s2, s2, 0x70000000
	v_add_f32_e64 v2, s0, -0.5
	v_mul_f32_e64 v3, 0x7800000, s2
	s_cmp_lt_u32 s1, 0x8000000
	s_cselect_b32 vcc_lo, -1, 0
	s_lshl_b32 s0, s7, 24
	s_delay_alu instid0(VALU_DEP_1)
	v_cndmask_b32_e32 v2, v3, v2, vcc_lo
	s_and_b32 s0, s0, 0x80000000
	s_delay_alu instid0(VALU_DEP_1) | instid1(SALU_CYCLE_1)
	v_or_b32_e32 v2, s0, v2
	global_store_b32 v[0:1], v2, off
.LBB118_687:
	s_mov_b32 s0, 0
.LBB118_688:
	s_delay_alu instid0(SALU_CYCLE_1)
	s_and_not1_b32 vcc_lo, exec_lo, s0
	s_cbranch_vccnz .LBB118_690
; %bb.689:
	s_lshl_b32 s0, s7, 8
	s_lshl_b32 s1, s7, 25
	s_and_b32 s0, s0, 0x7f00
	s_lshr_b32 s2, s1, 4
	s_or_b32 s0, s0, 0.5
	s_or_b32 s2, s2, 0x70000000
	v_add_f32_e64 v2, s0, -0.5
	v_mul_f32_e64 v3, 0x7800000, s2
	s_cmp_lt_u32 s1, 0x8000000
	s_cselect_b32 vcc_lo, -1, 0
	s_lshl_b32 s0, s7, 24
	s_delay_alu instid0(VALU_DEP_1)
	v_cndmask_b32_e32 v2, v3, v2, vcc_lo
	s_and_b32 s0, s0, 0x80000000
	s_delay_alu instid0(VALU_DEP_1) | instid1(SALU_CYCLE_1)
	v_or_b32_e32 v2, s0, v2
	s_delay_alu instid0(VALU_DEP_1)
	v_cvt_f16_f32_e32 v2, v2
	global_store_b16 v[0:1], v2, off
.LBB118_690:
	s_mov_b32 s0, 0
.LBB118_691:
	s_delay_alu instid0(SALU_CYCLE_1)
	s_and_not1_b32 vcc_lo, exec_lo, s0
	s_cbranch_vccnz .LBB118_707
; %bb.692:
	v_cmp_gt_i16_e32 vcc_lo, 2, v10
	s_mov_b32 s0, -1
	s_cbranch_vccnz .LBB118_702
; %bb.693:
	v_cmp_gt_i16_e32 vcc_lo, 3, v10
	s_cbranch_vccnz .LBB118_699
; %bb.694:
	v_cmp_lt_i16_e32 vcc_lo, 3, v10
	s_cbranch_vccz .LBB118_696
; %bb.695:
	s_lshl_b32 s0, s7, 8
	s_lshl_b32 s1, s7, 25
	s_and_b32 s0, s0, 0x7f00
	s_lshr_b32 s2, s1, 4
	s_or_b32 s0, s0, 0.5
	s_or_b32 s2, s2, 0x70000000
	v_add_f32_e64 v2, s0, -0.5
	v_mul_f32_e64 v3, 0x7800000, s2
	s_cmp_lt_u32 s1, 0x8000000
	s_cselect_b32 vcc_lo, -1, 0
	s_lshl_b32 s0, s7, 24
	s_delay_alu instid0(VALU_DEP_1)
	v_cndmask_b32_e32 v2, v3, v2, vcc_lo
	s_and_b32 s0, s0, 0x80000000
	s_delay_alu instid0(VALU_DEP_1) | instid1(SALU_CYCLE_1)
	v_or_b32_e32 v2, s0, v2
	s_mov_b32 s0, 0
	s_delay_alu instid0(VALU_DEP_1) | instskip(NEXT) | instid1(VALU_DEP_1)
	v_trunc_f32_e32 v2, v2
	v_mul_f32_e64 v3, 0x2f800000, |v2|
	v_ashrrev_i32_e32 v5, 31, v2
	s_delay_alu instid0(VALU_DEP_2) | instskip(NEXT) | instid1(VALU_DEP_1)
	v_floor_f32_e32 v3, v3
	v_fma_f32 v4, 0xcf800000, v3, |v2|
	v_cvt_u32_f32_e32 v3, v3
	s_delay_alu instid0(VALU_DEP_2) | instskip(NEXT) | instid1(VALU_DEP_2)
	v_cvt_u32_f32_e32 v2, v4
	v_xor_b32_e32 v3, v3, v5
	s_delay_alu instid0(VALU_DEP_2) | instskip(NEXT) | instid1(VALU_DEP_1)
	v_xor_b32_e32 v2, v2, v5
	v_sub_co_u32 v2, vcc_lo, v2, v5
	s_delay_alu instid0(VALU_DEP_3)
	v_sub_co_ci_u32_e32 v3, vcc_lo, v3, v5, vcc_lo
	global_store_b64 v[0:1], v[2:3], off
.LBB118_696:
	s_and_not1_b32 vcc_lo, exec_lo, s0
	s_cbranch_vccnz .LBB118_698
; %bb.697:
	s_lshl_b32 s0, s7, 8
	s_lshl_b32 s1, s7, 25
	s_and_b32 s0, s0, 0x7f00
	s_lshr_b32 s2, s1, 4
	s_or_b32 s0, s0, 0.5
	s_or_b32 s2, s2, 0x70000000
	v_add_f32_e64 v2, s0, -0.5
	v_mul_f32_e64 v3, 0x7800000, s2
	s_cmp_lt_u32 s1, 0x8000000
	s_cselect_b32 vcc_lo, -1, 0
	s_lshl_b32 s0, s7, 24
	s_delay_alu instid0(VALU_DEP_1)
	v_cndmask_b32_e32 v2, v3, v2, vcc_lo
	s_and_b32 s0, s0, 0x80000000
	s_delay_alu instid0(VALU_DEP_1) | instid1(SALU_CYCLE_1)
	v_or_b32_e32 v2, s0, v2
	s_delay_alu instid0(VALU_DEP_1)
	v_cvt_i32_f32_e32 v2, v2
	global_store_b32 v[0:1], v2, off
.LBB118_698:
	s_mov_b32 s0, 0
.LBB118_699:
	s_delay_alu instid0(SALU_CYCLE_1)
	s_and_not1_b32 vcc_lo, exec_lo, s0
	s_cbranch_vccnz .LBB118_701
; %bb.700:
	s_lshl_b32 s0, s7, 8
	s_lshl_b32 s1, s7, 25
	s_and_b32 s0, s0, 0x7f00
	s_lshr_b32 s2, s1, 4
	s_or_b32 s0, s0, 0.5
	s_or_b32 s2, s2, 0x70000000
	v_add_f32_e64 v2, s0, -0.5
	v_mul_f32_e64 v3, 0x7800000, s2
	s_cmp_lt_u32 s1, 0x8000000
	s_cselect_b32 vcc_lo, -1, 0
	s_lshl_b32 s0, s7, 24
	s_delay_alu instid0(VALU_DEP_1)
	v_cndmask_b32_e32 v2, v3, v2, vcc_lo
	s_and_b32 s0, s0, 0x80000000
	s_delay_alu instid0(VALU_DEP_1) | instid1(SALU_CYCLE_1)
	v_or_b32_e32 v2, s0, v2
	s_delay_alu instid0(VALU_DEP_1)
	v_cvt_i32_f32_e32 v2, v2
	global_store_b16 v[0:1], v2, off
.LBB118_701:
	s_mov_b32 s0, 0
.LBB118_702:
	s_delay_alu instid0(SALU_CYCLE_1)
	s_and_not1_b32 vcc_lo, exec_lo, s0
	s_cbranch_vccnz .LBB118_707
; %bb.703:
	v_cmp_lt_i16_e32 vcc_lo, 0, v10
	s_mov_b32 s0, -1
	s_cbranch_vccz .LBB118_705
; %bb.704:
	s_lshl_b32 s0, s7, 8
	s_lshl_b32 s1, s7, 25
	s_and_b32 s0, s0, 0x7f00
	s_lshr_b32 s2, s1, 4
	s_or_b32 s0, s0, 0.5
	s_or_b32 s2, s2, 0x70000000
	v_add_f32_e64 v2, s0, -0.5
	v_mul_f32_e64 v3, 0x7800000, s2
	s_cmp_lt_u32 s1, 0x8000000
	s_cselect_b32 vcc_lo, -1, 0
	s_lshl_b32 s0, s7, 24
	s_delay_alu instid0(VALU_DEP_1)
	v_cndmask_b32_e32 v2, v3, v2, vcc_lo
	s_and_b32 s0, s0, 0x80000000
	s_delay_alu instid0(VALU_DEP_1) | instid1(SALU_CYCLE_1)
	v_or_b32_e32 v2, s0, v2
	s_mov_b32 s0, 0
	s_delay_alu instid0(VALU_DEP_1)
	v_cvt_i32_f32_e32 v2, v2
	global_store_b8 v[0:1], v2, off
.LBB118_705:
	s_and_not1_b32 vcc_lo, exec_lo, s0
	s_cbranch_vccnz .LBB118_707
; %bb.706:
	s_lshl_b32 s0, s7, 8
	s_lshl_b32 s1, s7, 25
	s_and_b32 s0, s0, 0x7f00
	s_lshr_b32 s2, s1, 4
	s_or_b32 s0, s0, 0.5
	s_or_b32 s2, s2, 0x70000000
	v_add_f32_e64 v2, s0, -0.5
	v_mul_f32_e64 v3, 0x7800000, s2
	s_cmp_lt_u32 s1, 0x8000000
	s_cselect_b32 vcc_lo, -1, 0
	s_lshl_b32 s0, s7, 24
	s_delay_alu instid0(VALU_DEP_1)
	v_cndmask_b32_e32 v2, v3, v2, vcc_lo
	s_and_b32 s0, s0, 0x80000000
	s_delay_alu instid0(VALU_DEP_1) | instid1(SALU_CYCLE_1)
	v_or_b32_e32 v2, s0, v2
	s_delay_alu instid0(VALU_DEP_1) | instskip(NEXT) | instid1(VALU_DEP_1)
	v_trunc_f32_e32 v2, v2
	v_mul_f32_e64 v3, 0x2f800000, |v2|
	s_delay_alu instid0(VALU_DEP_1) | instskip(NEXT) | instid1(VALU_DEP_1)
	v_floor_f32_e32 v3, v3
	v_fma_f32 v3, 0xcf800000, v3, |v2|
	v_ashrrev_i32_e32 v2, 31, v2
	s_delay_alu instid0(VALU_DEP_2) | instskip(NEXT) | instid1(VALU_DEP_1)
	v_cvt_u32_f32_e32 v3, v3
	v_xor_b32_e32 v3, v3, v2
	s_delay_alu instid0(VALU_DEP_1)
	v_sub_nc_u32_e32 v2, v3, v2
	global_store_b8 v[0:1], v2, off
	s_nop 0
	s_sendmsg sendmsg(MSG_DEALLOC_VGPRS)
	s_endpgm
.LBB118_707:
	s_nop 0
	s_sendmsg sendmsg(MSG_DEALLOC_VGPRS)
	s_endpgm
.LBB118_708:
	s_cbranch_execnz .LBB118_710
; %bb.709:
	s_or_b32 s3, s3, exec_lo
	s_cbranch_execz .LBB118_593
	s_branch .LBB118_594
.LBB118_710:
	s_trap 2
	s_sendmsg_rtn_b32 s0, sendmsg(MSG_RTN_GET_DOORBELL)
	s_mov_b32 ttmp2, m0
	s_waitcnt lgkmcnt(0)
	s_and_b32 s0, s0, 0x3ff
	s_delay_alu instid0(SALU_CYCLE_1) | instskip(NEXT) | instid1(SALU_CYCLE_1)
	s_bitset1_b32 s0, 10
	s_mov_b32 m0, s0
	s_sendmsg sendmsg(MSG_INTERRUPT)
	s_mov_b32 m0, ttmp2
.LBB118_711:                            ; =>This Inner Loop Header: Depth=1
	s_sethalt 5
	s_branch .LBB118_711
.LBB118_712:
	s_mov_b32 s11, -1
	s_mov_b32 s10, 0
                                        ; implicit-def: $vgpr3
.LBB118_713:
	s_and_not1_b32 vcc_lo, exec_lo, s11
                                        ; implicit-def: $sgpr11
	s_cbranch_vccnz .LBB118_715
; %bb.714:
	v_add_f32_e64 v3, 0x46000000, |s9|
	s_mov_b32 s11, 0
	s_delay_alu instid0(VALU_DEP_1) | instskip(NEXT) | instid1(VALU_DEP_1)
	v_and_b32_e32 v3, 0xff, v3
	v_cmp_ne_u32_e64 s10, 0, v3
.LBB118_715:
	v_mov_b32_e32 v4, s11
	s_delay_alu instid0(VALU_DEP_2)
	s_and_not1_b32 vcc_lo, exec_lo, s10
	s_cbranch_vccnz .LBB118_717
; %bb.716:
	s_lshr_b32 s9, s9, 24
	s_delay_alu instid0(SALU_CYCLE_1) | instskip(NEXT) | instid1(SALU_CYCLE_1)
	s_and_b32 s9, s9, 0x80
	v_or_b32_e32 v4, s9, v3
.LBB118_717:
	global_store_b8 v[0:1], v4, off
.LBB118_718:
	s_mov_b32 s9, -1
.LBB118_719:
	s_mov_b32 s10, 0
.LBB118_720:
	s_delay_alu instid0(SALU_CYCLE_1)
	s_and_b32 vcc_lo, exec_lo, s10
	s_cbranch_vccz .LBB118_804
; %bb.721:
	v_cmp_lt_i16_e32 vcc_lo, 22, v10
	s_mov_b32 s8, -1
	s_cbranch_vccz .LBB118_797
; %bb.722:
	v_cmp_gt_i16_e32 vcc_lo, 24, v10
	s_cbranch_vccnz .LBB118_794
; %bb.723:
	v_cmp_lt_i16_e32 vcc_lo, 24, v10
	s_cbranch_vccz .LBB118_781
; %bb.724:
	s_lshl_b32 s8, s7, 8
	s_lshl_b32 s9, s7, 25
	s_and_b32 s8, s8, 0x7f00
	s_lshr_b32 s10, s9, 4
	s_or_b32 s8, s8, 0.5
	s_or_b32 s10, s10, 0x70000000
	v_add_f32_e64 v3, s8, -0.5
	v_mul_f32_e64 v4, 0x7800000, s10
	s_cmp_lt_u32 s9, 0x8000000
	s_cselect_b32 vcc_lo, -1, 0
	s_lshl_b32 s9, s7, 24
	s_delay_alu instid0(VALU_DEP_1) | instskip(SKIP_1) | instid1(VALU_DEP_1)
	v_dual_cndmask_b32 v3, v4, v3 :: v_dual_mov_b32 v4, 0x80
	s_and_b32 s9, s9, 0x80000000
	v_readfirstlane_b32 s8, v3
	s_delay_alu instid0(VALU_DEP_1) | instskip(NEXT) | instid1(SALU_CYCLE_1)
	s_or_b32 s8, s9, s8
	s_and_b32 s9, s8, 0x7fffffff
	s_delay_alu instid0(SALU_CYCLE_1)
	s_cmp_gt_u32 s9, 0x477fffff
	s_cbranch_scc1 .LBB118_780
; %bb.725:
	s_cmp_gt_u32 s9, 0x37ffffff
	s_cbranch_scc0 .LBB118_775
; %bb.726:
	v_bfe_u32 v3, v3, 21, 1
	s_mov_b32 s10, 0
	s_mov_b32 s9, -1
	s_delay_alu instid0(VALU_DEP_1) | instskip(NEXT) | instid1(VALU_DEP_1)
	v_add_nc_u32_e32 v3, s8, v3
	v_add_nc_u32_e32 v3, 0x88fffff, v3
	s_delay_alu instid0(VALU_DEP_1)
	v_lshrrev_b32_e32 v3, 21, v3
	s_branch .LBB118_776
.LBB118_727:
	s_mov_b32 s29, 0
.LBB118_728:
	s_delay_alu instid0(SALU_CYCLE_1)
	s_and_b32 vcc_lo, exec_lo, s29
	s_cbranch_vccz .LBB118_731
; %bb.729:
	v_cmp_eq_u16_e32 vcc_lo, 29, v10
	s_mov_b32 s2, -1
	s_cbranch_vccz .LBB118_731
; %bb.730:
	s_mov_b32 s2, 0
	global_store_b64 v[8:9], v[6:7], off
.LBB118_731:
	s_mov_b32 s29, 0
.LBB118_732:
	s_delay_alu instid0(SALU_CYCLE_1)
	s_and_b32 vcc_lo, exec_lo, s29
	s_cbranch_vccz .LBB118_744
; %bb.733:
	v_cmp_gt_i16_e32 vcc_lo, 27, v10
	s_mov_b32 s1, -1
	s_cbranch_vccnz .LBB118_739
; %bb.734:
	v_cmp_lt_i16_e32 vcc_lo, 27, v10
	s_cbranch_vccz .LBB118_736
; %bb.735:
	s_mov_b32 s1, 0
	global_store_b32 v[8:9], v19, off
.LBB118_736:
	s_and_not1_b32 vcc_lo, exec_lo, s1
	s_cbranch_vccnz .LBB118_738
; %bb.737:
	global_store_b16 v[8:9], v19, off
.LBB118_738:
	s_mov_b32 s1, 0
.LBB118_739:
	s_delay_alu instid0(SALU_CYCLE_1)
	s_and_not1_b32 vcc_lo, exec_lo, s1
	s_cbranch_vccnz .LBB118_744
; %bb.740:
	v_mov_b32_e32 v2, 0x80
	s_and_not1_b32 vcc_lo, exec_lo, s20
	s_cbranch_vccnz .LBB118_743
; %bb.741:
	v_mov_b32_e32 v2, 0
	s_or_b32 s1, s18, s21
	s_delay_alu instid0(SALU_CYCLE_1)
	s_and_not1_b32 vcc_lo, exec_lo, s1
	s_cbranch_vccnz .LBB118_743
; %bb.742:
	v_cndmask_b32_e64 v2, v17, s19, s18
	s_delay_alu instid0(VALU_DEP_1)
	v_or_b32_e32 v2, s10, v2
.LBB118_743:
	global_store_b8 v[8:9], v2, off
.LBB118_744:
	s_mov_b32 s29, 0
.LBB118_745:
	s_delay_alu instid0(SALU_CYCLE_1)
	s_and_b32 vcc_lo, exec_lo, s29
	s_mov_b32 s1, 0
	s_cbranch_vccz .LBB118_766
; %bb.746:
	v_cmp_lt_i16_e32 vcc_lo, 22, v10
	s_mov_b32 s18, -1
	s_cbranch_vccz .LBB118_759
; %bb.747:
	v_cmp_gt_i16_e32 vcc_lo, 24, v10
	s_cbranch_vccnz .LBB118_756
; %bb.748:
	v_cmp_lt_i16_e32 vcc_lo, 24, v10
	s_cbranch_vccz .LBB118_753
; %bb.749:
	v_mov_b32_e32 v2, 0x80
	s_and_not1_b32 vcc_lo, exec_lo, s13
	s_cbranch_vccnz .LBB118_752
; %bb.750:
	v_mov_b32_e32 v2, 0
	s_or_b32 s13, s0, s14
	s_delay_alu instid0(SALU_CYCLE_1)
	s_and_not1_b32 vcc_lo, exec_lo, s13
	s_cbranch_vccnz .LBB118_752
; %bb.751:
	v_cndmask_b32_e64 v2, v15, v18, s0
	s_delay_alu instid0(VALU_DEP_1)
	v_or_b32_e32 v2, s10, v2
.LBB118_752:
	s_mov_b32 s18, 0
	global_store_b8 v[8:9], v2, off
.LBB118_753:
	s_and_b32 vcc_lo, exec_lo, s18
	s_cbranch_vccz .LBB118_755
; %bb.754:
	s_and_b32 s0, s12, exec_lo
	s_cselect_b32 s0, s16, s15
	s_and_b32 s11, s11, exec_lo
	s_cselect_b32 s0, s17, s0
	s_delay_alu instid0(SALU_CYCLE_1) | instskip(NEXT) | instid1(SALU_CYCLE_1)
	s_or_b32 s0, s0, s10
	v_mov_b32_e32 v2, s0
	global_store_b8 v[8:9], v2, off
.LBB118_755:
	s_mov_b32 s18, 0
.LBB118_756:
	s_delay_alu instid0(SALU_CYCLE_1)
	s_and_not1_b32 vcc_lo, exec_lo, s18
	s_cbranch_vccnz .LBB118_758
; %bb.757:
	v_mov_b32_e32 v2, s7
	global_store_b8 v[8:9], v2, off
.LBB118_758:
	s_mov_b32 s18, 0
.LBB118_759:
	s_delay_alu instid0(SALU_CYCLE_1)
	s_and_not1_b32 vcc_lo, exec_lo, s18
	s_mov_b32 s0, 0
	s_cbranch_vccnz .LBB118_767
; %bb.760:
	v_cmp_lt_i16_e32 vcc_lo, 14, v10
	s_mov_b32 s0, -1
	s_cbranch_vccz .LBB118_764
; %bb.761:
	v_cmp_eq_u16_e32 vcc_lo, 15, v10
	s_mov_b32 s2, -1
	s_cbranch_vccz .LBB118_763
; %bb.762:
	s_mov_b32 s2, 0
	global_store_b16 v[8:9], v16, off
.LBB118_763:
	s_mov_b32 s0, 0
.LBB118_764:
	s_delay_alu instid0(SALU_CYCLE_1)
	s_and_b32 vcc_lo, exec_lo, s0
	s_mov_b32 s0, 0
	s_cbranch_vccz .LBB118_767
; %bb.765:
	v_cmp_ne_u16_e32 vcc_lo, 11, v10
	s_and_not1_b32 s2, s2, exec_lo
	s_mov_b32 s0, -1
	s_and_b32 s10, vcc_lo, exec_lo
	s_delay_alu instid0(SALU_CYCLE_1)
	s_or_b32 s2, s2, s10
	s_branch .LBB118_767
.LBB118_766:
	s_mov_b32 s0, 0
.LBB118_767:
	s_and_b32 s29, s1, exec_lo
	s_and_not1_b32 s1, s28, exec_lo
	s_and_b32 s10, s2, exec_lo
	s_and_b32 s2, s0, exec_lo
	s_or_b32 s30, s1, s10
.LBB118_768:
	s_or_b32 exec_lo, exec_lo, s22
	s_delay_alu instid0(SALU_CYCLE_1)
	s_and_not1_b32 s0, s28, exec_lo
	s_and_b32 s1, s30, exec_lo
	s_and_b32 s29, s29, exec_lo
	;; [unrolled: 1-line block ×3, first 2 shown]
	s_or_b32 s28, s0, s1
.LBB118_769:
	s_or_b32 exec_lo, exec_lo, s27
	s_delay_alu instid0(SALU_CYCLE_1)
	s_and_not1_b32 s0, s25, exec_lo
	s_and_b32 s1, s28, exec_lo
	s_and_b32 s29, s29, exec_lo
	;; [unrolled: 1-line block ×3, first 2 shown]
	s_or_b32 s25, s0, s1
.LBB118_770:
	s_or_b32 exec_lo, exec_lo, s26
	s_delay_alu instid0(SALU_CYCLE_1)
	s_and_not1_b32 s0, s23, exec_lo
	s_and_b32 s1, s25, exec_lo
	s_and_b32 s2, s29, exec_lo
	s_and_b32 s25, s27, exec_lo
	s_or_b32 s23, s0, s1
	s_or_b32 exec_lo, exec_lo, s24
	s_mov_b32 s0, 0
	s_and_saveexec_b32 s1, s23
	s_cbranch_execz .LBB118_110
.LBB118_771:
	s_cbranch_execnz .LBB118_773
; %bb.772:
	s_mov_b32 s0, exec_lo
	s_and_not1_b32 s25, s25, exec_lo
	s_or_b32 exec_lo, exec_lo, s1
	s_and_saveexec_b32 s1, s25
	s_delay_alu instid0(SALU_CYCLE_1)
	s_xor_b32 s1, exec_lo, s1
	s_cbranch_execnz .LBB118_111
	s_branch .LBB118_112
.LBB118_773:
	s_trap 2
	s_sendmsg_rtn_b32 s0, sendmsg(MSG_RTN_GET_DOORBELL)
	s_mov_b32 ttmp2, m0
	s_waitcnt lgkmcnt(0)
	s_and_b32 s0, s0, 0x3ff
	s_delay_alu instid0(SALU_CYCLE_1) | instskip(NEXT) | instid1(SALU_CYCLE_1)
	s_bitset1_b32 s0, 10
	s_mov_b32 m0, s0
	s_sendmsg sendmsg(MSG_INTERRUPT)
	s_mov_b32 m0, ttmp2
.LBB118_774:                            ; =>This Inner Loop Header: Depth=1
	s_sethalt 5
	s_branch .LBB118_774
.LBB118_775:
	s_mov_b32 s10, -1
	s_mov_b32 s9, 0
                                        ; implicit-def: $vgpr3
.LBB118_776:
	s_and_not1_b32 vcc_lo, exec_lo, s10
                                        ; implicit-def: $sgpr10
	s_cbranch_vccnz .LBB118_778
; %bb.777:
	v_add_f32_e64 v3, 0x42800000, |s8|
	s_mov_b32 s10, 0
	s_delay_alu instid0(VALU_DEP_1) | instskip(NEXT) | instid1(VALU_DEP_1)
	v_and_b32_e32 v3, 0xff, v3
	v_cmp_ne_u32_e64 s9, 0, v3
.LBB118_778:
	v_mov_b32_e32 v4, s10
	s_delay_alu instid0(VALU_DEP_2)
	s_and_not1_b32 vcc_lo, exec_lo, s9
	s_cbranch_vccnz .LBB118_780
; %bb.779:
	s_lshr_b32 s8, s8, 24
	s_delay_alu instid0(SALU_CYCLE_1) | instskip(NEXT) | instid1(SALU_CYCLE_1)
	s_and_b32 s8, s8, 0x80
	v_or_b32_e32 v4, s8, v3
.LBB118_780:
	s_mov_b32 s8, 0
	global_store_b8 v[0:1], v4, off
.LBB118_781:
	s_and_b32 vcc_lo, exec_lo, s8
	s_cbranch_vccz .LBB118_793
; %bb.782:
	s_lshl_b32 s8, s7, 8
	s_lshl_b32 s9, s7, 25
	s_and_b32 s8, s8, 0x7f00
	s_lshr_b32 s10, s9, 4
	s_or_b32 s8, s8, 0.5
	s_or_b32 s10, s10, 0x70000000
	v_add_f32_e64 v3, s8, -0.5
	v_mul_f32_e64 v4, 0x7800000, s10
	s_cmp_lt_u32 s9, 0x8000000
	s_cselect_b32 vcc_lo, -1, 0
	s_lshl_b32 s8, s7, 24
	s_delay_alu instid0(VALU_DEP_1) | instskip(SKIP_1) | instid1(VALU_DEP_1)
	v_cndmask_b32_e32 v3, v4, v3, vcc_lo
	s_and_b32 s8, s8, 0x80000000
	v_readfirstlane_b32 s10, v3
	s_delay_alu instid0(VALU_DEP_1) | instskip(NEXT) | instid1(SALU_CYCLE_1)
	s_or_b32 s8, s8, s10
	s_and_b32 s9, s8, 0x7fffffff
	s_delay_alu instid0(SALU_CYCLE_1)
	s_cmp_lt_u32 s9, 0x43f00000
	s_cbranch_scc0 .LBB118_785
; %bb.783:
	s_cmp_gt_u32 s9, 0x3c7fffff
	s_cbranch_scc0 .LBB118_786
; %bb.784:
	s_bfe_u32 s10, s10, 0x10014
	s_delay_alu instid0(SALU_CYCLE_1) | instskip(NEXT) | instid1(SALU_CYCLE_1)
	s_add_i32 s10, s8, s10
	s_add_i32 s10, s10, 0x407ffff
	s_delay_alu instid0(SALU_CYCLE_1)
	s_and_b32 s11, s10, 0xff00000
	s_lshr_b32 s10, s10, 20
	s_cmp_lg_u32 s11, 0x7f00000
	s_cselect_b32 s11, s10, 0x7e
	s_mov_b32 s10, 0
	s_branch .LBB118_787
.LBB118_785:
	s_mov_b32 s10, -1
                                        ; implicit-def: $vgpr3
	s_branch .LBB118_790
.LBB118_786:
	s_mov_b32 s10, -1
                                        ; implicit-def: $sgpr11
.LBB118_787:
	v_mov_b32_e32 v3, s11
	s_and_not1_b32 vcc_lo, exec_lo, s10
	s_cbranch_vccnz .LBB118_789
; %bb.788:
	v_add_f32_e64 v3, 0x46800000, |s8|
.LBB118_789:
	s_mov_b32 s10, 0
.LBB118_790:
	s_delay_alu instid0(SALU_CYCLE_1)
	s_and_not1_b32 vcc_lo, exec_lo, s10
	s_cbranch_vccnz .LBB118_792
; %bb.791:
	s_cmp_gt_u32 s9, 0x7f800000
	s_movk_i32 s9, 0x7f
	s_delay_alu instid0(SALU_CYCLE_1) | instskip(NEXT) | instid1(SALU_CYCLE_1)
	s_cselect_b32 s9, s9, 0x7e
	v_mov_b32_e32 v3, s9
.LBB118_792:
	s_lshr_b32 s8, s8, 24
	s_delay_alu instid0(SALU_CYCLE_1)
	s_and_b32 s8, s8, 0x80
	s_delay_alu instid0(VALU_DEP_1) | instid1(SALU_CYCLE_1)
	v_or_b32_e32 v3, s8, v3
	global_store_b8 v[0:1], v3, off
.LBB118_793:
	s_mov_b32 s8, 0
.LBB118_794:
	s_delay_alu instid0(SALU_CYCLE_1)
	s_and_not1_b32 vcc_lo, exec_lo, s8
	s_cbranch_vccnz .LBB118_796
; %bb.795:
	v_mov_b32_e32 v3, s7
	global_store_b8 v[0:1], v3, off
.LBB118_796:
	s_mov_b32 s8, 0
	s_mov_b32 s9, -1
.LBB118_797:
	s_and_not1_b32 vcc_lo, exec_lo, s8
	s_mov_b32 s8, 0
	s_cbranch_vccnz .LBB118_804
; %bb.798:
	v_cmp_lt_i16_e32 vcc_lo, 14, v10
	s_mov_b32 s8, -1
	s_cbranch_vccz .LBB118_802
; %bb.799:
	v_cmp_eq_u16_e32 vcc_lo, 15, v10
	s_mov_b32 s0, -1
	s_cbranch_vccz .LBB118_801
; %bb.800:
	s_lshl_b32 s0, s7, 8
	s_lshl_b32 s8, s7, 25
	s_and_b32 s0, s0, 0x7f00
	s_lshr_b32 s9, s8, 4
	s_or_b32 s0, s0, 0.5
	s_or_b32 s9, s9, 0x70000000
	v_add_f32_e64 v3, s0, -0.5
	v_mul_f32_e64 v4, 0x7800000, s9
	s_cmp_lt_u32 s8, 0x8000000
	s_mov_b32 s9, -1
	s_cselect_b32 vcc_lo, -1, 0
	s_lshl_b32 s0, s7, 24
	v_cndmask_b32_e32 v3, v4, v3, vcc_lo
	s_and_b32 s0, s0, 0x80000000
	s_delay_alu instid0(VALU_DEP_1) | instid1(SALU_CYCLE_1)
	v_or_b32_e32 v4, s0, v3
	v_bfe_u32 v3, v3, 16, 1
	s_mov_b32 s0, 0
	s_delay_alu instid0(VALU_DEP_2) | instskip(NEXT) | instid1(VALU_DEP_2)
	v_cmp_o_f32_e32 vcc_lo, v4, v4
	v_add_nc_u32_e32 v3, v4, v3
	s_delay_alu instid0(VALU_DEP_1) | instskip(NEXT) | instid1(VALU_DEP_1)
	v_add_nc_u32_e32 v3, 0x7fff, v3
	v_lshrrev_b32_e32 v3, 16, v3
	s_delay_alu instid0(VALU_DEP_1)
	v_cndmask_b32_e32 v3, 0x7fc0, v3, vcc_lo
	global_store_b16 v[0:1], v3, off
.LBB118_801:
	s_mov_b32 s8, 0
.LBB118_802:
	s_delay_alu instid0(SALU_CYCLE_1)
	s_and_b32 vcc_lo, exec_lo, s8
	s_mov_b32 s8, 0
	s_cbranch_vccz .LBB118_804
; %bb.803:
	v_cmp_ne_u16_e64 s0, 11, v10
	s_mov_b32 s8, -1
.LBB118_804:
	s_delay_alu instid0(VALU_DEP_1)
	s_and_b32 vcc_lo, exec_lo, s0
	s_cbranch_vccnz .LBB118_839
; %bb.805:
	s_and_not1_b32 vcc_lo, exec_lo, s8
	s_cbranch_vccnz .LBB118_807
.LBB118_806:
	s_lshl_b32 s0, s7, 8
	s_lshl_b32 s8, s7, 25
	s_and_b32 s0, s0, 0x7f00
	s_lshr_b32 s9, s8, 4
	s_or_b32 s0, s0, 0.5
	s_or_b32 s9, s9, 0x70000000
	v_add_f32_e64 v3, s0, -0.5
	v_mul_f32_e64 v4, 0x7800000, s9
	s_cmp_lt_u32 s8, 0x8000000
	s_mov_b32 s9, -1
	s_cselect_b32 vcc_lo, -1, 0
	s_delay_alu instid0(VALU_DEP_1) | instskip(NEXT) | instid1(VALU_DEP_1)
	v_cndmask_b32_e32 v3, v4, v3, vcc_lo
	v_cmp_neq_f32_e32 vcc_lo, 0, v3
	v_cndmask_b32_e64 v3, 0, 1, vcc_lo
	global_store_b8 v[0:1], v3, off
.LBB118_807:
.LBB118_808:
	s_and_not1_b32 vcc_lo, exec_lo, s9
	s_cbranch_vccnz .LBB118_663
.LBB118_809:
	v_add_nc_u32_e32 v0, s6, v2
	v_cmp_gt_i16_e32 vcc_lo, 11, v10
	s_delay_alu instid0(VALU_DEP_2) | instskip(SKIP_1) | instid1(VALU_DEP_1)
	v_ashrrev_i32_e32 v1, 31, v0
	v_add_co_u32 v0, s0, s4, v0
	v_add_co_ci_u32_e64 v1, s0, s5, v1, s0
	s_cbranch_vccnz .LBB118_838
; %bb.810:
	v_cmp_lt_i16_e32 vcc_lo, 25, v10
	s_mov_b32 s5, -1
	s_mov_b32 s4, 0
	s_mov_b32 s0, 0
	s_cbranch_vccz .LBB118_850
; %bb.811:
	v_cmp_lt_i16_e32 vcc_lo, 28, v10
	s_cbranch_vccz .LBB118_827
; %bb.812:
	v_cmp_lt_i16_e32 vcc_lo, 43, v10
	;; [unrolled: 3-line block ×3, first 2 shown]
	s_cbranch_vccz .LBB118_817
; %bb.814:
	v_cmp_eq_u16_e32 vcc_lo, 46, v10
	s_mov_b32 s0, -1
	s_cbranch_vccz .LBB118_816
; %bb.815:
	s_lshl_b32 s0, s7, 8
	s_lshl_b32 s5, s7, 25
	s_and_b32 s0, s0, 0x7f00
	s_lshr_b32 s6, s5, 4
	s_or_b32 s0, s0, 0.5
	s_or_b32 s6, s6, 0x70000000
	v_add_f32_e64 v2, s0, -0.5
	v_mul_f32_e64 v3, 0x7800000, s6
	s_cmp_lt_u32 s5, 0x8000000
	s_cselect_b32 vcc_lo, -1, 0
	s_lshl_b32 s0, s7, 24
	s_delay_alu instid0(VALU_DEP_1)
	v_cndmask_b32_e32 v2, v3, v2, vcc_lo
	s_and_b32 s0, s0, 0x80000000
	s_delay_alu instid0(VALU_DEP_1) | instid1(SALU_CYCLE_1)
	v_or_b32_e32 v3, s0, v2
	v_bfe_u32 v2, v2, 16, 1
	s_mov_b32 s0, 0
	s_delay_alu instid0(VALU_DEP_2) | instskip(NEXT) | instid1(VALU_DEP_2)
	v_cmp_o_f32_e32 vcc_lo, v3, v3
	v_add_nc_u32_e32 v2, v3, v2
	s_delay_alu instid0(VALU_DEP_1) | instskip(NEXT) | instid1(VALU_DEP_1)
	v_add_nc_u32_e32 v2, 0x7fff, v2
	v_lshrrev_b32_e32 v2, 16, v2
	s_delay_alu instid0(VALU_DEP_1)
	v_cndmask_b32_e32 v2, 0x7fc0, v2, vcc_lo
	global_store_b32 v[0:1], v2, off
.LBB118_816:
	s_mov_b32 s5, 0
.LBB118_817:
	s_delay_alu instid0(SALU_CYCLE_1)
	s_and_b32 vcc_lo, exec_lo, s5
	s_cbranch_vccz .LBB118_822
; %bb.818:
	v_cmp_eq_u16_e32 vcc_lo, 44, v10
	s_mov_b32 s0, -1
	s_cbranch_vccz .LBB118_822
; %bb.819:
	s_lshl_b32 s0, s7, 8
	s_lshl_b32 s5, s7, 25
	s_and_b32 s0, s0, 0x7f00
	s_lshr_b32 s6, s5, 4
	s_or_b32 s0, s0, 0.5
	s_or_b32 s6, s6, 0x70000000
	v_add_f32_e64 v2, s0, -0.5
	v_mul_f32_e64 v3, 0x7800000, s6
	s_cmp_lt_u32 s5, 0x8000000
	s_cselect_b32 vcc_lo, -1, 0
	s_delay_alu instid0(VALU_DEP_1) | instskip(NEXT) | instid1(VALU_DEP_1)
	v_dual_cndmask_b32 v2, v3, v2 :: v_dual_mov_b32 v3, 0xff
	v_readfirstlane_b32 s0, v2
	s_delay_alu instid0(VALU_DEP_1) | instskip(NEXT) | instid1(SALU_CYCLE_1)
	s_bfe_u32 s5, s0, 0x80017
	s_cmpk_eq_i32 s5, 0xff
	s_cbranch_scc1 .LBB118_821
; %bb.820:
	s_bitcmp1_b32 s0, 22
	v_lshrrev_b32_e32 v2, 23, v2
	s_cselect_b32 s6, -1, 0
	s_and_b32 s0, s0, 0x3fffff
	s_delay_alu instid0(SALU_CYCLE_1) | instskip(NEXT) | instid1(SALU_CYCLE_1)
	s_or_b32 s0, s5, s0
	s_cmp_lg_u32 s0, 0
	s_cselect_b32 s0, -1, 0
	s_delay_alu instid0(SALU_CYCLE_1) | instskip(NEXT) | instid1(SALU_CYCLE_1)
	s_and_b32 s0, s6, s0
	v_cndmask_b32_e64 v3, 0, 1, s0
	s_delay_alu instid0(VALU_DEP_1)
	v_add_nc_u32_e32 v3, v2, v3
.LBB118_821:
	s_mov_b32 s0, 0
	global_store_b8 v[0:1], v3, off
.LBB118_822:
	s_mov_b32 s5, 0
.LBB118_823:
	s_delay_alu instid0(SALU_CYCLE_1)
	s_and_b32 vcc_lo, exec_lo, s5
	s_cbranch_vccz .LBB118_826
; %bb.824:
	v_cmp_eq_u16_e32 vcc_lo, 29, v10
	s_mov_b32 s0, -1
	s_cbranch_vccz .LBB118_826
; %bb.825:
	s_lshl_b32 s0, s7, 8
	s_lshl_b32 s5, s7, 25
	s_and_b32 s0, s0, 0x7f00
	s_lshr_b32 s6, s5, 4
	s_or_b32 s0, s0, 0.5
	s_or_b32 s6, s6, 0x70000000
	v_add_f32_e64 v2, s0, -0.5
	v_mul_f32_e64 v3, 0x7800000, s6
	s_cmp_lt_u32 s5, 0x8000000
	s_cselect_b32 vcc_lo, -1, 0
	s_lshl_b32 s0, s7, 24
	s_delay_alu instid0(VALU_DEP_1)
	v_cndmask_b32_e32 v2, v3, v2, vcc_lo
	s_and_b32 s0, s0, 0x80000000
	s_delay_alu instid0(VALU_DEP_1) | instid1(SALU_CYCLE_1)
	v_or_b32_e32 v2, s0, v2
	s_mov_b32 s0, 0
	s_delay_alu instid0(VALU_DEP_1) | instskip(NEXT) | instid1(VALU_DEP_1)
	v_trunc_f32_e32 v2, v2
	v_mul_f32_e32 v3, 0x2f800000, v2
	s_delay_alu instid0(VALU_DEP_1) | instskip(NEXT) | instid1(VALU_DEP_1)
	v_floor_f32_e32 v3, v3
	v_fmamk_f32 v2, v3, 0xcf800000, v2
	v_cvt_u32_f32_e32 v3, v3
	s_delay_alu instid0(VALU_DEP_2)
	v_cvt_u32_f32_e32 v2, v2
	global_store_b64 v[0:1], v[2:3], off
.LBB118_826:
	s_mov_b32 s5, 0
.LBB118_827:
	s_delay_alu instid0(SALU_CYCLE_1)
	s_and_b32 vcc_lo, exec_lo, s5
	s_cbranch_vccz .LBB118_849
; %bb.828:
	v_cmp_gt_i16_e32 vcc_lo, 27, v10
	s_mov_b32 s5, -1
	s_cbranch_vccnz .LBB118_834
; %bb.829:
	v_cmp_lt_i16_e32 vcc_lo, 27, v10
	s_cbranch_vccz .LBB118_831
; %bb.830:
	s_lshl_b32 s5, s7, 8
	s_lshl_b32 s6, s7, 25
	s_and_b32 s5, s5, 0x7f00
	s_lshr_b32 s8, s6, 4
	s_or_b32 s5, s5, 0.5
	s_or_b32 s8, s8, 0x70000000
	v_add_f32_e64 v2, s5, -0.5
	v_mul_f32_e64 v3, 0x7800000, s8
	s_cmp_lt_u32 s6, 0x8000000
	s_cselect_b32 vcc_lo, -1, 0
	s_lshl_b32 s5, s7, 24
	s_delay_alu instid0(VALU_DEP_1)
	v_cndmask_b32_e32 v2, v3, v2, vcc_lo
	s_and_b32 s5, s5, 0x80000000
	s_delay_alu instid0(VALU_DEP_1) | instid1(SALU_CYCLE_1)
	v_or_b32_e32 v2, s5, v2
	s_mov_b32 s5, 0
	s_delay_alu instid0(VALU_DEP_1)
	v_cvt_u32_f32_e32 v2, v2
	global_store_b32 v[0:1], v2, off
.LBB118_831:
	s_and_not1_b32 vcc_lo, exec_lo, s5
	s_cbranch_vccnz .LBB118_833
; %bb.832:
	s_lshl_b32 s5, s7, 8
	s_lshl_b32 s6, s7, 25
	s_and_b32 s5, s5, 0x7f00
	s_lshr_b32 s8, s6, 4
	s_or_b32 s5, s5, 0.5
	s_or_b32 s8, s8, 0x70000000
	v_add_f32_e64 v2, s5, -0.5
	v_mul_f32_e64 v3, 0x7800000, s8
	s_cmp_lt_u32 s6, 0x8000000
	s_cselect_b32 vcc_lo, -1, 0
	s_lshl_b32 s5, s7, 24
	s_delay_alu instid0(VALU_DEP_1)
	v_cndmask_b32_e32 v2, v3, v2, vcc_lo
	s_and_b32 s5, s5, 0x80000000
	s_delay_alu instid0(VALU_DEP_1) | instid1(SALU_CYCLE_1)
	v_or_b32_e32 v2, s5, v2
	s_delay_alu instid0(VALU_DEP_1)
	v_cvt_u32_f32_e32 v2, v2
	global_store_b16 v[0:1], v2, off
.LBB118_833:
	s_mov_b32 s5, 0
.LBB118_834:
	s_delay_alu instid0(SALU_CYCLE_1)
	s_and_not1_b32 vcc_lo, exec_lo, s5
	s_cbranch_vccnz .LBB118_849
; %bb.835:
	s_lshl_b32 s5, s7, 8
	s_lshl_b32 s6, s7, 25
	s_and_b32 s5, s5, 0x7f00
	s_lshr_b32 s8, s6, 4
	s_or_b32 s5, s5, 0.5
	s_or_b32 s8, s8, 0x70000000
	v_add_f32_e64 v2, s5, -0.5
	v_mul_f32_e64 v3, 0x7800000, s8
	s_cmp_lt_u32 s6, 0x8000000
	s_cselect_b32 vcc_lo, -1, 0
	s_lshl_b32 s6, s7, 24
	s_delay_alu instid0(VALU_DEP_1) | instskip(SKIP_1) | instid1(VALU_DEP_1)
	v_dual_cndmask_b32 v2, v3, v2 :: v_dual_mov_b32 v3, 0x80
	s_and_b32 s6, s6, 0x80000000
	v_readfirstlane_b32 s5, v2
	s_delay_alu instid0(VALU_DEP_1) | instskip(NEXT) | instid1(SALU_CYCLE_1)
	s_or_b32 s5, s6, s5
	s_and_b32 s6, s5, 0x7fffffff
	s_delay_alu instid0(SALU_CYCLE_1)
	s_cmp_gt_u32 s6, 0x437fffff
	s_cbranch_scc1 .LBB118_848
; %bb.836:
	s_cmp_gt_u32 s6, 0x3bffffff
	s_cbranch_scc0 .LBB118_843
; %bb.837:
	v_bfe_u32 v2, v2, 20, 1
	s_mov_b32 s8, 0
	s_mov_b32 s6, -1
	s_delay_alu instid0(VALU_DEP_1) | instskip(NEXT) | instid1(VALU_DEP_1)
	v_add_nc_u32_e32 v2, s5, v2
	v_add_nc_u32_e32 v2, 0x487ffff, v2
	s_delay_alu instid0(VALU_DEP_1)
	v_lshrrev_b32_e32 v2, 20, v2
	s_branch .LBB118_844
.LBB118_838:
	s_mov_b32 s4, 0
	s_mov_b32 s0, -1
	s_branch .LBB118_664
.LBB118_839:
	s_cbranch_execnz .LBB118_841
; %bb.840:
	s_or_b32 s3, s3, exec_lo
	s_cbranch_execz .LBB118_806
	s_branch .LBB118_807
.LBB118_841:
	s_trap 2
	s_sendmsg_rtn_b32 s0, sendmsg(MSG_RTN_GET_DOORBELL)
	s_mov_b32 ttmp2, m0
	s_waitcnt lgkmcnt(0)
	s_and_b32 s0, s0, 0x3ff
	s_delay_alu instid0(SALU_CYCLE_1) | instskip(NEXT) | instid1(SALU_CYCLE_1)
	s_bitset1_b32 s0, 10
	s_mov_b32 m0, s0
	s_sendmsg sendmsg(MSG_INTERRUPT)
	s_mov_b32 m0, ttmp2
.LBB118_842:                            ; =>This Inner Loop Header: Depth=1
	s_sethalt 5
	s_branch .LBB118_842
.LBB118_843:
	s_mov_b32 s8, -1
	s_mov_b32 s6, 0
                                        ; implicit-def: $vgpr2
.LBB118_844:
	s_and_not1_b32 vcc_lo, exec_lo, s8
                                        ; implicit-def: $sgpr8
	s_cbranch_vccnz .LBB118_846
; %bb.845:
	v_add_f32_e64 v2, 0x46000000, |s5|
	s_mov_b32 s8, 0
	s_delay_alu instid0(VALU_DEP_1) | instskip(NEXT) | instid1(VALU_DEP_1)
	v_and_b32_e32 v2, 0xff, v2
	v_cmp_ne_u32_e64 s6, 0, v2
.LBB118_846:
	v_mov_b32_e32 v3, s8
	s_delay_alu instid0(VALU_DEP_2)
	s_and_not1_b32 vcc_lo, exec_lo, s6
	s_cbranch_vccnz .LBB118_848
; %bb.847:
	s_lshr_b32 s5, s5, 24
	s_delay_alu instid0(SALU_CYCLE_1) | instskip(NEXT) | instid1(SALU_CYCLE_1)
	s_and_b32 s5, s5, 0x80
	v_or_b32_e32 v3, s5, v2
.LBB118_848:
	global_store_b8 v[0:1], v3, off
.LBB118_849:
	s_mov_b32 s5, 0
.LBB118_850:
	s_delay_alu instid0(SALU_CYCLE_1)
	s_and_b32 vcc_lo, exec_lo, s5
	s_cbranch_vccz .LBB118_886
; %bb.851:
	v_cmp_lt_i16_e32 vcc_lo, 22, v10
	s_mov_b32 s4, -1
	s_cbranch_vccz .LBB118_879
; %bb.852:
	v_cmp_gt_i16_e32 vcc_lo, 24, v10
	s_cbranch_vccnz .LBB118_876
; %bb.853:
	v_cmp_lt_i16_e32 vcc_lo, 24, v10
	s_cbranch_vccz .LBB118_863
; %bb.854:
	s_lshl_b32 s4, s7, 8
	s_lshl_b32 s5, s7, 25
	s_and_b32 s4, s4, 0x7f00
	s_lshr_b32 s6, s5, 4
	s_or_b32 s4, s4, 0.5
	s_or_b32 s6, s6, 0x70000000
	v_add_f32_e64 v2, s4, -0.5
	v_mul_f32_e64 v3, 0x7800000, s6
	s_cmp_lt_u32 s5, 0x8000000
	s_cselect_b32 vcc_lo, -1, 0
	s_lshl_b32 s5, s7, 24
	s_delay_alu instid0(VALU_DEP_1) | instskip(SKIP_1) | instid1(VALU_DEP_1)
	v_dual_cndmask_b32 v2, v3, v2 :: v_dual_mov_b32 v3, 0x80
	s_and_b32 s5, s5, 0x80000000
	v_readfirstlane_b32 s4, v2
	s_delay_alu instid0(VALU_DEP_1) | instskip(NEXT) | instid1(SALU_CYCLE_1)
	s_or_b32 s4, s5, s4
	s_and_b32 s5, s4, 0x7fffffff
	s_delay_alu instid0(SALU_CYCLE_1)
	s_cmp_gt_u32 s5, 0x477fffff
	s_cbranch_scc1 .LBB118_862
; %bb.855:
	s_cmp_gt_u32 s5, 0x37ffffff
	s_cbranch_scc0 .LBB118_857
; %bb.856:
	v_bfe_u32 v2, v2, 21, 1
	s_mov_b32 s6, 0
	s_mov_b32 s5, -1
	s_delay_alu instid0(VALU_DEP_1) | instskip(NEXT) | instid1(VALU_DEP_1)
	v_add_nc_u32_e32 v2, s4, v2
	v_add_nc_u32_e32 v2, 0x88fffff, v2
	s_delay_alu instid0(VALU_DEP_1)
	v_lshrrev_b32_e32 v2, 21, v2
	s_branch .LBB118_858
.LBB118_857:
	s_mov_b32 s6, -1
	s_mov_b32 s5, 0
                                        ; implicit-def: $vgpr2
.LBB118_858:
	s_and_not1_b32 vcc_lo, exec_lo, s6
                                        ; implicit-def: $sgpr6
	s_cbranch_vccnz .LBB118_860
; %bb.859:
	v_add_f32_e64 v2, 0x42800000, |s4|
	s_mov_b32 s6, 0
	s_delay_alu instid0(VALU_DEP_1) | instskip(NEXT) | instid1(VALU_DEP_1)
	v_and_b32_e32 v2, 0xff, v2
	v_cmp_ne_u32_e64 s5, 0, v2
.LBB118_860:
	v_mov_b32_e32 v3, s6
	s_delay_alu instid0(VALU_DEP_2)
	s_and_not1_b32 vcc_lo, exec_lo, s5
	s_cbranch_vccnz .LBB118_862
; %bb.861:
	s_lshr_b32 s4, s4, 24
	s_delay_alu instid0(SALU_CYCLE_1) | instskip(NEXT) | instid1(SALU_CYCLE_1)
	s_and_b32 s4, s4, 0x80
	v_or_b32_e32 v3, s4, v2
.LBB118_862:
	s_mov_b32 s4, 0
	global_store_b8 v[0:1], v3, off
.LBB118_863:
	s_and_b32 vcc_lo, exec_lo, s4
	s_cbranch_vccz .LBB118_875
; %bb.864:
	s_lshl_b32 s4, s7, 8
	s_lshl_b32 s5, s7, 25
	s_and_b32 s4, s4, 0x7f00
	s_lshr_b32 s6, s5, 4
	s_or_b32 s4, s4, 0.5
	s_or_b32 s6, s6, 0x70000000
	v_add_f32_e64 v2, s4, -0.5
	v_mul_f32_e64 v3, 0x7800000, s6
	s_cmp_lt_u32 s5, 0x8000000
	s_cselect_b32 vcc_lo, -1, 0
	s_lshl_b32 s4, s7, 24
	s_delay_alu instid0(VALU_DEP_1) | instskip(SKIP_1) | instid1(VALU_DEP_1)
	v_cndmask_b32_e32 v2, v3, v2, vcc_lo
	s_and_b32 s4, s4, 0x80000000
	v_readfirstlane_b32 s6, v2
	s_delay_alu instid0(VALU_DEP_1) | instskip(NEXT) | instid1(SALU_CYCLE_1)
	s_or_b32 s4, s4, s6
	s_and_b32 s5, s4, 0x7fffffff
	s_delay_alu instid0(SALU_CYCLE_1)
	s_cmp_lt_u32 s5, 0x43f00000
	s_cbranch_scc0 .LBB118_867
; %bb.865:
	s_cmp_gt_u32 s5, 0x3c7fffff
	s_cbranch_scc0 .LBB118_868
; %bb.866:
	s_bfe_u32 s6, s6, 0x10014
	s_delay_alu instid0(SALU_CYCLE_1) | instskip(NEXT) | instid1(SALU_CYCLE_1)
	s_add_i32 s6, s4, s6
	s_add_i32 s6, s6, 0x407ffff
	s_delay_alu instid0(SALU_CYCLE_1)
	s_and_b32 s8, s6, 0xff00000
	s_lshr_b32 s6, s6, 20
	s_cmp_lg_u32 s8, 0x7f00000
	s_cselect_b32 s8, s6, 0x7e
	s_mov_b32 s6, 0
	s_branch .LBB118_869
.LBB118_867:
	s_mov_b32 s6, -1
                                        ; implicit-def: $vgpr2
	s_branch .LBB118_872
.LBB118_868:
	s_mov_b32 s6, -1
                                        ; implicit-def: $sgpr8
.LBB118_869:
	v_mov_b32_e32 v2, s8
	s_and_not1_b32 vcc_lo, exec_lo, s6
	s_cbranch_vccnz .LBB118_871
; %bb.870:
	v_add_f32_e64 v2, 0x46800000, |s4|
.LBB118_871:
	s_mov_b32 s6, 0
.LBB118_872:
	s_delay_alu instid0(SALU_CYCLE_1)
	s_and_not1_b32 vcc_lo, exec_lo, s6
	s_cbranch_vccnz .LBB118_874
; %bb.873:
	s_cmp_gt_u32 s5, 0x7f800000
	s_movk_i32 s5, 0x7f
	s_delay_alu instid0(SALU_CYCLE_1) | instskip(NEXT) | instid1(SALU_CYCLE_1)
	s_cselect_b32 s5, s5, 0x7e
	v_mov_b32_e32 v2, s5
.LBB118_874:
	s_lshr_b32 s4, s4, 24
	s_delay_alu instid0(SALU_CYCLE_1)
	s_and_b32 s4, s4, 0x80
	s_delay_alu instid0(VALU_DEP_1) | instid1(SALU_CYCLE_1)
	v_or_b32_e32 v2, s4, v2
	global_store_b8 v[0:1], v2, off
.LBB118_875:
	s_mov_b32 s4, 0
.LBB118_876:
	s_delay_alu instid0(SALU_CYCLE_1)
	s_and_not1_b32 vcc_lo, exec_lo, s4
	s_cbranch_vccnz .LBB118_878
; %bb.877:
	v_mov_b32_e32 v2, s7
	global_store_b8 v[0:1], v2, off
.LBB118_878:
	s_mov_b32 s4, 0
.LBB118_879:
	s_delay_alu instid0(SALU_CYCLE_1)
	s_and_not1_b32 vcc_lo, exec_lo, s4
	s_mov_b32 s4, 0
	s_cbranch_vccnz .LBB118_886
; %bb.880:
	v_cmp_lt_i16_e32 vcc_lo, 14, v10
	s_mov_b32 s4, -1
	s_cbranch_vccz .LBB118_884
; %bb.881:
	v_cmp_eq_u16_e32 vcc_lo, 15, v10
	s_mov_b32 s0, -1
	s_cbranch_vccz .LBB118_883
; %bb.882:
	s_lshl_b32 s0, s7, 8
	s_lshl_b32 s4, s7, 25
	s_and_b32 s0, s0, 0x7f00
	s_lshr_b32 s5, s4, 4
	s_or_b32 s0, s0, 0.5
	s_or_b32 s5, s5, 0x70000000
	v_add_f32_e64 v2, s0, -0.5
	v_mul_f32_e64 v3, 0x7800000, s5
	s_cmp_lt_u32 s4, 0x8000000
	s_cselect_b32 vcc_lo, -1, 0
	s_lshl_b32 s0, s7, 24
	s_delay_alu instid0(VALU_DEP_1)
	v_cndmask_b32_e32 v2, v3, v2, vcc_lo
	s_and_b32 s0, s0, 0x80000000
	s_delay_alu instid0(VALU_DEP_1) | instid1(SALU_CYCLE_1)
	v_or_b32_e32 v3, s0, v2
	v_bfe_u32 v2, v2, 16, 1
	s_mov_b32 s0, 0
	s_delay_alu instid0(VALU_DEP_2) | instskip(NEXT) | instid1(VALU_DEP_2)
	v_cmp_o_f32_e32 vcc_lo, v3, v3
	v_add_nc_u32_e32 v2, v3, v2
	s_delay_alu instid0(VALU_DEP_1) | instskip(NEXT) | instid1(VALU_DEP_1)
	v_add_nc_u32_e32 v2, 0x7fff, v2
	v_lshrrev_b32_e32 v2, 16, v2
	s_delay_alu instid0(VALU_DEP_1)
	v_cndmask_b32_e32 v2, 0x7fc0, v2, vcc_lo
	global_store_b16 v[0:1], v2, off
.LBB118_883:
	s_mov_b32 s4, 0
.LBB118_884:
	s_delay_alu instid0(SALU_CYCLE_1)
	s_and_b32 vcc_lo, exec_lo, s4
	s_mov_b32 s4, 0
	s_cbranch_vccz .LBB118_886
; %bb.885:
	v_cmp_ne_u16_e64 s0, 11, v10
	s_mov_b32 s4, -1
.LBB118_886:
	s_delay_alu instid0(VALU_DEP_1)
	s_and_b32 vcc_lo, exec_lo, s0
	s_cbranch_vccnz .LBB118_888
.LBB118_887:
	s_mov_b32 s0, 0
	s_branch .LBB118_664
.LBB118_888:
	s_cbranch_execnz .LBB118_890
; %bb.889:
	s_mov_b32 s4, 0
	s_or_b32 s3, s3, exec_lo
	s_branch .LBB118_887
.LBB118_890:
	s_trap 2
	s_sendmsg_rtn_b32 s0, sendmsg(MSG_RTN_GET_DOORBELL)
	s_mov_b32 ttmp2, m0
	s_waitcnt lgkmcnt(0)
	s_and_b32 s0, s0, 0x3ff
	s_delay_alu instid0(SALU_CYCLE_1) | instskip(NEXT) | instid1(SALU_CYCLE_1)
	s_bitset1_b32 s0, 10
	s_mov_b32 m0, s0
	s_sendmsg sendmsg(MSG_INTERRUPT)
	s_mov_b32 m0, ttmp2
.LBB118_891:                            ; =>This Inner Loop Header: Depth=1
	s_sethalt 5
	s_branch .LBB118_891
	.section	.rodata,"a",@progbits
	.p2align	6, 0x0
	.amdhsa_kernel _ZN2at6native32elementwise_kernel_manual_unrollILi128ELi4EZNS0_15gpu_kernel_implINS0_11FillFunctorIN3c1011Float8_e5m2EEEEEvRNS_18TensorIteratorBaseERKT_EUlibE_EEviT1_
		.amdhsa_group_segment_fixed_size 0
		.amdhsa_private_segment_fixed_size 0
		.amdhsa_kernarg_size 24
		.amdhsa_user_sgpr_count 15
		.amdhsa_user_sgpr_dispatch_ptr 0
		.amdhsa_user_sgpr_queue_ptr 0
		.amdhsa_user_sgpr_kernarg_segment_ptr 1
		.amdhsa_user_sgpr_dispatch_id 0
		.amdhsa_user_sgpr_private_segment_size 0
		.amdhsa_wavefront_size32 1
		.amdhsa_uses_dynamic_stack 0
		.amdhsa_enable_private_segment 0
		.amdhsa_system_sgpr_workgroup_id_x 1
		.amdhsa_system_sgpr_workgroup_id_y 0
		.amdhsa_system_sgpr_workgroup_id_z 0
		.amdhsa_system_sgpr_workgroup_info 0
		.amdhsa_system_vgpr_workitem_id 0
		.amdhsa_next_free_vgpr 22
		.amdhsa_next_free_sgpr 31
		.amdhsa_reserve_vcc 1
		.amdhsa_float_round_mode_32 0
		.amdhsa_float_round_mode_16_64 0
		.amdhsa_float_denorm_mode_32 3
		.amdhsa_float_denorm_mode_16_64 3
		.amdhsa_dx10_clamp 1
		.amdhsa_ieee_mode 1
		.amdhsa_fp16_overflow 0
		.amdhsa_workgroup_processor_mode 1
		.amdhsa_memory_ordered 1
		.amdhsa_forward_progress 0
		.amdhsa_shared_vgpr_count 0
		.amdhsa_exception_fp_ieee_invalid_op 0
		.amdhsa_exception_fp_denorm_src 0
		.amdhsa_exception_fp_ieee_div_zero 0
		.amdhsa_exception_fp_ieee_overflow 0
		.amdhsa_exception_fp_ieee_underflow 0
		.amdhsa_exception_fp_ieee_inexact 0
		.amdhsa_exception_int_div_zero 0
	.end_amdhsa_kernel
	.section	.text._ZN2at6native32elementwise_kernel_manual_unrollILi128ELi4EZNS0_15gpu_kernel_implINS0_11FillFunctorIN3c1011Float8_e5m2EEEEEvRNS_18TensorIteratorBaseERKT_EUlibE_EEviT1_,"axG",@progbits,_ZN2at6native32elementwise_kernel_manual_unrollILi128ELi4EZNS0_15gpu_kernel_implINS0_11FillFunctorIN3c1011Float8_e5m2EEEEEvRNS_18TensorIteratorBaseERKT_EUlibE_EEviT1_,comdat
.Lfunc_end118:
	.size	_ZN2at6native32elementwise_kernel_manual_unrollILi128ELi4EZNS0_15gpu_kernel_implINS0_11FillFunctorIN3c1011Float8_e5m2EEEEEvRNS_18TensorIteratorBaseERKT_EUlibE_EEviT1_, .Lfunc_end118-_ZN2at6native32elementwise_kernel_manual_unrollILi128ELi4EZNS0_15gpu_kernel_implINS0_11FillFunctorIN3c1011Float8_e5m2EEEEEvRNS_18TensorIteratorBaseERKT_EUlibE_EEviT1_
                                        ; -- End function
	.section	.AMDGPU.csdata,"",@progbits
; Kernel info:
; codeLenInByte = 21000
; NumSgprs: 33
; NumVgprs: 22
; ScratchSize: 0
; MemoryBound: 0
; FloatMode: 240
; IeeeMode: 1
; LDSByteSize: 0 bytes/workgroup (compile time only)
; SGPRBlocks: 4
; VGPRBlocks: 2
; NumSGPRsForWavesPerEU: 33
; NumVGPRsForWavesPerEU: 22
; Occupancy: 16
; WaveLimiterHint : 0
; COMPUTE_PGM_RSRC2:SCRATCH_EN: 0
; COMPUTE_PGM_RSRC2:USER_SGPR: 15
; COMPUTE_PGM_RSRC2:TRAP_HANDLER: 0
; COMPUTE_PGM_RSRC2:TGID_X_EN: 1
; COMPUTE_PGM_RSRC2:TGID_Y_EN: 0
; COMPUTE_PGM_RSRC2:TGID_Z_EN: 0
; COMPUTE_PGM_RSRC2:TIDIG_COMP_CNT: 0
	.section	.text._ZN2at6native32elementwise_kernel_manual_unrollILi128ELi4EZNS0_15gpu_kernel_implINS0_11FillFunctorIN3c1011Float8_e5m2EEEEEvRNS_18TensorIteratorBaseERKT_EUlibE0_EEviT1_,"axG",@progbits,_ZN2at6native32elementwise_kernel_manual_unrollILi128ELi4EZNS0_15gpu_kernel_implINS0_11FillFunctorIN3c1011Float8_e5m2EEEEEvRNS_18TensorIteratorBaseERKT_EUlibE0_EEviT1_,comdat
	.protected	_ZN2at6native32elementwise_kernel_manual_unrollILi128ELi4EZNS0_15gpu_kernel_implINS0_11FillFunctorIN3c1011Float8_e5m2EEEEEvRNS_18TensorIteratorBaseERKT_EUlibE0_EEviT1_ ; -- Begin function _ZN2at6native32elementwise_kernel_manual_unrollILi128ELi4EZNS0_15gpu_kernel_implINS0_11FillFunctorIN3c1011Float8_e5m2EEEEEvRNS_18TensorIteratorBaseERKT_EUlibE0_EEviT1_
	.globl	_ZN2at6native32elementwise_kernel_manual_unrollILi128ELi4EZNS0_15gpu_kernel_implINS0_11FillFunctorIN3c1011Float8_e5m2EEEEEvRNS_18TensorIteratorBaseERKT_EUlibE0_EEviT1_
	.p2align	8
	.type	_ZN2at6native32elementwise_kernel_manual_unrollILi128ELi4EZNS0_15gpu_kernel_implINS0_11FillFunctorIN3c1011Float8_e5m2EEEEEvRNS_18TensorIteratorBaseERKT_EUlibE0_EEviT1_,@function
_ZN2at6native32elementwise_kernel_manual_unrollILi128ELi4EZNS0_15gpu_kernel_implINS0_11FillFunctorIN3c1011Float8_e5m2EEEEEvRNS_18TensorIteratorBaseERKT_EUlibE0_EEviT1_: ; @_ZN2at6native32elementwise_kernel_manual_unrollILi128ELi4EZNS0_15gpu_kernel_implINS0_11FillFunctorIN3c1011Float8_e5m2EEEEEvRNS_18TensorIteratorBaseERKT_EUlibE0_EEviT1_
; %bb.0:
	s_clause 0x1
	s_load_b32 s20, s[0:1], 0x8
	s_load_b32 s41, s[0:1], 0x0
	v_lshl_or_b32 v12, s15, 9, v0
	s_or_b32 s0, s0, 8
	s_mov_b32 s16, -1
	s_mov_b32 s22, 0
	s_mov_b32 s6, 0
	v_or_b32_e32 v4, 0x180, v12
	s_mov_b32 s2, exec_lo
	s_waitcnt lgkmcnt(0)
	s_add_i32 s21, s20, -1
	s_delay_alu instid0(SALU_CYCLE_1)
	s_cmp_gt_u32 s21, 1
	s_cselect_b32 s23, -1, 0
	v_cmpx_le_i32_e64 s41, v4
	s_xor_b32 s24, exec_lo, s2
	s_cbranch_execz .LBB119_159
; %bb.1:
	s_load_b32 s26, s[0:1], 0x110
	s_cmp_lg_u32 s20, 0
	s_mov_b32 s46, 0
	s_cselect_b32 s43, -1, 0
	s_add_u32 s14, s0, 0xc4
	s_addc_u32 s15, s1, 0
	s_min_u32 s42, s21, 15
	s_cmp_gt_u32 s20, 1
	s_mov_b32 s44, 0
	s_cselect_b32 s40, -1, 0
	s_mov_b32 s45, exec_lo
	s_waitcnt lgkmcnt(0)
	s_and_b32 s2, s26, 0xffff
	s_lshl_b32 s4, s26, 25
	s_lshl_b32 s2, s2, 8
	s_lshr_b32 s5, s4, 4
	s_and_b32 s2, s2, 0x7f00
	s_lshl_b32 s3, s26, 24
	s_or_b32 s5, s5, 0x70000000
	s_or_b32 s2, s2, 0.5
	v_mul_f32_e64 v0, 0x7800000, s5
	v_add_f32_e64 v1, s2, -0.5
	s_and_b32 s2, s3, 0x80000000
	s_cmp_lt_u32 s4, 0x8000000
	s_clause 0x3
	s_load_b64 s[10:11], s[0:1], 0xc4
	s_load_b64 s[8:9], s[0:1], 0x108
	s_load_b128 s[4:7], s[0:1], 0x4
	s_load_b64 s[12:13], s[0:1], 0x14
	s_cselect_b32 vcc_lo, -1, 0
	v_lshrrev_b16 v10, 8, s26
	v_cndmask_b32_e32 v2, v0, v1, vcc_lo
	s_delay_alu instid0(VALU_DEP_1)
	v_bfe_u32 v0, v2, 23, 8
	v_and_b32_e32 v1, 0x3fffff, v2
	v_readfirstlane_b32 s17, v2
	v_and_b32_e32 v4, 0x400000, v2
	v_lshrrev_b32_e32 v3, 23, v2
	v_cmp_eq_u32_e64 s3, 0xff, v0
	v_or_b32_e32 v1, v0, v1
	s_or_b32 s25, s2, s17
	v_cmp_ne_u32_e32 vcc_lo, 0, v4
	v_trunc_f32_e32 v4, s25
	s_and_b32 s18, s25, 0x7fffffff
	v_cmp_ne_u32_e64 s2, 0, v1
	v_add_f32_e64 v19, 0x46000000, |s25|
	v_cvt_f64_f32_e32 v[0:1], s25
	v_mul_f32_e64 v9, 0x2f800000, |v4|
	v_add_f32_e64 v17, 0x42800000, |s25|
	s_and_b32 s2, vcc_lo, s2
	s_cmp_lt_u32 s18, 0x43800000
	v_cndmask_b32_e64 v7, 0, 1, s2
	s_cselect_b32 s38, -1, 0
	s_cmp_gt_u32 s18, 0x3bffffff
	v_readfirstlane_b32 s19, v19
	s_cselect_b32 s36, -1, 0
	v_add_nc_u32_e32 v21, v3, v7
	v_bfe_u32 v5, v2, 21, 1
	v_mul_f32_e32 v6, 0x2f800000, v4
	v_bfe_u32 v8, v2, 16, 1
	s_bfe_u32 s17, s17, 0x10014
	s_and_b32 s19, s19, 0xff
	v_add_nc_u32_e32 v5, s25, v5
	v_floor_f32_e32 v6, v6
	s_add_i32 s17, s25, s17
	v_cmp_o_f32_e64 vcc_lo, s25, s25
	s_add_i32 s27, s17, 0x487ffff
	v_add_nc_u32_e32 v5, 0x88fffff, v5
	v_fmamk_f32 v3, v6, 0xcf800000, v4
	v_cvt_u32_f32_e32 v7, v6
	s_lshr_b32 s37, s27, 20
	s_cmp_lg_u32 s19, 0
	v_lshrrev_b32_e32 v18, 21, v5
	v_cvt_u32_f32_e32 v6, v3
	v_add_nc_u32_e32 v3, s25, v8
	v_floor_f32_e32 v5, v9
	s_cselect_b32 s39, -1, 0
	s_lshr_b32 s27, s25, 24
	v_readfirstlane_b32 s19, v17
	v_add_nc_u32_e32 v3, 0x7fff, v3
	s_and_b32 s27, s27, 0x80
	s_cmp_lt_u32 s18, 0x47800000
	v_add_f32_e64 v8, 0x46800000, |s25|
	v_fma_f32 v9, 0xcf800000, v5, |v4|
	s_cselect_b32 s33, -1, 0
	s_cmp_gt_u32 s18, 0x37ffffff
	v_lshrrev_b32_e32 v3, 16, v3
	s_cselect_b32 s2, -1, 0
	s_and_b32 s19, s19, 0xff
	v_readfirstlane_b32 s31, v8
	v_cvt_u32_f32_e32 v8, v9
	v_ashrrev_i32_e32 v9, 31, v4
	s_cmp_lg_u32 s19, 0
	v_cndmask_b32_e32 v16, 0x7fc0, v3, vcc_lo
	v_cvt_u32_f32_e32 v3, v5
	s_cselect_b32 s34, -1, 0
	s_cmp_gt_u32 s18, 0x43efffff
	v_xor_b32_e32 v4, v8, v9
	s_cselect_b32 s28, -1, 0
	s_cmp_lt_u32 s18, 0x3c800000
	v_cmp_neq_f32_e32 vcc_lo, 0, v2
	s_cselect_b32 s29, -1, 0
	s_add_i32 s17, s17, 0x407ffff
	v_cvt_f16_f32_e32 v13, s25
	v_xor_b32_e32 v2, v3, v9
	s_lshr_b32 s19, s17, 20
	s_and_b32 s17, s17, 0xff00000
	v_cndmask_b32_e64 v15, 0, 1, vcc_lo
	v_sub_co_u32 v4, vcc_lo, v4, v9
	s_cmp_lg_u32 s17, 0x7f00000
	v_cvt_u32_f32_e32 v20, s25
	v_and_b32_e32 v14, 0xffff, v13
	v_sub_co_ci_u32_e32 v5, vcc_lo, v2, v9, vcc_lo
	v_cvt_i32_f32_e32 v11, s25
	s_cselect_b32 s30, s19, 0x7e
	s_cmp_gt_u32 s18, 0x7f800000
	s_movk_i32 s17, 0x7f
	s_delay_alu instid0(SALU_CYCLE_1)
	s_cselect_b32 s35, s17, 0x7e
	v_cmpx_gt_i32_e64 s41, v12
	s_cbranch_execz .LBB119_110
; %bb.2:
	s_and_not1_b32 vcc_lo, exec_lo, s23
	s_cbranch_vccnz .LBB119_7
; %bb.3:
	v_mov_b32_e32 v2, 0
	s_and_not1_b32 vcc_lo, exec_lo, s43
	s_cbranch_vccnz .LBB119_12
; %bb.4:
	s_add_i32 s47, s42, 1
	s_cmp_eq_u32 s21, 2
	s_cbranch_scc1 .LBB119_8
; %bb.5:
	v_dual_mov_b32 v2, 0 :: v_dual_mov_b32 v3, v12
	s_and_b32 s44, s47, 28
	s_mov_b32 s48, 0
	s_mov_b64 s[16:17], s[0:1]
	s_mov_b64 s[18:19], s[14:15]
.LBB119_6:                              ; =>This Inner Loop Header: Depth=1
	s_clause 0x1
	s_load_b256 s[52:59], s[16:17], 0x4
	s_load_b128 s[60:63], s[16:17], 0x24
	s_load_b128 s[64:67], s[18:19], 0x0
	s_add_u32 s16, s16, 48
	s_addc_u32 s17, s17, 0
	s_add_i32 s48, s48, 4
	s_add_u32 s18, s18, 16
	s_addc_u32 s19, s19, 0
	s_cmp_lg_u32 s44, s48
	s_waitcnt lgkmcnt(0)
	v_mul_hi_u32 v8, s53, v3
	s_delay_alu instid0(VALU_DEP_1) | instskip(NEXT) | instid1(VALU_DEP_1)
	v_add_nc_u32_e32 v8, v3, v8
	v_lshrrev_b32_e32 v8, s54, v8
	s_delay_alu instid0(VALU_DEP_1) | instskip(SKIP_1) | instid1(VALU_DEP_2)
	v_mul_hi_u32 v9, s56, v8
	v_mul_lo_u32 v24, v8, s52
	v_add_nc_u32_e32 v9, v8, v9
	s_delay_alu instid0(VALU_DEP_2) | instskip(NEXT) | instid1(VALU_DEP_2)
	v_sub_nc_u32_e32 v24, v3, v24
	v_lshrrev_b32_e32 v9, s57, v9
	s_delay_alu instid0(VALU_DEP_2) | instskip(NEXT) | instid1(VALU_DEP_2)
	v_mul_lo_u32 v24, v24, s64
	v_mul_hi_u32 v22, s59, v9
	v_mul_lo_u32 v25, v9, s55
	s_delay_alu instid0(VALU_DEP_2) | instskip(NEXT) | instid1(VALU_DEP_2)
	v_add_nc_u32_e32 v22, v9, v22
	v_sub_nc_u32_e32 v8, v8, v25
	s_delay_alu instid0(VALU_DEP_2) | instskip(NEXT) | instid1(VALU_DEP_2)
	v_lshrrev_b32_e32 v22, s60, v22
	v_mul_lo_u32 v8, v8, s65
	s_delay_alu instid0(VALU_DEP_2) | instskip(NEXT) | instid1(VALU_DEP_2)
	v_mul_hi_u32 v23, s62, v22
	v_add3_u32 v2, v24, v2, v8
	s_delay_alu instid0(VALU_DEP_2) | instskip(NEXT) | instid1(VALU_DEP_1)
	v_add_nc_u32_e32 v23, v22, v23
	v_lshrrev_b32_e32 v3, s63, v23
	v_mul_lo_u32 v23, v22, s58
	s_delay_alu instid0(VALU_DEP_2) | instskip(NEXT) | instid1(VALU_DEP_2)
	v_mul_lo_u32 v26, v3, s61
	v_sub_nc_u32_e32 v9, v9, v23
	s_delay_alu instid0(VALU_DEP_2) | instskip(NEXT) | instid1(VALU_DEP_2)
	v_sub_nc_u32_e32 v22, v22, v26
	v_mul_lo_u32 v9, v9, s66
	s_delay_alu instid0(VALU_DEP_2) | instskip(NEXT) | instid1(VALU_DEP_1)
	v_mul_lo_u32 v22, v22, s67
	v_add3_u32 v2, v9, v2, v22
	s_cbranch_scc1 .LBB119_6
	s_branch .LBB119_9
.LBB119_7:
                                        ; implicit-def: $vgpr2
	s_and_not1_b32 vcc_lo, exec_lo, s16
	s_cbranch_vccz .LBB119_13
	s_branch .LBB119_15
.LBB119_8:
	v_mov_b32_e32 v3, v12
.LBB119_9:
	s_and_b32 s47, s47, 3
	s_delay_alu instid0(SALU_CYCLE_1)
	s_cmp_eq_u32 s47, 0
	s_cbranch_scc1 .LBB119_12
; %bb.10:
	s_lshl_b32 s16, s44, 2
	s_mul_i32 s18, s44, 12
	s_add_u32 s16, s16, s0
	s_addc_u32 s17, s1, 0
	s_add_u32 s16, s16, 0xc4
	s_addc_u32 s17, s17, 0
	;; [unrolled: 2-line block ×3, first 2 shown]
	.p2align	6
.LBB119_11:                             ; =>This Inner Loop Header: Depth=1
	s_clause 0x1
	s_load_b64 s[48:49], s[18:19], 0x4
	s_load_b32 s44, s[18:19], 0xc
	s_add_u32 s18, s18, 12
	s_addc_u32 s19, s19, 0
	s_waitcnt lgkmcnt(0)
	v_mul_hi_u32 v8, s49, v3
	s_load_b32 s49, s[16:17], 0x0
	s_add_u32 s16, s16, 4
	s_addc_u32 s17, s17, 0
	s_add_i32 s47, s47, -1
	s_delay_alu instid0(SALU_CYCLE_1) | instskip(NEXT) | instid1(VALU_DEP_1)
	s_cmp_lg_u32 s47, 0
	v_add_nc_u32_e32 v8, v3, v8
	s_delay_alu instid0(VALU_DEP_1) | instskip(NEXT) | instid1(VALU_DEP_1)
	v_lshrrev_b32_e32 v22, s44, v8
	v_mul_lo_u32 v8, v22, s48
	s_delay_alu instid0(VALU_DEP_1) | instskip(SKIP_1) | instid1(VALU_DEP_1)
	v_sub_nc_u32_e32 v3, v3, v8
	s_waitcnt lgkmcnt(0)
	v_mad_u64_u32 v[8:9], null, v3, s49, v[2:3]
	s_delay_alu instid0(VALU_DEP_1)
	v_dual_mov_b32 v3, v22 :: v_dual_mov_b32 v2, v8
	s_cbranch_scc1 .LBB119_11
.LBB119_12:
	s_cbranch_execnz .LBB119_15
.LBB119_13:
	s_waitcnt lgkmcnt(0)
	v_mul_hi_u32 v2, s5, v12
	s_and_not1_b32 vcc_lo, exec_lo, s40
	s_delay_alu instid0(VALU_DEP_1) | instskip(NEXT) | instid1(VALU_DEP_1)
	v_add_nc_u32_e32 v2, v12, v2
	v_lshrrev_b32_e32 v3, s6, v2
	s_delay_alu instid0(VALU_DEP_1) | instskip(NEXT) | instid1(VALU_DEP_1)
	v_mul_lo_u32 v2, v3, s4
	v_sub_nc_u32_e32 v2, v12, v2
	s_delay_alu instid0(VALU_DEP_1)
	v_mul_lo_u32 v2, v2, s10
	s_cbranch_vccnz .LBB119_15
; %bb.14:
	v_mul_hi_u32 v8, s12, v3
	s_delay_alu instid0(VALU_DEP_1) | instskip(NEXT) | instid1(VALU_DEP_1)
	v_add_nc_u32_e32 v8, v3, v8
	v_lshrrev_b32_e32 v8, s13, v8
	s_delay_alu instid0(VALU_DEP_1) | instskip(NEXT) | instid1(VALU_DEP_1)
	v_mul_lo_u32 v8, v8, s7
	v_sub_nc_u32_e32 v3, v3, v8
	s_delay_alu instid0(VALU_DEP_1) | instskip(NEXT) | instid1(VALU_DEP_1)
	v_mad_u64_u32 v[8:9], null, v3, s11, v[2:3]
	v_mov_b32_e32 v2, v8
.LBB119_15:
	v_cmp_gt_i16_e32 vcc_lo, 11, v10
	s_waitcnt lgkmcnt(0)
	s_delay_alu instid0(VALU_DEP_2) | instskip(NEXT) | instid1(VALU_DEP_1)
	v_add_co_u32 v8, s17, s8, v2
	v_add_co_ci_u32_e64 v9, null, s9, 0, s17
	s_mov_b32 s16, 0
	s_mov_b32 s18, -1
	s_mov_b32 s17, 0
	s_cbranch_vccnz .LBB119_69
; %bb.16:
	v_cmp_lt_i16_e32 vcc_lo, 25, v10
	s_cbranch_vccz .LBB119_44
; %bb.17:
	v_cmp_lt_i16_e32 vcc_lo, 28, v10
	s_cbranch_vccz .LBB119_30
; %bb.18:
	v_cmp_lt_i16_e32 vcc_lo, 43, v10
	s_cbranch_vccz .LBB119_26
; %bb.19:
	v_cmp_lt_i16_e32 vcc_lo, 45, v10
	s_cbranch_vccz .LBB119_22
; %bb.20:
	v_cmp_eq_u16_e32 vcc_lo, 46, v10
	s_mov_b32 s18, 0
	s_mov_b32 s16, -1
	s_cbranch_vccz .LBB119_22
; %bb.21:
	s_mov_b32 s17, -1
	s_mov_b32 s16, 0
	global_store_b32 v[8:9], v16, off
.LBB119_22:
	s_and_b32 vcc_lo, exec_lo, s18
	s_cbranch_vccz .LBB119_25
; %bb.23:
	v_cmp_eq_u16_e32 vcc_lo, 44, v10
	s_mov_b32 s16, -1
	s_cbranch_vccz .LBB119_25
; %bb.24:
	v_cndmask_b32_e64 v2, v21, 0xff, s3
	s_mov_b32 s17, -1
	s_mov_b32 s16, 0
	global_store_b8 v[8:9], v2, off
.LBB119_25:
	s_mov_b32 s18, 0
.LBB119_26:
	s_delay_alu instid0(SALU_CYCLE_1)
	s_and_b32 vcc_lo, exec_lo, s18
	s_cbranch_vccz .LBB119_29
; %bb.27:
	v_cmp_eq_u16_e32 vcc_lo, 29, v10
	s_mov_b32 s16, -1
	s_cbranch_vccz .LBB119_29
; %bb.28:
	s_mov_b32 s17, -1
	s_mov_b32 s16, 0
	global_store_b64 v[8:9], v[6:7], off
.LBB119_29:
	s_mov_b32 s18, 0
.LBB119_30:
	s_delay_alu instid0(SALU_CYCLE_1)
	s_and_b32 vcc_lo, exec_lo, s18
	s_cbranch_vccz .LBB119_43
; %bb.31:
	v_cmp_gt_i16_e32 vcc_lo, 27, v10
	s_mov_b32 s17, -1
	s_cbranch_vccnz .LBB119_37
; %bb.32:
	v_cmp_lt_i16_e32 vcc_lo, 27, v10
	s_cbranch_vccz .LBB119_34
; %bb.33:
	s_mov_b32 s17, 0
	global_store_b32 v[8:9], v20, off
.LBB119_34:
	s_and_not1_b32 vcc_lo, exec_lo, s17
	s_cbranch_vccnz .LBB119_36
; %bb.35:
	global_store_b16 v[8:9], v20, off
.LBB119_36:
	s_mov_b32 s17, 0
.LBB119_37:
	s_delay_alu instid0(SALU_CYCLE_1)
	s_and_not1_b32 vcc_lo, exec_lo, s17
	s_cbranch_vccnz .LBB119_42
; %bb.38:
	v_mov_b32_e32 v2, 0x80
	s_and_not1_b32 vcc_lo, exec_lo, s38
	s_cbranch_vccnz .LBB119_41
; %bb.39:
	v_mov_b32_e32 v2, 0
	s_or_b32 s17, s36, s39
	s_delay_alu instid0(SALU_CYCLE_1)
	s_and_not1_b32 vcc_lo, exec_lo, s17
	s_cbranch_vccnz .LBB119_41
; %bb.40:
	v_cndmask_b32_e64 v2, v19, s37, s36
	s_delay_alu instid0(VALU_DEP_1)
	v_or_b32_e32 v2, s27, v2
.LBB119_41:
	global_store_b8 v[8:9], v2, off
.LBB119_42:
	s_mov_b32 s17, -1
.LBB119_43:
	s_mov_b32 s18, 0
.LBB119_44:
	s_delay_alu instid0(SALU_CYCLE_1)
	s_and_b32 vcc_lo, exec_lo, s18
	s_cbranch_vccz .LBB119_66
; %bb.45:
	v_cmp_lt_i16_e32 vcc_lo, 22, v10
	s_mov_b32 s18, -1
	s_cbranch_vccz .LBB119_58
; %bb.46:
	v_cmp_gt_i16_e32 vcc_lo, 24, v10
	s_mov_b32 s17, -1
	s_cbranch_vccnz .LBB119_55
; %bb.47:
	v_cmp_lt_i16_e32 vcc_lo, 24, v10
	s_cbranch_vccz .LBB119_52
; %bb.48:
	v_mov_b32_e32 v2, 0x80
	s_and_not1_b32 vcc_lo, exec_lo, s33
	s_cbranch_vccnz .LBB119_51
; %bb.49:
	v_mov_b32_e32 v2, 0
	s_or_b32 s17, s2, s34
	s_delay_alu instid0(SALU_CYCLE_1)
	s_and_not1_b32 vcc_lo, exec_lo, s17
	s_cbranch_vccnz .LBB119_51
; %bb.50:
	v_cndmask_b32_e64 v2, v17, v18, s2
	s_delay_alu instid0(VALU_DEP_1)
	v_or_b32_e32 v2, s27, v2
.LBB119_51:
	s_mov_b32 s17, 0
	global_store_b8 v[8:9], v2, off
.LBB119_52:
	s_and_b32 vcc_lo, exec_lo, s17
	s_cbranch_vccz .LBB119_54
; %bb.53:
	s_and_b32 s17, s29, exec_lo
	s_cselect_b32 s17, s31, s30
	s_and_b32 s18, s28, exec_lo
	s_cselect_b32 s17, s35, s17
	s_delay_alu instid0(SALU_CYCLE_1) | instskip(NEXT) | instid1(SALU_CYCLE_1)
	s_or_b32 s17, s17, s27
	v_mov_b32_e32 v2, s17
	global_store_b8 v[8:9], v2, off
.LBB119_54:
	s_mov_b32 s17, 0
.LBB119_55:
	s_delay_alu instid0(SALU_CYCLE_1)
	s_and_not1_b32 vcc_lo, exec_lo, s17
	s_cbranch_vccnz .LBB119_57
; %bb.56:
	v_mov_b32_e32 v2, s26
	global_store_b8 v[8:9], v2, off
.LBB119_57:
	s_mov_b32 s18, 0
	s_mov_b32 s17, -1
.LBB119_58:
	s_and_not1_b32 vcc_lo, exec_lo, s18
	s_cbranch_vccnz .LBB119_66
; %bb.59:
	v_cmp_lt_i16_e32 vcc_lo, 14, v10
	s_mov_b32 s18, -1
	s_cbranch_vccz .LBB119_63
; %bb.60:
	v_cmp_eq_u16_e32 vcc_lo, 15, v10
	s_mov_b32 s16, -1
	s_cbranch_vccz .LBB119_62
; %bb.61:
	s_mov_b32 s17, -1
	s_mov_b32 s16, 0
	global_store_b16 v[8:9], v16, off
.LBB119_62:
	s_mov_b32 s18, 0
.LBB119_63:
	s_delay_alu instid0(SALU_CYCLE_1)
	s_and_b32 vcc_lo, exec_lo, s18
	s_cbranch_vccz .LBB119_66
; %bb.64:
	v_cmp_eq_u16_e32 vcc_lo, 11, v10
	s_mov_b32 s16, -1
	s_cbranch_vccz .LBB119_66
; %bb.65:
	s_mov_b32 s17, -1
	s_mov_b32 s16, 0
	global_store_b8 v[8:9], v15, off
.LBB119_66:
.LBB119_67:
	s_and_not1_b32 vcc_lo, exec_lo, s17
	s_cbranch_vccnz .LBB119_108
.LBB119_68:
	v_add_nc_u32_e32 v12, 0x80, v12
	s_mov_b32 s17, -1
	s_branch .LBB119_109
.LBB119_69:
	s_and_b32 vcc_lo, exec_lo, s18
	s_cbranch_vccz .LBB119_67
; %bb.70:
	v_cmp_gt_i16_e32 vcc_lo, 5, v10
	s_mov_b32 s17, -1
	s_cbranch_vccnz .LBB119_91
; %bb.71:
	v_cmp_gt_i16_e32 vcc_lo, 8, v10
	s_cbranch_vccnz .LBB119_81
; %bb.72:
	v_cmp_gt_i16_e32 vcc_lo, 9, v10
	s_cbranch_vccnz .LBB119_78
; %bb.73:
	v_cmp_lt_i16_e32 vcc_lo, 9, v10
	s_cbranch_vccz .LBB119_75
; %bb.74:
	v_mov_b32_e32 v2, 0
	s_mov_b32 s17, 0
	s_delay_alu instid0(VALU_DEP_1)
	v_mov_b32_e32 v3, v2
	global_store_b128 v[8:9], v[0:3], off
.LBB119_75:
	s_and_not1_b32 vcc_lo, exec_lo, s17
	s_cbranch_vccnz .LBB119_77
; %bb.76:
	v_dual_mov_b32 v2, s25 :: v_dual_mov_b32 v3, 0
	global_store_b64 v[8:9], v[2:3], off
.LBB119_77:
	s_mov_b32 s17, 0
.LBB119_78:
	s_delay_alu instid0(SALU_CYCLE_1)
	s_and_not1_b32 vcc_lo, exec_lo, s17
	s_cbranch_vccnz .LBB119_80
; %bb.79:
	global_store_b32 v[8:9], v14, off
.LBB119_80:
	s_mov_b32 s17, 0
.LBB119_81:
	s_delay_alu instid0(SALU_CYCLE_1)
	s_and_not1_b32 vcc_lo, exec_lo, s17
	s_cbranch_vccnz .LBB119_90
; %bb.82:
	v_cmp_gt_i16_e32 vcc_lo, 6, v10
	s_mov_b32 s17, -1
	s_cbranch_vccnz .LBB119_88
; %bb.83:
	v_cmp_lt_i16_e32 vcc_lo, 6, v10
	s_cbranch_vccz .LBB119_85
; %bb.84:
	s_mov_b32 s17, 0
	global_store_b64 v[8:9], v[0:1], off
.LBB119_85:
	s_and_not1_b32 vcc_lo, exec_lo, s17
	s_cbranch_vccnz .LBB119_87
; %bb.86:
	v_mov_b32_e32 v2, s25
	global_store_b32 v[8:9], v2, off
.LBB119_87:
	s_mov_b32 s17, 0
.LBB119_88:
	s_delay_alu instid0(SALU_CYCLE_1)
	s_and_not1_b32 vcc_lo, exec_lo, s17
	s_cbranch_vccnz .LBB119_90
; %bb.89:
	global_store_b16 v[8:9], v13, off
.LBB119_90:
	s_mov_b32 s17, 0
.LBB119_91:
	s_delay_alu instid0(SALU_CYCLE_1)
	s_and_not1_b32 vcc_lo, exec_lo, s17
	s_cbranch_vccnz .LBB119_107
; %bb.92:
	v_cmp_gt_i16_e32 vcc_lo, 2, v10
	s_mov_b32 s17, -1
	s_cbranch_vccnz .LBB119_102
; %bb.93:
	v_cmp_gt_i16_e32 vcc_lo, 3, v10
	s_cbranch_vccnz .LBB119_99
; %bb.94:
	v_cmp_lt_i16_e32 vcc_lo, 3, v10
	s_cbranch_vccz .LBB119_96
; %bb.95:
	s_mov_b32 s17, 0
	global_store_b64 v[8:9], v[4:5], off
.LBB119_96:
	s_and_not1_b32 vcc_lo, exec_lo, s17
	s_cbranch_vccnz .LBB119_98
; %bb.97:
	global_store_b32 v[8:9], v11, off
.LBB119_98:
	s_mov_b32 s17, 0
.LBB119_99:
	s_delay_alu instid0(SALU_CYCLE_1)
	s_and_not1_b32 vcc_lo, exec_lo, s17
	s_cbranch_vccnz .LBB119_101
; %bb.100:
	global_store_b16 v[8:9], v11, off
.LBB119_101:
	s_mov_b32 s17, 0
.LBB119_102:
	s_delay_alu instid0(SALU_CYCLE_1)
	s_and_not1_b32 vcc_lo, exec_lo, s17
	s_cbranch_vccnz .LBB119_107
; %bb.103:
	v_cmp_lt_i16_e32 vcc_lo, 0, v10
	s_mov_b32 s17, -1
	s_cbranch_vccz .LBB119_105
; %bb.104:
	s_mov_b32 s17, 0
	global_store_b8 v[8:9], v11, off
.LBB119_105:
	s_and_not1_b32 vcc_lo, exec_lo, s17
	s_cbranch_vccnz .LBB119_107
; %bb.106:
	global_store_b8 v[8:9], v4, off
.LBB119_107:
	s_branch .LBB119_68
.LBB119_108:
	s_mov_b32 s17, 0
                                        ; implicit-def: $vgpr12
.LBB119_109:
	s_and_b32 s44, s16, exec_lo
	s_or_not1_b32 s16, s17, exec_lo
.LBB119_110:
	s_or_b32 exec_lo, exec_lo, s45
	s_mov_b32 s17, 0
                                        ; implicit-def: $vgpr8_vgpr9
	s_and_saveexec_b32 s45, s16
	s_cbranch_execz .LBB119_117
; %bb.111:
	s_mov_b32 s18, -1
	s_mov_b32 s46, s44
	s_mov_b32 s47, exec_lo
	v_cmpx_gt_i32_e64 s41, v12
	s_cbranch_execz .LBB119_362
; %bb.112:
	s_and_not1_b32 vcc_lo, exec_lo, s23
	s_cbranch_vccnz .LBB119_240
; %bb.113:
	v_mov_b32_e32 v2, 0
	s_and_not1_b32 vcc_lo, exec_lo, s43
	s_cbranch_vccnz .LBB119_245
; %bb.114:
	s_add_i32 s48, s42, 1
	s_cmp_eq_u32 s21, 2
	s_mov_b32 s46, 0
	s_cbranch_scc1 .LBB119_241
; %bb.115:
	v_dual_mov_b32 v2, 0 :: v_dual_mov_b32 v3, v12
	s_and_b32 s46, s48, 28
	s_mov_b32 s49, 0
	s_mov_b64 s[16:17], s[0:1]
	s_mov_b64 s[18:19], s[14:15]
.LBB119_116:                            ; =>This Inner Loop Header: Depth=1
	s_clause 0x1
	s_load_b256 s[52:59], s[16:17], 0x4
	s_load_b128 s[60:63], s[16:17], 0x24
	s_load_b128 s[64:67], s[18:19], 0x0
	s_add_u32 s16, s16, 48
	s_addc_u32 s17, s17, 0
	s_add_i32 s49, s49, 4
	s_add_u32 s18, s18, 16
	s_addc_u32 s19, s19, 0
	s_cmp_eq_u32 s46, s49
	s_waitcnt lgkmcnt(0)
	v_mul_hi_u32 v8, s53, v3
	s_delay_alu instid0(VALU_DEP_1) | instskip(NEXT) | instid1(VALU_DEP_1)
	v_add_nc_u32_e32 v8, v3, v8
	v_lshrrev_b32_e32 v8, s54, v8
	s_delay_alu instid0(VALU_DEP_1) | instskip(SKIP_1) | instid1(VALU_DEP_2)
	v_mul_hi_u32 v9, s56, v8
	v_mul_lo_u32 v24, v8, s52
	v_add_nc_u32_e32 v9, v8, v9
	s_delay_alu instid0(VALU_DEP_2) | instskip(NEXT) | instid1(VALU_DEP_2)
	v_sub_nc_u32_e32 v24, v3, v24
	v_lshrrev_b32_e32 v9, s57, v9
	s_delay_alu instid0(VALU_DEP_2) | instskip(NEXT) | instid1(VALU_DEP_2)
	v_mul_lo_u32 v24, v24, s64
	v_mul_hi_u32 v22, s59, v9
	v_mul_lo_u32 v25, v9, s55
	s_delay_alu instid0(VALU_DEP_2) | instskip(NEXT) | instid1(VALU_DEP_2)
	v_add_nc_u32_e32 v22, v9, v22
	v_sub_nc_u32_e32 v8, v8, v25
	s_delay_alu instid0(VALU_DEP_2) | instskip(NEXT) | instid1(VALU_DEP_2)
	v_lshrrev_b32_e32 v22, s60, v22
	v_mul_lo_u32 v8, v8, s65
	s_delay_alu instid0(VALU_DEP_2) | instskip(NEXT) | instid1(VALU_DEP_2)
	v_mul_hi_u32 v23, s62, v22
	v_add3_u32 v2, v24, v2, v8
	s_delay_alu instid0(VALU_DEP_2) | instskip(NEXT) | instid1(VALU_DEP_1)
	v_add_nc_u32_e32 v23, v22, v23
	v_lshrrev_b32_e32 v3, s63, v23
	v_mul_lo_u32 v23, v22, s58
	s_delay_alu instid0(VALU_DEP_2) | instskip(NEXT) | instid1(VALU_DEP_2)
	v_mul_lo_u32 v26, v3, s61
	v_sub_nc_u32_e32 v9, v9, v23
	s_delay_alu instid0(VALU_DEP_2) | instskip(NEXT) | instid1(VALU_DEP_2)
	v_sub_nc_u32_e32 v22, v22, v26
	v_mul_lo_u32 v9, v9, s66
	s_delay_alu instid0(VALU_DEP_2) | instskip(NEXT) | instid1(VALU_DEP_1)
	v_mul_lo_u32 v22, v22, s67
	v_add3_u32 v2, v9, v2, v22
	s_cbranch_scc0 .LBB119_116
	s_branch .LBB119_242
.LBB119_117:
	s_or_b32 exec_lo, exec_lo, s45
	s_mov_b32 s2, 0
	s_and_saveexec_b32 s3, s44
	s_cbranch_execnz .LBB119_667
.LBB119_118:
	s_or_b32 exec_lo, exec_lo, s3
	s_and_saveexec_b32 s3, s46
	s_delay_alu instid0(SALU_CYCLE_1)
	s_xor_b32 s3, exec_lo, s3
	s_cbranch_execz .LBB119_120
.LBB119_119:
	global_store_b8 v[8:9], v15, off
.LBB119_120:
	s_or_b32 exec_lo, exec_lo, s3
	s_and_saveexec_b32 s3, s17
	s_delay_alu instid0(SALU_CYCLE_1)
	s_xor_b32 s3, exec_lo, s3
	s_cbranch_execz .LBB119_158
; %bb.121:
	v_cmp_gt_i16_e32 vcc_lo, 5, v10
	s_waitcnt lgkmcnt(0)
	s_mov_b32 s4, -1
	s_cbranch_vccnz .LBB119_142
; %bb.122:
	v_cmp_gt_i16_e32 vcc_lo, 8, v10
	s_cbranch_vccnz .LBB119_132
; %bb.123:
	v_cmp_gt_i16_e32 vcc_lo, 9, v10
	s_cbranch_vccnz .LBB119_129
; %bb.124:
	v_cmp_lt_i16_e32 vcc_lo, 9, v10
	s_cbranch_vccz .LBB119_126
; %bb.125:
	v_mov_b32_e32 v2, 0
	s_mov_b32 s4, 0
	s_delay_alu instid0(VALU_DEP_1)
	v_mov_b32_e32 v3, v2
	global_store_b128 v[8:9], v[0:3], off
.LBB119_126:
	s_and_not1_b32 vcc_lo, exec_lo, s4
	s_cbranch_vccnz .LBB119_128
; %bb.127:
	v_dual_mov_b32 v2, s25 :: v_dual_mov_b32 v3, 0
	global_store_b64 v[8:9], v[2:3], off
.LBB119_128:
	s_mov_b32 s4, 0
.LBB119_129:
	s_delay_alu instid0(SALU_CYCLE_1)
	s_and_not1_b32 vcc_lo, exec_lo, s4
	s_cbranch_vccnz .LBB119_131
; %bb.130:
	global_store_b32 v[8:9], v14, off
.LBB119_131:
	s_mov_b32 s4, 0
.LBB119_132:
	s_delay_alu instid0(SALU_CYCLE_1)
	s_and_not1_b32 vcc_lo, exec_lo, s4
	s_cbranch_vccnz .LBB119_141
; %bb.133:
	v_cmp_gt_i16_e32 vcc_lo, 6, v10
	s_mov_b32 s4, -1
	s_cbranch_vccnz .LBB119_139
; %bb.134:
	v_cmp_lt_i16_e32 vcc_lo, 6, v10
	s_cbranch_vccz .LBB119_136
; %bb.135:
	s_mov_b32 s4, 0
	global_store_b64 v[8:9], v[0:1], off
.LBB119_136:
	s_and_not1_b32 vcc_lo, exec_lo, s4
	s_cbranch_vccnz .LBB119_138
; %bb.137:
	v_mov_b32_e32 v0, s25
	global_store_b32 v[8:9], v0, off
.LBB119_138:
	s_mov_b32 s4, 0
.LBB119_139:
	s_delay_alu instid0(SALU_CYCLE_1)
	s_and_not1_b32 vcc_lo, exec_lo, s4
	s_cbranch_vccnz .LBB119_141
; %bb.140:
	global_store_b16 v[8:9], v13, off
.LBB119_141:
	s_mov_b32 s4, 0
.LBB119_142:
	s_delay_alu instid0(SALU_CYCLE_1)
	s_and_not1_b32 vcc_lo, exec_lo, s4
	s_cbranch_vccnz .LBB119_158
; %bb.143:
	v_cmp_gt_i16_e32 vcc_lo, 2, v10
	s_mov_b32 s4, -1
	s_cbranch_vccnz .LBB119_153
; %bb.144:
	v_cmp_gt_i16_e32 vcc_lo, 3, v10
	s_cbranch_vccnz .LBB119_150
; %bb.145:
	v_cmp_lt_i16_e32 vcc_lo, 3, v10
	s_cbranch_vccz .LBB119_147
; %bb.146:
	s_mov_b32 s4, 0
	global_store_b64 v[8:9], v[4:5], off
.LBB119_147:
	s_and_not1_b32 vcc_lo, exec_lo, s4
	s_cbranch_vccnz .LBB119_149
; %bb.148:
	global_store_b32 v[8:9], v11, off
.LBB119_149:
	s_mov_b32 s4, 0
.LBB119_150:
	s_delay_alu instid0(SALU_CYCLE_1)
	s_and_not1_b32 vcc_lo, exec_lo, s4
	s_cbranch_vccnz .LBB119_152
; %bb.151:
	global_store_b16 v[8:9], v11, off
.LBB119_152:
	s_mov_b32 s4, 0
.LBB119_153:
	s_delay_alu instid0(SALU_CYCLE_1)
	s_and_not1_b32 vcc_lo, exec_lo, s4
	s_cbranch_vccnz .LBB119_158
; %bb.154:
	v_cmp_lt_i16_e32 vcc_lo, 0, v10
	s_mov_b32 s4, -1
	s_cbranch_vccz .LBB119_156
; %bb.155:
	s_mov_b32 s4, 0
	global_store_b8 v[8:9], v11, off
.LBB119_156:
	s_and_not1_b32 vcc_lo, exec_lo, s4
	s_cbranch_vccnz .LBB119_158
; %bb.157:
	global_store_b8 v[8:9], v4, off
.LBB119_158:
	s_or_b32 exec_lo, exec_lo, s3
	s_waitcnt lgkmcnt(0)
	s_and_b32 s6, s2, exec_lo
                                        ; implicit-def: $vgpr4
                                        ; implicit-def: $vgpr12
.LBB119_159:
	s_or_saveexec_b32 s7, s24
	s_mov_b32 s5, 0
                                        ; implicit-def: $vgpr5
                                        ; implicit-def: $vgpr0_vgpr1
                                        ; implicit-def: $sgpr2
	s_xor_b32 exec_lo, exec_lo, s7
	s_cbranch_execz .LBB119_895
; %bb.160:
	v_cndmask_b32_e64 v0, 0, 1, s23
	s_and_not1_b32 vcc_lo, exec_lo, s23
	s_cbranch_vccnz .LBB119_166
; %bb.161:
	v_mov_b32_e32 v3, 0
	s_cmp_eq_u32 s20, 0
	s_mov_b32 s8, 0
	s_cbranch_scc1 .LBB119_170
; %bb.162:
	s_min_u32 s9, s21, 15
	v_mov_b32_e32 v3, 0
	s_add_i32 s9, s9, 1
	s_cmp_eq_u32 s21, 2
	s_mov_b32 s10, 0
	s_cbranch_scc1 .LBB119_167
; %bb.163:
	v_mov_b32_e32 v3, 0
	v_mov_b32_e32 v1, v12
	s_add_u32 s2, s0, 0xc4
	s_addc_u32 s3, s1, 0
	s_and_b32 s10, s9, 28
	s_mov_b32 s11, 0
	s_mov_b64 s[4:5], s[0:1]
.LBB119_164:                            ; =>This Inner Loop Header: Depth=1
	s_clause 0x1
	s_load_b256 s[12:19], s[4:5], 0x4
	s_load_b128 s[24:27], s[4:5], 0x24
	s_load_b128 s[28:31], s[2:3], 0x0
	s_add_u32 s4, s4, 48
	s_addc_u32 s5, s5, 0
	s_add_i32 s11, s11, 4
	s_add_u32 s2, s2, 16
	s_addc_u32 s3, s3, 0
	s_cmp_lg_u32 s10, s11
	s_waitcnt lgkmcnt(0)
	v_mul_hi_u32 v2, s13, v1
	s_delay_alu instid0(VALU_DEP_1) | instskip(NEXT) | instid1(VALU_DEP_1)
	v_add_nc_u32_e32 v2, v1, v2
	v_lshrrev_b32_e32 v2, s14, v2
	s_delay_alu instid0(VALU_DEP_1) | instskip(SKIP_1) | instid1(VALU_DEP_2)
	v_mul_hi_u32 v5, s16, v2
	v_mul_lo_u32 v8, v2, s12
	v_add_nc_u32_e32 v5, v2, v5
	s_delay_alu instid0(VALU_DEP_2) | instskip(NEXT) | instid1(VALU_DEP_2)
	v_sub_nc_u32_e32 v8, v1, v8
	v_lshrrev_b32_e32 v5, s17, v5
	s_delay_alu instid0(VALU_DEP_2) | instskip(NEXT) | instid1(VALU_DEP_2)
	v_mul_lo_u32 v8, v8, s28
	v_mul_hi_u32 v6, s19, v5
	v_mul_lo_u32 v9, v5, s15
	s_delay_alu instid0(VALU_DEP_2) | instskip(NEXT) | instid1(VALU_DEP_2)
	v_add_nc_u32_e32 v6, v5, v6
	v_sub_nc_u32_e32 v2, v2, v9
	s_delay_alu instid0(VALU_DEP_2) | instskip(NEXT) | instid1(VALU_DEP_2)
	v_lshrrev_b32_e32 v6, s24, v6
	v_mul_lo_u32 v2, v2, s29
	s_delay_alu instid0(VALU_DEP_2) | instskip(NEXT) | instid1(VALU_DEP_2)
	v_mul_hi_u32 v7, s26, v6
	v_add3_u32 v2, v8, v3, v2
	s_delay_alu instid0(VALU_DEP_2) | instskip(NEXT) | instid1(VALU_DEP_1)
	v_add_nc_u32_e32 v7, v6, v7
	v_lshrrev_b32_e32 v1, s27, v7
	v_mul_lo_u32 v7, v6, s18
	s_delay_alu instid0(VALU_DEP_2) | instskip(NEXT) | instid1(VALU_DEP_2)
	v_mul_lo_u32 v10, v1, s25
	v_sub_nc_u32_e32 v5, v5, v7
	s_delay_alu instid0(VALU_DEP_2) | instskip(NEXT) | instid1(VALU_DEP_2)
	v_sub_nc_u32_e32 v6, v6, v10
	v_mul_lo_u32 v5, v5, s30
	s_delay_alu instid0(VALU_DEP_2) | instskip(NEXT) | instid1(VALU_DEP_1)
	v_mul_lo_u32 v6, v6, s31
	v_add3_u32 v3, v5, v2, v6
	s_cbranch_scc1 .LBB119_164
; %bb.165:
	s_and_b32 s9, s9, 3
	s_delay_alu instid0(SALU_CYCLE_1)
	s_cmp_eq_u32 s9, 0
	s_cbranch_scc0 .LBB119_168
	s_branch .LBB119_170
.LBB119_166:
	s_mov_b32 s8, -1
                                        ; implicit-def: $vgpr3
	s_branch .LBB119_170
.LBB119_167:
	v_mov_b32_e32 v1, v12
	s_and_b32 s9, s9, 3
	s_delay_alu instid0(SALU_CYCLE_1)
	s_cmp_eq_u32 s9, 0
	s_cbranch_scc1 .LBB119_170
.LBB119_168:
	s_lshl_b32 s2, s10, 2
	s_mul_i32 s4, s10, 12
	s_add_u32 s2, s2, s0
	s_addc_u32 s3, 0, s1
	s_add_u32 s2, s2, 0xc4
	s_addc_u32 s3, s3, 0
	;; [unrolled: 2-line block ×3, first 2 shown]
	.p2align	6
.LBB119_169:                            ; =>This Inner Loop Header: Depth=1
	s_clause 0x1
	s_load_b64 s[10:11], s[4:5], 0x4
	s_load_b32 s12, s[4:5], 0xc
	s_add_u32 s4, s4, 12
	s_addc_u32 s5, s5, 0
	s_waitcnt lgkmcnt(0)
	v_mul_hi_u32 v2, s11, v1
	s_load_b32 s11, s[2:3], 0x0
	s_add_u32 s2, s2, 4
	s_addc_u32 s3, s3, 0
	s_add_i32 s9, s9, -1
	s_delay_alu instid0(SALU_CYCLE_1) | instskip(NEXT) | instid1(VALU_DEP_1)
	s_cmp_lg_u32 s9, 0
	v_add_nc_u32_e32 v2, v1, v2
	s_delay_alu instid0(VALU_DEP_1) | instskip(NEXT) | instid1(VALU_DEP_1)
	v_lshrrev_b32_e32 v2, s12, v2
	v_mul_lo_u32 v5, v2, s10
	s_delay_alu instid0(VALU_DEP_1) | instskip(SKIP_1) | instid1(VALU_DEP_1)
	v_sub_nc_u32_e32 v1, v1, v5
	s_waitcnt lgkmcnt(0)
	v_mad_u64_u32 v[5:6], null, v1, s11, v[3:4]
	v_mov_b32_e32 v1, v2
	s_delay_alu instid0(VALU_DEP_2)
	v_mov_b32_e32 v3, v5
	s_cbranch_scc1 .LBB119_169
.LBB119_170:
	s_and_not1_b32 vcc_lo, exec_lo, s8
	s_cbranch_vccnz .LBB119_173
; %bb.171:
	s_clause 0x1
	s_load_b128 s[8:11], s[0:1], 0x4
	s_load_b32 s2, s[0:1], 0xc4
	s_cmp_lt_u32 s20, 2
	s_waitcnt lgkmcnt(0)
	v_mul_hi_u32 v1, s9, v12
	s_delay_alu instid0(VALU_DEP_1) | instskip(NEXT) | instid1(VALU_DEP_1)
	v_add_nc_u32_e32 v1, v12, v1
	v_lshrrev_b32_e32 v1, s10, v1
	s_delay_alu instid0(VALU_DEP_1) | instskip(NEXT) | instid1(VALU_DEP_1)
	v_mul_lo_u32 v2, v1, s8
	v_sub_nc_u32_e32 v2, v12, v2
	s_delay_alu instid0(VALU_DEP_1)
	v_mul_lo_u32 v3, v2, s2
	s_cbranch_scc1 .LBB119_173
; %bb.172:
	s_clause 0x1
	s_load_b128 s[8:11], s[0:1], 0x10
	s_load_b32 s2, s[0:1], 0xc8
	s_waitcnt lgkmcnt(0)
	v_mul_hi_u32 v2, s9, v1
	s_delay_alu instid0(VALU_DEP_1) | instskip(NEXT) | instid1(VALU_DEP_1)
	v_add_nc_u32_e32 v2, v1, v2
	v_lshrrev_b32_e32 v2, s10, v2
	s_delay_alu instid0(VALU_DEP_1) | instskip(NEXT) | instid1(VALU_DEP_1)
	v_mul_lo_u32 v2, v2, s8
	v_sub_nc_u32_e32 v5, v1, v2
	s_delay_alu instid0(VALU_DEP_1) | instskip(NEXT) | instid1(VALU_DEP_1)
	v_mad_u64_u32 v[1:2], null, v5, s2, v[3:4]
	v_mov_b32_e32 v3, v1
.LBB119_173:
	v_cmp_ne_u32_e32 vcc_lo, 1, v0
	v_add_nc_u32_e32 v1, 0x80, v12
	s_cbranch_vccnz .LBB119_179
; %bb.174:
	v_mov_b32_e32 v2, 0
	s_cmp_eq_u32 s20, 0
	s_mov_b32 s8, 0
	s_cbranch_scc1 .LBB119_183
; %bb.175:
	s_min_u32 s9, s21, 15
	v_mov_b32_e32 v2, 0
	s_add_i32 s9, s9, 1
	s_cmp_eq_u32 s21, 2
	s_mov_b32 s10, 0
	s_cbranch_scc1 .LBB119_180
; %bb.176:
	v_dual_mov_b32 v2, 0 :: v_dual_mov_b32 v5, v1
	s_add_u32 s2, s0, 0xc4
	s_addc_u32 s3, s1, 0
	s_and_b32 s10, s9, 28
	s_mov_b32 s11, 0
	s_mov_b64 s[4:5], s[0:1]
.LBB119_177:                            ; =>This Inner Loop Header: Depth=1
	s_clause 0x1
	s_load_b256 s[12:19], s[4:5], 0x4
	s_load_b128 s[24:27], s[4:5], 0x24
	s_load_b128 s[28:31], s[2:3], 0x0
	s_add_u32 s4, s4, 48
	s_addc_u32 s5, s5, 0
	s_add_i32 s11, s11, 4
	s_add_u32 s2, s2, 16
	s_addc_u32 s3, s3, 0
	s_cmp_lg_u32 s10, s11
	s_waitcnt lgkmcnt(0)
	v_mul_hi_u32 v6, s13, v5
	s_delay_alu instid0(VALU_DEP_1) | instskip(NEXT) | instid1(VALU_DEP_1)
	v_add_nc_u32_e32 v6, v5, v6
	v_lshrrev_b32_e32 v6, s14, v6
	s_delay_alu instid0(VALU_DEP_1) | instskip(SKIP_1) | instid1(VALU_DEP_2)
	v_mul_hi_u32 v7, s16, v6
	v_mul_lo_u32 v10, v6, s12
	v_add_nc_u32_e32 v7, v6, v7
	s_delay_alu instid0(VALU_DEP_2) | instskip(NEXT) | instid1(VALU_DEP_2)
	v_sub_nc_u32_e32 v10, v5, v10
	v_lshrrev_b32_e32 v7, s17, v7
	s_delay_alu instid0(VALU_DEP_2) | instskip(NEXT) | instid1(VALU_DEP_2)
	v_mul_lo_u32 v10, v10, s28
	v_mul_hi_u32 v8, s19, v7
	v_mul_lo_u32 v11, v7, s15
	s_delay_alu instid0(VALU_DEP_2) | instskip(NEXT) | instid1(VALU_DEP_2)
	v_add_nc_u32_e32 v8, v7, v8
	v_sub_nc_u32_e32 v6, v6, v11
	s_delay_alu instid0(VALU_DEP_2) | instskip(NEXT) | instid1(VALU_DEP_2)
	v_lshrrev_b32_e32 v8, s24, v8
	v_mul_lo_u32 v6, v6, s29
	s_delay_alu instid0(VALU_DEP_2) | instskip(NEXT) | instid1(VALU_DEP_2)
	v_mul_hi_u32 v9, s26, v8
	v_add3_u32 v2, v10, v2, v6
	s_delay_alu instid0(VALU_DEP_2) | instskip(NEXT) | instid1(VALU_DEP_1)
	v_add_nc_u32_e32 v9, v8, v9
	v_lshrrev_b32_e32 v5, s27, v9
	v_mul_lo_u32 v9, v8, s18
	s_delay_alu instid0(VALU_DEP_2) | instskip(NEXT) | instid1(VALU_DEP_2)
	v_mul_lo_u32 v13, v5, s25
	v_sub_nc_u32_e32 v7, v7, v9
	s_delay_alu instid0(VALU_DEP_2) | instskip(NEXT) | instid1(VALU_DEP_2)
	v_sub_nc_u32_e32 v8, v8, v13
	v_mul_lo_u32 v7, v7, s30
	s_delay_alu instid0(VALU_DEP_2) | instskip(NEXT) | instid1(VALU_DEP_1)
	v_mul_lo_u32 v8, v8, s31
	v_add3_u32 v2, v7, v2, v8
	s_cbranch_scc1 .LBB119_177
; %bb.178:
	s_and_b32 s9, s9, 3
	s_delay_alu instid0(SALU_CYCLE_1)
	s_cmp_eq_u32 s9, 0
	s_cbranch_scc0 .LBB119_181
	s_branch .LBB119_183
.LBB119_179:
	s_mov_b32 s8, -1
                                        ; implicit-def: $vgpr2
	s_branch .LBB119_183
.LBB119_180:
	v_mov_b32_e32 v5, v1
	s_and_b32 s9, s9, 3
	s_delay_alu instid0(SALU_CYCLE_1)
	s_cmp_eq_u32 s9, 0
	s_cbranch_scc1 .LBB119_183
.LBB119_181:
	s_lshl_b32 s2, s10, 2
	s_mul_i32 s4, s10, 12
	s_add_u32 s2, s2, s0
	s_addc_u32 s3, 0, s1
	s_add_u32 s2, s2, 0xc4
	s_addc_u32 s3, s3, 0
	;; [unrolled: 2-line block ×3, first 2 shown]
	.p2align	6
.LBB119_182:                            ; =>This Inner Loop Header: Depth=1
	s_clause 0x1
	s_load_b64 s[10:11], s[4:5], 0x4
	s_load_b32 s12, s[4:5], 0xc
	s_add_u32 s4, s4, 12
	s_addc_u32 s5, s5, 0
	s_waitcnt lgkmcnt(0)
	v_mul_hi_u32 v6, s11, v5
	s_load_b32 s11, s[2:3], 0x0
	s_add_u32 s2, s2, 4
	s_addc_u32 s3, s3, 0
	s_add_i32 s9, s9, -1
	s_delay_alu instid0(SALU_CYCLE_1) | instskip(NEXT) | instid1(VALU_DEP_1)
	s_cmp_lg_u32 s9, 0
	v_add_nc_u32_e32 v6, v5, v6
	s_delay_alu instid0(VALU_DEP_1) | instskip(NEXT) | instid1(VALU_DEP_1)
	v_lshrrev_b32_e32 v8, s12, v6
	v_mul_lo_u32 v6, v8, s10
	s_delay_alu instid0(VALU_DEP_1) | instskip(SKIP_1) | instid1(VALU_DEP_1)
	v_sub_nc_u32_e32 v5, v5, v6
	s_waitcnt lgkmcnt(0)
	v_mad_u64_u32 v[6:7], null, v5, s11, v[2:3]
	s_delay_alu instid0(VALU_DEP_1)
	v_dual_mov_b32 v5, v8 :: v_dual_mov_b32 v2, v6
	s_cbranch_scc1 .LBB119_182
.LBB119_183:
	s_and_not1_b32 vcc_lo, exec_lo, s8
	s_cbranch_vccnz .LBB119_186
; %bb.184:
	s_clause 0x1
	s_load_b128 s[8:11], s[0:1], 0x4
	s_load_b32 s2, s[0:1], 0xc4
	s_cmp_lt_u32 s20, 2
	s_waitcnt lgkmcnt(0)
	v_mul_hi_u32 v2, s9, v1
	s_delay_alu instid0(VALU_DEP_1) | instskip(NEXT) | instid1(VALU_DEP_1)
	v_add_nc_u32_e32 v2, v1, v2
	v_lshrrev_b32_e32 v5, s10, v2
	s_delay_alu instid0(VALU_DEP_1) | instskip(NEXT) | instid1(VALU_DEP_1)
	v_mul_lo_u32 v2, v5, s8
	v_sub_nc_u32_e32 v1, v1, v2
	s_delay_alu instid0(VALU_DEP_1)
	v_mul_lo_u32 v2, v1, s2
	s_cbranch_scc1 .LBB119_186
; %bb.185:
	s_clause 0x1
	s_load_b128 s[8:11], s[0:1], 0x10
	s_load_b32 s2, s[0:1], 0xc8
	s_waitcnt lgkmcnt(0)
	v_mul_hi_u32 v1, s9, v5
	s_delay_alu instid0(VALU_DEP_1) | instskip(NEXT) | instid1(VALU_DEP_1)
	v_add_nc_u32_e32 v1, v5, v1
	v_lshrrev_b32_e32 v1, s10, v1
	s_delay_alu instid0(VALU_DEP_1) | instskip(NEXT) | instid1(VALU_DEP_1)
	v_mul_lo_u32 v1, v1, s8
	v_sub_nc_u32_e32 v1, v5, v1
	s_delay_alu instid0(VALU_DEP_1) | instskip(NEXT) | instid1(VALU_DEP_1)
	v_mad_u64_u32 v[5:6], null, v1, s2, v[2:3]
	v_mov_b32_e32 v2, v5
.LBB119_186:
	v_cmp_ne_u32_e32 vcc_lo, 1, v0
	v_add_nc_u32_e32 v5, 0x100, v12
	s_cbranch_vccnz .LBB119_192
; %bb.187:
	v_mov_b32_e32 v1, 0
	s_cmp_eq_u32 s20, 0
	s_mov_b32 s8, 0
	s_cbranch_scc1 .LBB119_196
; %bb.188:
	s_min_u32 s9, s21, 15
	v_mov_b32_e32 v1, 0
	s_add_i32 s9, s9, 1
	s_cmp_eq_u32 s21, 2
	s_mov_b32 s10, 0
	s_cbranch_scc1 .LBB119_193
; %bb.189:
	v_dual_mov_b32 v1, 0 :: v_dual_mov_b32 v6, v5
	s_add_u32 s2, s0, 0xc4
	s_addc_u32 s3, s1, 0
	s_and_b32 s10, s9, 28
	s_mov_b32 s11, 0
	s_mov_b64 s[4:5], s[0:1]
.LBB119_190:                            ; =>This Inner Loop Header: Depth=1
	s_clause 0x1
	s_load_b256 s[12:19], s[4:5], 0x4
	s_load_b128 s[24:27], s[4:5], 0x24
	s_load_b128 s[28:31], s[2:3], 0x0
	s_add_u32 s4, s4, 48
	s_addc_u32 s5, s5, 0
	s_add_i32 s11, s11, 4
	s_add_u32 s2, s2, 16
	s_addc_u32 s3, s3, 0
	s_cmp_lg_u32 s10, s11
	s_waitcnt lgkmcnt(0)
	v_mul_hi_u32 v7, s13, v6
	s_delay_alu instid0(VALU_DEP_1) | instskip(NEXT) | instid1(VALU_DEP_1)
	v_add_nc_u32_e32 v7, v6, v7
	v_lshrrev_b32_e32 v7, s14, v7
	s_delay_alu instid0(VALU_DEP_1) | instskip(SKIP_1) | instid1(VALU_DEP_2)
	v_mul_hi_u32 v8, s16, v7
	v_mul_lo_u32 v11, v7, s12
	v_add_nc_u32_e32 v8, v7, v8
	s_delay_alu instid0(VALU_DEP_2) | instskip(NEXT) | instid1(VALU_DEP_2)
	v_sub_nc_u32_e32 v11, v6, v11
	v_lshrrev_b32_e32 v8, s17, v8
	s_delay_alu instid0(VALU_DEP_2) | instskip(NEXT) | instid1(VALU_DEP_2)
	v_mul_lo_u32 v11, v11, s28
	v_mul_hi_u32 v9, s19, v8
	v_mul_lo_u32 v12, v8, s15
	s_delay_alu instid0(VALU_DEP_2) | instskip(NEXT) | instid1(VALU_DEP_2)
	v_add_nc_u32_e32 v9, v8, v9
	v_sub_nc_u32_e32 v7, v7, v12
	s_delay_alu instid0(VALU_DEP_2) | instskip(NEXT) | instid1(VALU_DEP_2)
	v_lshrrev_b32_e32 v9, s24, v9
	v_mul_lo_u32 v7, v7, s29
	s_delay_alu instid0(VALU_DEP_2) | instskip(NEXT) | instid1(VALU_DEP_2)
	v_mul_hi_u32 v10, s26, v9
	v_add3_u32 v1, v11, v1, v7
	s_delay_alu instid0(VALU_DEP_2) | instskip(NEXT) | instid1(VALU_DEP_1)
	v_add_nc_u32_e32 v10, v9, v10
	v_lshrrev_b32_e32 v6, s27, v10
	v_mul_lo_u32 v10, v9, s18
	s_delay_alu instid0(VALU_DEP_2) | instskip(NEXT) | instid1(VALU_DEP_2)
	v_mul_lo_u32 v13, v6, s25
	v_sub_nc_u32_e32 v8, v8, v10
	s_delay_alu instid0(VALU_DEP_2) | instskip(NEXT) | instid1(VALU_DEP_2)
	v_sub_nc_u32_e32 v9, v9, v13
	v_mul_lo_u32 v8, v8, s30
	s_delay_alu instid0(VALU_DEP_2) | instskip(NEXT) | instid1(VALU_DEP_1)
	v_mul_lo_u32 v9, v9, s31
	v_add3_u32 v1, v8, v1, v9
	s_cbranch_scc1 .LBB119_190
; %bb.191:
	s_and_b32 s9, s9, 3
	s_delay_alu instid0(SALU_CYCLE_1)
	s_cmp_eq_u32 s9, 0
	s_cbranch_scc0 .LBB119_194
	s_branch .LBB119_196
.LBB119_192:
	s_mov_b32 s8, -1
                                        ; implicit-def: $vgpr1
	s_branch .LBB119_196
.LBB119_193:
	v_mov_b32_e32 v6, v5
	s_and_b32 s9, s9, 3
	s_delay_alu instid0(SALU_CYCLE_1)
	s_cmp_eq_u32 s9, 0
	s_cbranch_scc1 .LBB119_196
.LBB119_194:
	s_lshl_b32 s2, s10, 2
	s_mul_i32 s4, s10, 12
	s_add_u32 s2, s2, s0
	s_addc_u32 s3, 0, s1
	s_add_u32 s2, s2, 0xc4
	s_addc_u32 s3, s3, 0
	;; [unrolled: 2-line block ×3, first 2 shown]
	.p2align	6
.LBB119_195:                            ; =>This Inner Loop Header: Depth=1
	s_clause 0x1
	s_load_b64 s[10:11], s[4:5], 0x4
	s_load_b32 s12, s[4:5], 0xc
	s_add_u32 s4, s4, 12
	s_addc_u32 s5, s5, 0
	s_waitcnt lgkmcnt(0)
	v_mul_hi_u32 v7, s11, v6
	s_load_b32 s11, s[2:3], 0x0
	s_add_u32 s2, s2, 4
	s_addc_u32 s3, s3, 0
	s_add_i32 s9, s9, -1
	s_delay_alu instid0(SALU_CYCLE_1) | instskip(NEXT) | instid1(VALU_DEP_1)
	s_cmp_lg_u32 s9, 0
	v_add_nc_u32_e32 v7, v6, v7
	s_delay_alu instid0(VALU_DEP_1) | instskip(NEXT) | instid1(VALU_DEP_1)
	v_lshrrev_b32_e32 v9, s12, v7
	v_mul_lo_u32 v7, v9, s10
	s_delay_alu instid0(VALU_DEP_1) | instskip(SKIP_1) | instid1(VALU_DEP_1)
	v_sub_nc_u32_e32 v6, v6, v7
	s_waitcnt lgkmcnt(0)
	v_mad_u64_u32 v[7:8], null, v6, s11, v[1:2]
	s_delay_alu instid0(VALU_DEP_1)
	v_dual_mov_b32 v6, v9 :: v_dual_mov_b32 v1, v7
	s_cbranch_scc1 .LBB119_195
.LBB119_196:
	s_and_not1_b32 vcc_lo, exec_lo, s8
	s_cbranch_vccnz .LBB119_199
; %bb.197:
	s_clause 0x1
	s_load_b128 s[8:11], s[0:1], 0x4
	s_load_b32 s2, s[0:1], 0xc4
	s_cmp_lt_u32 s20, 2
	s_waitcnt lgkmcnt(0)
	v_mul_hi_u32 v1, s9, v5
	s_delay_alu instid0(VALU_DEP_1) | instskip(NEXT) | instid1(VALU_DEP_1)
	v_add_nc_u32_e32 v1, v5, v1
	v_lshrrev_b32_e32 v6, s10, v1
	s_delay_alu instid0(VALU_DEP_1) | instskip(NEXT) | instid1(VALU_DEP_1)
	v_mul_lo_u32 v1, v6, s8
	v_sub_nc_u32_e32 v1, v5, v1
	s_delay_alu instid0(VALU_DEP_1)
	v_mul_lo_u32 v1, v1, s2
	s_cbranch_scc1 .LBB119_199
; %bb.198:
	s_clause 0x1
	s_load_b128 s[8:11], s[0:1], 0x10
	s_load_b32 s2, s[0:1], 0xc8
	s_waitcnt lgkmcnt(0)
	v_mul_hi_u32 v5, s9, v6
	s_delay_alu instid0(VALU_DEP_1) | instskip(NEXT) | instid1(VALU_DEP_1)
	v_add_nc_u32_e32 v5, v6, v5
	v_lshrrev_b32_e32 v5, s10, v5
	s_delay_alu instid0(VALU_DEP_1) | instskip(NEXT) | instid1(VALU_DEP_1)
	v_mul_lo_u32 v5, v5, s8
	v_sub_nc_u32_e32 v7, v6, v5
	s_delay_alu instid0(VALU_DEP_1) | instskip(NEXT) | instid1(VALU_DEP_1)
	v_mad_u64_u32 v[5:6], null, v7, s2, v[1:2]
	v_mov_b32_e32 v1, v5
.LBB119_199:
	v_cmp_ne_u32_e32 vcc_lo, 1, v0
	s_cbranch_vccnz .LBB119_205
; %bb.200:
	v_mov_b32_e32 v0, 0
	s_cmp_eq_u32 s20, 0
	s_mov_b32 s8, 0
	s_cbranch_scc1 .LBB119_209
; %bb.201:
	s_min_u32 s9, s21, 15
	v_mov_b32_e32 v0, 0
	s_add_i32 s9, s9, 1
	s_cmp_eq_u32 s21, 2
	s_mov_b32 s10, 0
	s_cbranch_scc1 .LBB119_206
; %bb.202:
	v_dual_mov_b32 v0, 0 :: v_dual_mov_b32 v5, v4
	s_add_u32 s2, s0, 0xc4
	s_addc_u32 s3, s1, 0
	s_and_b32 s10, s9, 28
	s_mov_b32 s11, 0
	s_mov_b64 s[4:5], s[0:1]
.LBB119_203:                            ; =>This Inner Loop Header: Depth=1
	s_clause 0x1
	s_load_b256 s[12:19], s[4:5], 0x4
	s_load_b128 s[24:27], s[4:5], 0x24
	s_load_b128 s[28:31], s[2:3], 0x0
	s_add_u32 s4, s4, 48
	s_addc_u32 s5, s5, 0
	s_add_i32 s11, s11, 4
	s_add_u32 s2, s2, 16
	s_addc_u32 s3, s3, 0
	s_cmp_lg_u32 s10, s11
	s_waitcnt lgkmcnt(0)
	v_mul_hi_u32 v6, s13, v5
	s_delay_alu instid0(VALU_DEP_1) | instskip(NEXT) | instid1(VALU_DEP_1)
	v_add_nc_u32_e32 v6, v5, v6
	v_lshrrev_b32_e32 v6, s14, v6
	s_delay_alu instid0(VALU_DEP_1) | instskip(SKIP_1) | instid1(VALU_DEP_2)
	v_mul_hi_u32 v7, s16, v6
	v_mul_lo_u32 v10, v6, s12
	v_add_nc_u32_e32 v7, v6, v7
	s_delay_alu instid0(VALU_DEP_2) | instskip(NEXT) | instid1(VALU_DEP_2)
	v_sub_nc_u32_e32 v10, v5, v10
	v_lshrrev_b32_e32 v7, s17, v7
	s_delay_alu instid0(VALU_DEP_2) | instskip(NEXT) | instid1(VALU_DEP_2)
	v_mul_lo_u32 v10, v10, s28
	v_mul_hi_u32 v8, s19, v7
	v_mul_lo_u32 v11, v7, s15
	s_delay_alu instid0(VALU_DEP_2) | instskip(NEXT) | instid1(VALU_DEP_2)
	v_add_nc_u32_e32 v8, v7, v8
	v_sub_nc_u32_e32 v6, v6, v11
	s_delay_alu instid0(VALU_DEP_2) | instskip(NEXT) | instid1(VALU_DEP_2)
	v_lshrrev_b32_e32 v8, s24, v8
	v_mul_lo_u32 v6, v6, s29
	s_delay_alu instid0(VALU_DEP_2) | instskip(NEXT) | instid1(VALU_DEP_2)
	v_mul_hi_u32 v9, s26, v8
	v_add3_u32 v0, v10, v0, v6
	s_delay_alu instid0(VALU_DEP_2) | instskip(NEXT) | instid1(VALU_DEP_1)
	v_add_nc_u32_e32 v9, v8, v9
	v_lshrrev_b32_e32 v5, s27, v9
	v_mul_lo_u32 v9, v8, s18
	s_delay_alu instid0(VALU_DEP_2) | instskip(NEXT) | instid1(VALU_DEP_2)
	v_mul_lo_u32 v12, v5, s25
	v_sub_nc_u32_e32 v7, v7, v9
	s_delay_alu instid0(VALU_DEP_2) | instskip(NEXT) | instid1(VALU_DEP_2)
	v_sub_nc_u32_e32 v8, v8, v12
	v_mul_lo_u32 v7, v7, s30
	s_delay_alu instid0(VALU_DEP_2) | instskip(NEXT) | instid1(VALU_DEP_1)
	v_mul_lo_u32 v8, v8, s31
	v_add3_u32 v0, v7, v0, v8
	s_cbranch_scc1 .LBB119_203
; %bb.204:
	s_and_b32 s9, s9, 3
	s_delay_alu instid0(SALU_CYCLE_1)
	s_cmp_eq_u32 s9, 0
	s_cbranch_scc0 .LBB119_207
	s_branch .LBB119_209
.LBB119_205:
	s_mov_b32 s8, -1
                                        ; implicit-def: $vgpr0
	s_branch .LBB119_209
.LBB119_206:
	v_mov_b32_e32 v5, v4
	s_and_b32 s9, s9, 3
	s_delay_alu instid0(SALU_CYCLE_1)
	s_cmp_eq_u32 s9, 0
	s_cbranch_scc1 .LBB119_209
.LBB119_207:
	s_lshl_b32 s2, s10, 2
	s_mul_i32 s4, s10, 12
	s_add_u32 s2, s2, s0
	s_addc_u32 s3, 0, s1
	s_add_u32 s2, s2, 0xc4
	s_addc_u32 s3, s3, 0
	s_add_u32 s4, s0, s4
	s_addc_u32 s5, 0, s1
	.p2align	6
.LBB119_208:                            ; =>This Inner Loop Header: Depth=1
	s_clause 0x1
	s_load_b64 s[10:11], s[4:5], 0x4
	s_load_b32 s12, s[4:5], 0xc
	s_add_u32 s4, s4, 12
	s_addc_u32 s5, s5, 0
	s_waitcnt lgkmcnt(0)
	v_mul_hi_u32 v6, s11, v5
	s_load_b32 s11, s[2:3], 0x0
	s_add_u32 s2, s2, 4
	s_addc_u32 s3, s3, 0
	s_add_i32 s9, s9, -1
	s_delay_alu instid0(SALU_CYCLE_1) | instskip(NEXT) | instid1(VALU_DEP_1)
	s_cmp_lg_u32 s9, 0
	v_add_nc_u32_e32 v6, v5, v6
	s_delay_alu instid0(VALU_DEP_1) | instskip(NEXT) | instid1(VALU_DEP_1)
	v_lshrrev_b32_e32 v8, s12, v6
	v_mul_lo_u32 v6, v8, s10
	s_delay_alu instid0(VALU_DEP_1) | instskip(SKIP_1) | instid1(VALU_DEP_1)
	v_sub_nc_u32_e32 v5, v5, v6
	s_waitcnt lgkmcnt(0)
	v_mad_u64_u32 v[6:7], null, v5, s11, v[0:1]
	s_delay_alu instid0(VALU_DEP_1)
	v_dual_mov_b32 v5, v8 :: v_dual_mov_b32 v0, v6
	s_cbranch_scc1 .LBB119_208
.LBB119_209:
	s_and_not1_b32 vcc_lo, exec_lo, s8
	s_cbranch_vccnz .LBB119_212
; %bb.210:
	s_clause 0x1
	s_load_b128 s[8:11], s[0:1], 0x4
	s_load_b32 s2, s[0:1], 0xc4
	s_cmp_lt_u32 s20, 2
	s_waitcnt lgkmcnt(0)
	v_mul_hi_u32 v0, s9, v4
	s_delay_alu instid0(VALU_DEP_1) | instskip(NEXT) | instid1(VALU_DEP_1)
	v_add_nc_u32_e32 v0, v4, v0
	v_lshrrev_b32_e32 v5, s10, v0
	s_delay_alu instid0(VALU_DEP_1) | instskip(NEXT) | instid1(VALU_DEP_1)
	v_mul_lo_u32 v0, v5, s8
	v_sub_nc_u32_e32 v0, v4, v0
	s_delay_alu instid0(VALU_DEP_1)
	v_mul_lo_u32 v0, v0, s2
	s_cbranch_scc1 .LBB119_212
; %bb.211:
	s_clause 0x1
	s_load_b128 s[8:11], s[0:1], 0x10
	s_load_b32 s2, s[0:1], 0xc8
	s_waitcnt lgkmcnt(0)
	v_mul_hi_u32 v4, s9, v5
	s_delay_alu instid0(VALU_DEP_1) | instskip(NEXT) | instid1(VALU_DEP_1)
	v_add_nc_u32_e32 v4, v5, v4
	v_lshrrev_b32_e32 v4, s10, v4
	s_delay_alu instid0(VALU_DEP_1) | instskip(NEXT) | instid1(VALU_DEP_1)
	v_mul_lo_u32 v4, v4, s8
	v_sub_nc_u32_e32 v6, v5, v4
	s_delay_alu instid0(VALU_DEP_1) | instskip(NEXT) | instid1(VALU_DEP_1)
	v_mad_u64_u32 v[4:5], null, v6, s2, v[0:1]
	v_mov_b32_e32 v0, v4
.LBB119_212:
	s_clause 0x1
	s_load_b32 s2, s[0:1], 0x110
	s_load_b64 s[0:1], s[0:1], 0x108
	s_mov_b32 s5, 0
	s_mov_b32 s4, -1
	s_waitcnt lgkmcnt(0)
	v_lshrrev_b16 v5, 8, s2
	v_add_co_u32 v3, s3, s0, v3
	s_delay_alu instid0(VALU_DEP_1) | instskip(NEXT) | instid1(VALU_DEP_3)
	v_add_co_ci_u32_e64 v4, null, s1, 0, s3
	v_cmp_gt_i16_e32 vcc_lo, 11, v5
	s_mov_b32 s3, s6
	s_cbranch_vccnz .LBB119_461
; %bb.213:
	v_cmp_lt_i16_e32 vcc_lo, 25, v5
	s_mov_b32 s8, -1
	s_mov_b32 s4, 0
	s_mov_b32 s3, 0
	s_cbranch_vccz .LBB119_306
; %bb.214:
	v_cmp_lt_i16_e32 vcc_lo, 28, v5
	s_cbranch_vccz .LBB119_229
; %bb.215:
	v_cmp_lt_i16_e32 vcc_lo, 43, v5
	;; [unrolled: 3-line block ×3, first 2 shown]
	s_cbranch_vccz .LBB119_219
; %bb.217:
	v_cmp_eq_u16_e32 vcc_lo, 46, v5
	s_mov_b32 s3, -1
	s_mov_b32 s8, 0
	s_cbranch_vccz .LBB119_219
; %bb.218:
	s_lshl_b32 s3, s2, 8
	s_lshl_b32 s5, s2, 25
	s_and_b32 s3, s3, 0x7f00
	s_lshr_b32 s9, s5, 4
	s_or_b32 s3, s3, 0.5
	s_or_b32 s9, s9, 0x70000000
	v_add_f32_e64 v6, s3, -0.5
	v_mul_f32_e64 v7, 0x7800000, s9
	s_cmp_lt_u32 s5, 0x8000000
	s_mov_b32 s5, -1
	s_cselect_b32 vcc_lo, -1, 0
	s_lshl_b32 s3, s2, 24
	v_cndmask_b32_e32 v6, v7, v6, vcc_lo
	s_and_b32 s3, s3, 0x80000000
	s_delay_alu instid0(VALU_DEP_1) | instid1(SALU_CYCLE_1)
	v_or_b32_e32 v7, s3, v6
	v_bfe_u32 v6, v6, 16, 1
	s_mov_b32 s3, 0
	s_delay_alu instid0(VALU_DEP_2) | instskip(NEXT) | instid1(VALU_DEP_2)
	v_cmp_o_f32_e32 vcc_lo, v7, v7
	v_add_nc_u32_e32 v6, v7, v6
	s_delay_alu instid0(VALU_DEP_1) | instskip(NEXT) | instid1(VALU_DEP_1)
	v_add_nc_u32_e32 v6, 0x7fff, v6
	v_lshrrev_b32_e32 v6, 16, v6
	s_delay_alu instid0(VALU_DEP_1)
	v_cndmask_b32_e32 v6, 0x7fc0, v6, vcc_lo
	global_store_b32 v[3:4], v6, off
.LBB119_219:
	s_and_b32 vcc_lo, exec_lo, s8
	s_cbranch_vccz .LBB119_224
; %bb.220:
	v_cmp_eq_u16_e32 vcc_lo, 44, v5
	s_mov_b32 s3, -1
	s_cbranch_vccz .LBB119_224
; %bb.221:
	s_lshl_b32 s3, s2, 8
	s_lshl_b32 s5, s2, 25
	s_and_b32 s3, s3, 0x7f00
	s_lshr_b32 s8, s5, 4
	s_or_b32 s3, s3, 0.5
	s_or_b32 s8, s8, 0x70000000
	v_add_f32_e64 v6, s3, -0.5
	v_mul_f32_e64 v7, 0x7800000, s8
	s_cmp_lt_u32 s5, 0x8000000
	s_cselect_b32 vcc_lo, -1, 0
	s_delay_alu instid0(VALU_DEP_1) | instskip(NEXT) | instid1(VALU_DEP_1)
	v_dual_cndmask_b32 v6, v7, v6 :: v_dual_mov_b32 v7, 0xff
	v_readfirstlane_b32 s3, v6
	s_delay_alu instid0(VALU_DEP_1) | instskip(NEXT) | instid1(SALU_CYCLE_1)
	s_bfe_u32 s5, s3, 0x80017
	s_cmpk_eq_i32 s5, 0xff
	s_cbranch_scc1 .LBB119_223
; %bb.222:
	s_bitcmp1_b32 s3, 22
	v_lshrrev_b32_e32 v6, 23, v6
	s_cselect_b32 s8, -1, 0
	s_and_b32 s3, s3, 0x3fffff
	s_delay_alu instid0(SALU_CYCLE_1) | instskip(NEXT) | instid1(SALU_CYCLE_1)
	s_or_b32 s3, s5, s3
	s_cmp_lg_u32 s3, 0
	s_cselect_b32 s3, -1, 0
	s_delay_alu instid0(SALU_CYCLE_1) | instskip(NEXT) | instid1(SALU_CYCLE_1)
	s_and_b32 s3, s8, s3
	v_cndmask_b32_e64 v7, 0, 1, s3
	s_delay_alu instid0(VALU_DEP_1)
	v_add_nc_u32_e32 v7, v6, v7
.LBB119_223:
	s_mov_b32 s3, 0
	s_mov_b32 s5, -1
	global_store_b8 v[3:4], v7, off
.LBB119_224:
	s_mov_b32 s8, 0
.LBB119_225:
	s_delay_alu instid0(SALU_CYCLE_1)
	s_and_b32 vcc_lo, exec_lo, s8
	s_cbranch_vccz .LBB119_228
; %bb.226:
	v_cmp_eq_u16_e32 vcc_lo, 29, v5
	s_mov_b32 s3, -1
	s_cbranch_vccz .LBB119_228
; %bb.227:
	s_lshl_b32 s3, s2, 8
	s_lshl_b32 s5, s2, 25
	s_and_b32 s3, s3, 0x7f00
	s_lshr_b32 s8, s5, 4
	s_or_b32 s3, s3, 0.5
	s_or_b32 s8, s8, 0x70000000
	v_add_f32_e64 v6, s3, -0.5
	v_mul_f32_e64 v7, 0x7800000, s8
	s_cmp_lt_u32 s5, 0x8000000
	s_mov_b32 s5, -1
	s_cselect_b32 vcc_lo, -1, 0
	s_lshl_b32 s3, s2, 24
	v_cndmask_b32_e32 v6, v7, v6, vcc_lo
	s_and_b32 s3, s3, 0x80000000
	s_delay_alu instid0(VALU_DEP_1) | instid1(SALU_CYCLE_1)
	v_or_b32_e32 v6, s3, v6
	s_mov_b32 s3, 0
	s_delay_alu instid0(VALU_DEP_1) | instskip(NEXT) | instid1(VALU_DEP_1)
	v_trunc_f32_e32 v6, v6
	v_mul_f32_e32 v7, 0x2f800000, v6
	s_delay_alu instid0(VALU_DEP_1) | instskip(NEXT) | instid1(VALU_DEP_1)
	v_floor_f32_e32 v7, v7
	v_fmamk_f32 v6, v7, 0xcf800000, v6
	v_cvt_u32_f32_e32 v7, v7
	s_delay_alu instid0(VALU_DEP_2)
	v_cvt_u32_f32_e32 v6, v6
	global_store_b64 v[3:4], v[6:7], off
.LBB119_228:
	s_mov_b32 s8, 0
.LBB119_229:
	s_delay_alu instid0(SALU_CYCLE_1)
	s_and_b32 vcc_lo, exec_lo, s8
	s_cbranch_vccz .LBB119_305
; %bb.230:
	v_cmp_gt_i16_e32 vcc_lo, 27, v5
	s_mov_b32 s5, -1
	s_cbranch_vccnz .LBB119_236
; %bb.231:
	v_cmp_lt_i16_e32 vcc_lo, 27, v5
	s_cbranch_vccz .LBB119_233
; %bb.232:
	s_lshl_b32 s5, s2, 8
	s_lshl_b32 s8, s2, 25
	s_and_b32 s5, s5, 0x7f00
	s_lshr_b32 s9, s8, 4
	s_or_b32 s5, s5, 0.5
	s_or_b32 s9, s9, 0x70000000
	v_add_f32_e64 v6, s5, -0.5
	v_mul_f32_e64 v7, 0x7800000, s9
	s_cmp_lt_u32 s8, 0x8000000
	s_cselect_b32 vcc_lo, -1, 0
	s_lshl_b32 s5, s2, 24
	s_delay_alu instid0(VALU_DEP_1)
	v_cndmask_b32_e32 v6, v7, v6, vcc_lo
	s_and_b32 s5, s5, 0x80000000
	s_delay_alu instid0(VALU_DEP_1) | instid1(SALU_CYCLE_1)
	v_or_b32_e32 v6, s5, v6
	s_mov_b32 s5, 0
	s_delay_alu instid0(VALU_DEP_1)
	v_cvt_u32_f32_e32 v6, v6
	global_store_b32 v[3:4], v6, off
.LBB119_233:
	s_and_not1_b32 vcc_lo, exec_lo, s5
	s_cbranch_vccnz .LBB119_235
; %bb.234:
	s_lshl_b32 s5, s2, 8
	s_lshl_b32 s8, s2, 25
	s_and_b32 s5, s5, 0x7f00
	s_lshr_b32 s9, s8, 4
	s_or_b32 s5, s5, 0.5
	s_or_b32 s9, s9, 0x70000000
	v_add_f32_e64 v6, s5, -0.5
	v_mul_f32_e64 v7, 0x7800000, s9
	s_cmp_lt_u32 s8, 0x8000000
	s_cselect_b32 vcc_lo, -1, 0
	s_lshl_b32 s5, s2, 24
	s_delay_alu instid0(VALU_DEP_1)
	v_cndmask_b32_e32 v6, v7, v6, vcc_lo
	s_and_b32 s5, s5, 0x80000000
	s_delay_alu instid0(VALU_DEP_1) | instid1(SALU_CYCLE_1)
	v_or_b32_e32 v6, s5, v6
	s_delay_alu instid0(VALU_DEP_1)
	v_cvt_u32_f32_e32 v6, v6
	global_store_b16 v[3:4], v6, off
.LBB119_235:
	s_mov_b32 s5, 0
.LBB119_236:
	s_delay_alu instid0(SALU_CYCLE_1)
	s_and_not1_b32 vcc_lo, exec_lo, s5
	s_cbranch_vccnz .LBB119_304
; %bb.237:
	s_lshl_b32 s5, s2, 8
	s_lshl_b32 s8, s2, 25
	s_and_b32 s5, s5, 0x7f00
	s_lshr_b32 s9, s8, 4
	s_or_b32 s5, s5, 0.5
	s_or_b32 s9, s9, 0x70000000
	v_add_f32_e64 v6, s5, -0.5
	v_mul_f32_e64 v7, 0x7800000, s9
	s_cmp_lt_u32 s8, 0x8000000
	s_cselect_b32 vcc_lo, -1, 0
	s_lshl_b32 s8, s2, 24
	s_delay_alu instid0(VALU_DEP_1) | instskip(SKIP_1) | instid1(VALU_DEP_1)
	v_dual_cndmask_b32 v6, v7, v6 :: v_dual_mov_b32 v7, 0x80
	s_and_b32 s8, s8, 0x80000000
	v_readfirstlane_b32 s5, v6
	s_delay_alu instid0(VALU_DEP_1) | instskip(NEXT) | instid1(SALU_CYCLE_1)
	s_or_b32 s5, s8, s5
	s_and_b32 s8, s5, 0x7fffffff
	s_delay_alu instid0(SALU_CYCLE_1)
	s_cmp_gt_u32 s8, 0x437fffff
	s_cbranch_scc1 .LBB119_303
; %bb.238:
	s_cmp_gt_u32 s8, 0x3bffffff
	s_cbranch_scc0 .LBB119_298
; %bb.239:
	v_bfe_u32 v6, v6, 20, 1
	s_mov_b32 s9, 0
	s_mov_b32 s8, -1
	s_delay_alu instid0(VALU_DEP_1) | instskip(NEXT) | instid1(VALU_DEP_1)
	v_add_nc_u32_e32 v6, s5, v6
	v_add_nc_u32_e32 v6, 0x487ffff, v6
	s_delay_alu instid0(VALU_DEP_1)
	v_lshrrev_b32_e32 v6, 20, v6
	s_branch .LBB119_299
.LBB119_240:
                                        ; implicit-def: $vgpr2
	s_branch .LBB119_246
.LBB119_241:
	v_mov_b32_e32 v3, v12
.LBB119_242:
	s_and_b32 s48, s48, 3
	s_delay_alu instid0(SALU_CYCLE_1)
	s_cmp_eq_u32 s48, 0
	s_cbranch_scc1 .LBB119_245
; %bb.243:
	s_lshl_b32 s16, s46, 2
	s_mul_i32 s18, s46, 12
	s_add_u32 s16, s16, s0
	s_addc_u32 s17, s1, 0
	s_add_u32 s16, s16, 0xc4
	s_addc_u32 s17, s17, 0
	;; [unrolled: 2-line block ×3, first 2 shown]
	.p2align	6
.LBB119_244:                            ; =>This Inner Loop Header: Depth=1
	s_clause 0x1
	s_load_b64 s[50:51], s[18:19], 0x4
	s_load_b32 s46, s[18:19], 0xc
	s_load_b32 s49, s[16:17], 0x0
	s_add_u32 s18, s18, 12
	s_addc_u32 s19, s19, 0
	s_add_u32 s16, s16, 4
	s_addc_u32 s17, s17, 0
	s_add_i32 s48, s48, -1
	s_delay_alu instid0(SALU_CYCLE_1) | instskip(SKIP_2) | instid1(VALU_DEP_1)
	s_cmp_lg_u32 s48, 0
	s_waitcnt lgkmcnt(0)
	v_mul_hi_u32 v8, s51, v3
	v_add_nc_u32_e32 v8, v3, v8
	s_delay_alu instid0(VALU_DEP_1) | instskip(NEXT) | instid1(VALU_DEP_1)
	v_lshrrev_b32_e32 v22, s46, v8
	v_mul_lo_u32 v8, v22, s50
	s_delay_alu instid0(VALU_DEP_1) | instskip(NEXT) | instid1(VALU_DEP_1)
	v_sub_nc_u32_e32 v3, v3, v8
	v_mad_u64_u32 v[8:9], null, v3, s49, v[2:3]
	s_delay_alu instid0(VALU_DEP_1)
	v_dual_mov_b32 v3, v22 :: v_dual_mov_b32 v2, v8
	s_cbranch_scc1 .LBB119_244
.LBB119_245:
	s_cbranch_execnz .LBB119_248
.LBB119_246:
	s_waitcnt lgkmcnt(0)
	v_mul_hi_u32 v2, s5, v12
	s_and_not1_b32 vcc_lo, exec_lo, s40
	s_delay_alu instid0(VALU_DEP_1) | instskip(NEXT) | instid1(VALU_DEP_1)
	v_add_nc_u32_e32 v2, v12, v2
	v_lshrrev_b32_e32 v3, s6, v2
	s_delay_alu instid0(VALU_DEP_1) | instskip(NEXT) | instid1(VALU_DEP_1)
	v_mul_lo_u32 v2, v3, s4
	v_sub_nc_u32_e32 v2, v12, v2
	s_delay_alu instid0(VALU_DEP_1)
	v_mul_lo_u32 v2, v2, s10
	s_cbranch_vccnz .LBB119_248
; %bb.247:
	v_mul_hi_u32 v8, s12, v3
	s_delay_alu instid0(VALU_DEP_1) | instskip(NEXT) | instid1(VALU_DEP_1)
	v_add_nc_u32_e32 v8, v3, v8
	v_lshrrev_b32_e32 v8, s13, v8
	s_delay_alu instid0(VALU_DEP_1) | instskip(NEXT) | instid1(VALU_DEP_1)
	v_mul_lo_u32 v8, v8, s7
	v_sub_nc_u32_e32 v3, v3, v8
	s_delay_alu instid0(VALU_DEP_1) | instskip(NEXT) | instid1(VALU_DEP_1)
	v_mad_u64_u32 v[8:9], null, v3, s11, v[2:3]
	v_mov_b32_e32 v2, v8
.LBB119_248:
	v_cmp_gt_i16_e32 vcc_lo, 11, v10
	s_waitcnt lgkmcnt(0)
	s_delay_alu instid0(VALU_DEP_2) | instskip(NEXT) | instid1(VALU_DEP_1)
	v_add_co_u32 v8, s16, s8, v2
	v_add_co_ci_u32_e64 v9, null, s9, 0, s16
	s_mov_b32 s17, 0
	s_mov_b32 s18, -1
	s_mov_b32 s16, s44
	s_cbranch_vccnz .LBB119_255
; %bb.249:
	v_cmp_lt_i16_e32 vcc_lo, 25, v10
	s_cbranch_vccz .LBB119_295
; %bb.250:
	v_cmp_lt_i16_e32 vcc_lo, 28, v10
	s_cbranch_vccz .LBB119_296
	;; [unrolled: 3-line block ×4, first 2 shown]
; %bb.253:
	v_cmp_eq_u16_e32 vcc_lo, 46, v10
	s_mov_b32 s18, 0
	s_mov_b32 s16, -1
	s_cbranch_vccz .LBB119_314
; %bb.254:
	s_mov_b32 s17, -1
	s_mov_b32 s16, 0
	global_store_b32 v[8:9], v16, off
	s_branch .LBB119_314
.LBB119_255:
	s_and_b32 vcc_lo, exec_lo, s18
	s_cbranch_vccz .LBB119_359
; %bb.256:
	v_cmp_gt_i16_e32 vcc_lo, 5, v10
	s_mov_b32 s17, -1
	s_cbranch_vccnz .LBB119_277
; %bb.257:
	v_cmp_gt_i16_e32 vcc_lo, 8, v10
	s_cbranch_vccnz .LBB119_267
; %bb.258:
	v_cmp_gt_i16_e32 vcc_lo, 9, v10
	s_cbranch_vccnz .LBB119_264
; %bb.259:
	v_cmp_lt_i16_e32 vcc_lo, 9, v10
	s_cbranch_vccz .LBB119_261
; %bb.260:
	v_mov_b32_e32 v2, 0
	s_mov_b32 s17, 0
	s_delay_alu instid0(VALU_DEP_1)
	v_mov_b32_e32 v3, v2
	global_store_b128 v[8:9], v[0:3], off
.LBB119_261:
	s_and_not1_b32 vcc_lo, exec_lo, s17
	s_cbranch_vccnz .LBB119_263
; %bb.262:
	v_dual_mov_b32 v2, s25 :: v_dual_mov_b32 v3, 0
	global_store_b64 v[8:9], v[2:3], off
.LBB119_263:
	s_mov_b32 s17, 0
.LBB119_264:
	s_delay_alu instid0(SALU_CYCLE_1)
	s_and_not1_b32 vcc_lo, exec_lo, s17
	s_cbranch_vccnz .LBB119_266
; %bb.265:
	global_store_b32 v[8:9], v14, off
.LBB119_266:
	s_mov_b32 s17, 0
.LBB119_267:
	s_delay_alu instid0(SALU_CYCLE_1)
	s_and_not1_b32 vcc_lo, exec_lo, s17
	s_cbranch_vccnz .LBB119_276
; %bb.268:
	v_cmp_gt_i16_e32 vcc_lo, 6, v10
	s_mov_b32 s17, -1
	s_cbranch_vccnz .LBB119_274
; %bb.269:
	v_cmp_lt_i16_e32 vcc_lo, 6, v10
	s_cbranch_vccz .LBB119_271
; %bb.270:
	s_mov_b32 s17, 0
	global_store_b64 v[8:9], v[0:1], off
.LBB119_271:
	s_and_not1_b32 vcc_lo, exec_lo, s17
	s_cbranch_vccnz .LBB119_273
; %bb.272:
	v_mov_b32_e32 v2, s25
	global_store_b32 v[8:9], v2, off
.LBB119_273:
	s_mov_b32 s17, 0
.LBB119_274:
	s_delay_alu instid0(SALU_CYCLE_1)
	s_and_not1_b32 vcc_lo, exec_lo, s17
	s_cbranch_vccnz .LBB119_276
; %bb.275:
	global_store_b16 v[8:9], v13, off
.LBB119_276:
	s_mov_b32 s17, 0
.LBB119_277:
	s_delay_alu instid0(SALU_CYCLE_1)
	s_and_not1_b32 vcc_lo, exec_lo, s17
	s_cbranch_vccnz .LBB119_293
; %bb.278:
	v_cmp_gt_i16_e32 vcc_lo, 2, v10
	s_mov_b32 s17, -1
	s_cbranch_vccnz .LBB119_288
; %bb.279:
	v_cmp_gt_i16_e32 vcc_lo, 3, v10
	s_cbranch_vccnz .LBB119_285
; %bb.280:
	v_cmp_lt_i16_e32 vcc_lo, 3, v10
	s_cbranch_vccz .LBB119_282
; %bb.281:
	s_mov_b32 s17, 0
	global_store_b64 v[8:9], v[4:5], off
.LBB119_282:
	s_and_not1_b32 vcc_lo, exec_lo, s17
	s_cbranch_vccnz .LBB119_284
; %bb.283:
	global_store_b32 v[8:9], v11, off
.LBB119_284:
	s_mov_b32 s17, 0
.LBB119_285:
	s_delay_alu instid0(SALU_CYCLE_1)
	s_and_not1_b32 vcc_lo, exec_lo, s17
	s_cbranch_vccnz .LBB119_287
; %bb.286:
	global_store_b16 v[8:9], v11, off
.LBB119_287:
	s_mov_b32 s17, 0
.LBB119_288:
	s_delay_alu instid0(SALU_CYCLE_1)
	s_and_not1_b32 vcc_lo, exec_lo, s17
	s_cbranch_vccnz .LBB119_293
; %bb.289:
	v_cmp_lt_i16_e32 vcc_lo, 0, v10
	s_mov_b32 s17, -1
	s_cbranch_vccz .LBB119_291
; %bb.290:
	s_mov_b32 s17, 0
	global_store_b8 v[8:9], v11, off
.LBB119_291:
	s_and_not1_b32 vcc_lo, exec_lo, s17
	s_cbranch_vccnz .LBB119_293
; %bb.292:
	global_store_b8 v[8:9], v4, off
.LBB119_293:
	s_branch .LBB119_360
.LBB119_294:
	s_mov_b32 s17, 0
                                        ; implicit-def: $vgpr12
	s_branch .LBB119_361
.LBB119_295:
	s_mov_b32 s16, s44
	s_branch .LBB119_336
.LBB119_296:
	s_mov_b32 s16, s44
	s_branch .LBB119_322
.LBB119_297:
	s_mov_b32 s16, s44
	s_branch .LBB119_318
.LBB119_298:
	s_mov_b32 s9, -1
	s_mov_b32 s8, 0
                                        ; implicit-def: $vgpr6
.LBB119_299:
	s_and_not1_b32 vcc_lo, exec_lo, s9
                                        ; implicit-def: $sgpr9
	s_cbranch_vccnz .LBB119_301
; %bb.300:
	v_add_f32_e64 v6, 0x46000000, |s5|
	s_mov_b32 s9, 0
	s_delay_alu instid0(VALU_DEP_1) | instskip(NEXT) | instid1(VALU_DEP_1)
	v_and_b32_e32 v6, 0xff, v6
	v_cmp_ne_u32_e64 s8, 0, v6
.LBB119_301:
	v_mov_b32_e32 v7, s9
	s_delay_alu instid0(VALU_DEP_2)
	s_and_not1_b32 vcc_lo, exec_lo, s8
	s_cbranch_vccnz .LBB119_303
; %bb.302:
	s_lshr_b32 s5, s5, 24
	s_delay_alu instid0(SALU_CYCLE_1) | instskip(NEXT) | instid1(SALU_CYCLE_1)
	s_and_b32 s5, s5, 0x80
	v_or_b32_e32 v7, s5, v6
.LBB119_303:
	global_store_b8 v[3:4], v7, off
.LBB119_304:
	s_mov_b32 s5, -1
.LBB119_305:
	s_mov_b32 s8, 0
.LBB119_306:
	s_delay_alu instid0(SALU_CYCLE_1)
	s_and_b32 vcc_lo, exec_lo, s8
	s_cbranch_vccz .LBB119_457
; %bb.307:
	v_cmp_lt_i16_e32 vcc_lo, 22, v5
	s_mov_b32 s4, -1
	s_cbranch_vccz .LBB119_450
; %bb.308:
	v_cmp_gt_i16_e32 vcc_lo, 24, v5
	s_cbranch_vccnz .LBB119_447
; %bb.309:
	v_cmp_lt_i16_e32 vcc_lo, 24, v5
	s_cbranch_vccz .LBB119_434
; %bb.310:
	s_lshl_b32 s4, s2, 8
	s_lshl_b32 s5, s2, 25
	s_and_b32 s4, s4, 0x7f00
	s_lshr_b32 s8, s5, 4
	s_or_b32 s4, s4, 0.5
	s_or_b32 s8, s8, 0x70000000
	v_add_f32_e64 v6, s4, -0.5
	v_mul_f32_e64 v7, 0x7800000, s8
	s_cmp_lt_u32 s5, 0x8000000
	s_cselect_b32 vcc_lo, -1, 0
	s_lshl_b32 s5, s2, 24
	s_delay_alu instid0(VALU_DEP_1) | instskip(SKIP_1) | instid1(VALU_DEP_1)
	v_dual_cndmask_b32 v6, v7, v6 :: v_dual_mov_b32 v7, 0x80
	s_and_b32 s5, s5, 0x80000000
	v_readfirstlane_b32 s4, v6
	s_delay_alu instid0(VALU_DEP_1) | instskip(NEXT) | instid1(SALU_CYCLE_1)
	s_or_b32 s4, s5, s4
	s_and_b32 s5, s4, 0x7fffffff
	s_delay_alu instid0(SALU_CYCLE_1)
	s_cmp_gt_u32 s5, 0x477fffff
	s_cbranch_scc1 .LBB119_433
; %bb.311:
	s_cmp_gt_u32 s5, 0x37ffffff
	s_cbranch_scc0 .LBB119_428
; %bb.312:
	v_bfe_u32 v6, v6, 21, 1
	s_mov_b32 s8, 0
	s_mov_b32 s5, -1
	s_delay_alu instid0(VALU_DEP_1) | instskip(NEXT) | instid1(VALU_DEP_1)
	v_add_nc_u32_e32 v6, s4, v6
	v_add_nc_u32_e32 v6, 0x88fffff, v6
	s_delay_alu instid0(VALU_DEP_1)
	v_lshrrev_b32_e32 v6, 21, v6
	s_branch .LBB119_429
.LBB119_313:
	s_mov_b32 s16, s44
.LBB119_314:
	s_and_b32 vcc_lo, exec_lo, s18
	s_cbranch_vccz .LBB119_317
; %bb.315:
	v_cmp_eq_u16_e32 vcc_lo, 44, v10
	s_mov_b32 s16, -1
	s_cbranch_vccz .LBB119_317
; %bb.316:
	v_cndmask_b32_e64 v2, v21, 0xff, s3
	s_mov_b32 s17, -1
	s_mov_b32 s16, 0
	global_store_b8 v[8:9], v2, off
.LBB119_317:
	s_mov_b32 s18, 0
.LBB119_318:
	s_delay_alu instid0(SALU_CYCLE_1)
	s_and_b32 vcc_lo, exec_lo, s18
	s_cbranch_vccz .LBB119_321
; %bb.319:
	v_cmp_eq_u16_e32 vcc_lo, 29, v10
	s_mov_b32 s16, -1
	s_cbranch_vccz .LBB119_321
; %bb.320:
	s_mov_b32 s17, -1
	s_mov_b32 s16, 0
	global_store_b64 v[8:9], v[6:7], off
.LBB119_321:
	s_mov_b32 s18, 0
.LBB119_322:
	s_delay_alu instid0(SALU_CYCLE_1)
	s_and_b32 vcc_lo, exec_lo, s18
	s_cbranch_vccz .LBB119_335
; %bb.323:
	v_cmp_gt_i16_e32 vcc_lo, 27, v10
	s_mov_b32 s17, -1
	s_cbranch_vccnz .LBB119_329
; %bb.324:
	v_cmp_lt_i16_e32 vcc_lo, 27, v10
	s_cbranch_vccz .LBB119_326
; %bb.325:
	s_mov_b32 s17, 0
	global_store_b32 v[8:9], v20, off
.LBB119_326:
	s_and_not1_b32 vcc_lo, exec_lo, s17
	s_cbranch_vccnz .LBB119_328
; %bb.327:
	global_store_b16 v[8:9], v20, off
.LBB119_328:
	s_mov_b32 s17, 0
.LBB119_329:
	s_delay_alu instid0(SALU_CYCLE_1)
	s_and_not1_b32 vcc_lo, exec_lo, s17
	s_cbranch_vccnz .LBB119_334
; %bb.330:
	v_mov_b32_e32 v2, 0x80
	s_and_not1_b32 vcc_lo, exec_lo, s38
	s_cbranch_vccnz .LBB119_333
; %bb.331:
	v_mov_b32_e32 v2, 0
	s_or_b32 s17, s36, s39
	s_delay_alu instid0(SALU_CYCLE_1)
	s_and_not1_b32 vcc_lo, exec_lo, s17
	s_cbranch_vccnz .LBB119_333
; %bb.332:
	v_cndmask_b32_e64 v2, v19, s37, s36
	s_delay_alu instid0(VALU_DEP_1)
	v_or_b32_e32 v2, s27, v2
.LBB119_333:
	global_store_b8 v[8:9], v2, off
.LBB119_334:
	s_mov_b32 s17, -1
.LBB119_335:
	s_mov_b32 s18, 0
.LBB119_336:
	s_delay_alu instid0(SALU_CYCLE_1)
	s_and_b32 vcc_lo, exec_lo, s18
	s_cbranch_vccz .LBB119_358
; %bb.337:
	v_cmp_lt_i16_e32 vcc_lo, 22, v10
	s_mov_b32 s18, -1
	s_cbranch_vccz .LBB119_350
; %bb.338:
	v_cmp_gt_i16_e32 vcc_lo, 24, v10
	s_mov_b32 s17, -1
	s_cbranch_vccnz .LBB119_347
; %bb.339:
	v_cmp_lt_i16_e32 vcc_lo, 24, v10
	s_cbranch_vccz .LBB119_344
; %bb.340:
	v_mov_b32_e32 v2, 0x80
	s_and_not1_b32 vcc_lo, exec_lo, s33
	s_cbranch_vccnz .LBB119_343
; %bb.341:
	v_mov_b32_e32 v2, 0
	s_or_b32 s17, s2, s34
	s_delay_alu instid0(SALU_CYCLE_1)
	s_and_not1_b32 vcc_lo, exec_lo, s17
	s_cbranch_vccnz .LBB119_343
; %bb.342:
	v_cndmask_b32_e64 v2, v17, v18, s2
	s_delay_alu instid0(VALU_DEP_1)
	v_or_b32_e32 v2, s27, v2
.LBB119_343:
	s_mov_b32 s17, 0
	global_store_b8 v[8:9], v2, off
.LBB119_344:
	s_and_b32 vcc_lo, exec_lo, s17
	s_cbranch_vccz .LBB119_346
; %bb.345:
	s_and_b32 s17, s29, exec_lo
	s_cselect_b32 s17, s31, s30
	s_and_b32 s18, s28, exec_lo
	s_cselect_b32 s17, s35, s17
	s_delay_alu instid0(SALU_CYCLE_1) | instskip(NEXT) | instid1(SALU_CYCLE_1)
	s_or_b32 s17, s17, s27
	v_mov_b32_e32 v2, s17
	global_store_b8 v[8:9], v2, off
.LBB119_346:
	s_mov_b32 s17, 0
.LBB119_347:
	s_delay_alu instid0(SALU_CYCLE_1)
	s_and_not1_b32 vcc_lo, exec_lo, s17
	s_cbranch_vccnz .LBB119_349
; %bb.348:
	v_mov_b32_e32 v2, s26
	global_store_b8 v[8:9], v2, off
.LBB119_349:
	s_mov_b32 s18, 0
	s_mov_b32 s17, -1
.LBB119_350:
	s_and_not1_b32 vcc_lo, exec_lo, s18
	s_cbranch_vccnz .LBB119_358
; %bb.351:
	v_cmp_lt_i16_e32 vcc_lo, 14, v10
	s_mov_b32 s18, -1
	s_cbranch_vccz .LBB119_355
; %bb.352:
	v_cmp_eq_u16_e32 vcc_lo, 15, v10
	s_mov_b32 s16, -1
	s_cbranch_vccz .LBB119_354
; %bb.353:
	s_mov_b32 s17, -1
	s_mov_b32 s16, 0
	global_store_b16 v[8:9], v16, off
.LBB119_354:
	s_mov_b32 s18, 0
.LBB119_355:
	s_delay_alu instid0(SALU_CYCLE_1)
	s_and_b32 vcc_lo, exec_lo, s18
	s_cbranch_vccz .LBB119_358
; %bb.356:
	v_cmp_eq_u16_e32 vcc_lo, 11, v10
	s_mov_b32 s16, -1
	s_cbranch_vccz .LBB119_358
; %bb.357:
	s_mov_b32 s17, -1
	s_mov_b32 s16, 0
	global_store_b8 v[8:9], v15, off
.LBB119_358:
.LBB119_359:
	s_and_not1_b32 vcc_lo, exec_lo, s17
	s_cbranch_vccnz .LBB119_294
.LBB119_360:
	v_add_nc_u32_e32 v12, 0x80, v12
	s_mov_b32 s17, -1
.LBB119_361:
	s_and_not1_b32 s18, s44, exec_lo
	s_and_b32 s16, s16, exec_lo
	s_delay_alu instid0(SALU_CYCLE_1)
	s_or_b32 s46, s18, s16
	s_or_not1_b32 s18, s17, exec_lo
.LBB119_362:
	s_or_b32 exec_lo, exec_lo, s47
	s_mov_b32 s16, 0
	s_mov_b32 s17, 0
                                        ; implicit-def: $vgpr8_vgpr9
	s_and_saveexec_b32 s47, s18
	s_cbranch_execz .LBB119_666
; %bb.363:
	s_mov_b32 s49, -1
	s_mov_b32 s18, s46
	s_mov_b32 s48, exec_lo
	v_cmpx_gt_i32_e64 s41, v12
	s_cbranch_execz .LBB119_597
; %bb.364:
	s_and_not1_b32 vcc_lo, exec_lo, s23
	s_cbranch_vccnz .LBB119_369
; %bb.365:
	v_mov_b32_e32 v2, 0
	s_and_not1_b32 vcc_lo, exec_lo, s43
	s_cbranch_vccnz .LBB119_374
; %bb.366:
	s_add_i32 s50, s42, 1
	s_cmp_eq_u32 s21, 2
	s_mov_b32 s49, 0
	s_cbranch_scc1 .LBB119_370
; %bb.367:
	v_dual_mov_b32 v2, 0 :: v_dual_mov_b32 v3, v12
	s_and_b32 s49, s50, 28
	s_mov_b32 s51, 0
	s_mov_b64 s[16:17], s[0:1]
	s_mov_b64 s[18:19], s[14:15]
.LBB119_368:                            ; =>This Inner Loop Header: Depth=1
	s_clause 0x1
	s_load_b256 s[52:59], s[16:17], 0x4
	s_load_b128 s[60:63], s[16:17], 0x24
	s_load_b128 s[64:67], s[18:19], 0x0
	s_add_u32 s16, s16, 48
	s_addc_u32 s17, s17, 0
	s_add_i32 s51, s51, 4
	s_add_u32 s18, s18, 16
	s_addc_u32 s19, s19, 0
	s_cmp_eq_u32 s49, s51
	s_waitcnt lgkmcnt(0)
	v_mul_hi_u32 v8, s53, v3
	s_delay_alu instid0(VALU_DEP_1) | instskip(NEXT) | instid1(VALU_DEP_1)
	v_add_nc_u32_e32 v8, v3, v8
	v_lshrrev_b32_e32 v8, s54, v8
	s_delay_alu instid0(VALU_DEP_1) | instskip(SKIP_1) | instid1(VALU_DEP_2)
	v_mul_hi_u32 v9, s56, v8
	v_mul_lo_u32 v24, v8, s52
	v_add_nc_u32_e32 v9, v8, v9
	s_delay_alu instid0(VALU_DEP_2) | instskip(NEXT) | instid1(VALU_DEP_2)
	v_sub_nc_u32_e32 v24, v3, v24
	v_lshrrev_b32_e32 v9, s57, v9
	s_delay_alu instid0(VALU_DEP_2) | instskip(NEXT) | instid1(VALU_DEP_2)
	v_mul_lo_u32 v24, v24, s64
	v_mul_hi_u32 v22, s59, v9
	v_mul_lo_u32 v25, v9, s55
	s_delay_alu instid0(VALU_DEP_2) | instskip(NEXT) | instid1(VALU_DEP_2)
	v_add_nc_u32_e32 v22, v9, v22
	v_sub_nc_u32_e32 v8, v8, v25
	s_delay_alu instid0(VALU_DEP_2) | instskip(NEXT) | instid1(VALU_DEP_2)
	v_lshrrev_b32_e32 v22, s60, v22
	v_mul_lo_u32 v8, v8, s65
	s_delay_alu instid0(VALU_DEP_2) | instskip(NEXT) | instid1(VALU_DEP_2)
	v_mul_hi_u32 v23, s62, v22
	v_add3_u32 v2, v24, v2, v8
	s_delay_alu instid0(VALU_DEP_2) | instskip(NEXT) | instid1(VALU_DEP_1)
	v_add_nc_u32_e32 v23, v22, v23
	v_lshrrev_b32_e32 v3, s63, v23
	v_mul_lo_u32 v23, v22, s58
	s_delay_alu instid0(VALU_DEP_2) | instskip(NEXT) | instid1(VALU_DEP_2)
	v_mul_lo_u32 v26, v3, s61
	v_sub_nc_u32_e32 v9, v9, v23
	s_delay_alu instid0(VALU_DEP_2) | instskip(NEXT) | instid1(VALU_DEP_2)
	v_sub_nc_u32_e32 v22, v22, v26
	v_mul_lo_u32 v9, v9, s66
	s_delay_alu instid0(VALU_DEP_2) | instskip(NEXT) | instid1(VALU_DEP_1)
	v_mul_lo_u32 v22, v22, s67
	v_add3_u32 v2, v9, v2, v22
	s_cbranch_scc0 .LBB119_368
	s_branch .LBB119_371
.LBB119_369:
	s_mov_b32 s16, -1
                                        ; implicit-def: $vgpr2
	s_branch .LBB119_375
.LBB119_370:
	v_mov_b32_e32 v3, v12
.LBB119_371:
	s_and_b32 s50, s50, 3
	s_delay_alu instid0(SALU_CYCLE_1)
	s_cmp_eq_u32 s50, 0
	s_cbranch_scc1 .LBB119_374
; %bb.372:
	s_lshl_b32 s16, s49, 2
	s_mul_i32 s18, s49, 12
	s_add_u32 s16, s16, s0
	s_addc_u32 s17, s1, 0
	s_add_u32 s16, s16, 0xc4
	s_addc_u32 s17, s17, 0
	;; [unrolled: 2-line block ×3, first 2 shown]
	.p2align	6
.LBB119_373:                            ; =>This Inner Loop Header: Depth=1
	s_clause 0x1
	s_load_b64 s[52:53], s[18:19], 0x4
	s_load_b32 s49, s[18:19], 0xc
	s_load_b32 s51, s[16:17], 0x0
	s_add_u32 s18, s18, 12
	s_addc_u32 s19, s19, 0
	s_add_u32 s16, s16, 4
	s_addc_u32 s17, s17, 0
	s_add_i32 s50, s50, -1
	s_delay_alu instid0(SALU_CYCLE_1) | instskip(SKIP_2) | instid1(VALU_DEP_1)
	s_cmp_lg_u32 s50, 0
	s_waitcnt lgkmcnt(0)
	v_mul_hi_u32 v8, s53, v3
	v_add_nc_u32_e32 v8, v3, v8
	s_delay_alu instid0(VALU_DEP_1) | instskip(NEXT) | instid1(VALU_DEP_1)
	v_lshrrev_b32_e32 v22, s49, v8
	v_mul_lo_u32 v8, v22, s52
	s_delay_alu instid0(VALU_DEP_1) | instskip(NEXT) | instid1(VALU_DEP_1)
	v_sub_nc_u32_e32 v3, v3, v8
	v_mad_u64_u32 v[8:9], null, v3, s51, v[2:3]
	s_delay_alu instid0(VALU_DEP_1)
	v_dual_mov_b32 v3, v22 :: v_dual_mov_b32 v2, v8
	s_cbranch_scc1 .LBB119_373
.LBB119_374:
	s_mov_b32 s16, 0
.LBB119_375:
	s_delay_alu instid0(SALU_CYCLE_1)
	s_and_not1_b32 vcc_lo, exec_lo, s16
	s_cbranch_vccnz .LBB119_378
; %bb.376:
	s_waitcnt lgkmcnt(0)
	v_mul_hi_u32 v2, s5, v12
	s_and_not1_b32 vcc_lo, exec_lo, s40
	s_delay_alu instid0(VALU_DEP_1) | instskip(NEXT) | instid1(VALU_DEP_1)
	v_add_nc_u32_e32 v2, v12, v2
	v_lshrrev_b32_e32 v3, s6, v2
	s_delay_alu instid0(VALU_DEP_1) | instskip(NEXT) | instid1(VALU_DEP_1)
	v_mul_lo_u32 v2, v3, s4
	v_sub_nc_u32_e32 v2, v12, v2
	s_delay_alu instid0(VALU_DEP_1)
	v_mul_lo_u32 v2, v2, s10
	s_cbranch_vccnz .LBB119_378
; %bb.377:
	v_mul_hi_u32 v8, s12, v3
	s_delay_alu instid0(VALU_DEP_1) | instskip(NEXT) | instid1(VALU_DEP_1)
	v_add_nc_u32_e32 v8, v3, v8
	v_lshrrev_b32_e32 v8, s13, v8
	s_delay_alu instid0(VALU_DEP_1) | instskip(NEXT) | instid1(VALU_DEP_1)
	v_mul_lo_u32 v8, v8, s7
	v_sub_nc_u32_e32 v3, v3, v8
	s_delay_alu instid0(VALU_DEP_1) | instskip(NEXT) | instid1(VALU_DEP_1)
	v_mad_u64_u32 v[8:9], null, v3, s11, v[2:3]
	v_mov_b32_e32 v2, v8
.LBB119_378:
	v_cmp_gt_i16_e32 vcc_lo, 11, v10
	s_waitcnt lgkmcnt(0)
	s_delay_alu instid0(VALU_DEP_2) | instskip(NEXT) | instid1(VALU_DEP_1)
	v_add_co_u32 v8, s16, s8, v2
	v_add_co_ci_u32_e64 v9, null, s9, 0, s16
	s_mov_b32 s17, 0
	s_mov_b32 s18, -1
	s_mov_b32 s16, s46
	s_cbranch_vccnz .LBB119_385
; %bb.379:
	v_cmp_lt_i16_e32 vcc_lo, 25, v10
	s_cbranch_vccz .LBB119_425
; %bb.380:
	v_cmp_lt_i16_e32 vcc_lo, 28, v10
	s_cbranch_vccz .LBB119_426
	;; [unrolled: 3-line block ×4, first 2 shown]
; %bb.383:
	v_cmp_eq_u16_e32 vcc_lo, 46, v10
	s_mov_b32 s18, 0
	s_mov_b32 s16, -1
	s_cbranch_vccz .LBB119_549
; %bb.384:
	s_mov_b32 s17, -1
	s_mov_b32 s16, 0
	global_store_b32 v[8:9], v16, off
	s_branch .LBB119_549
.LBB119_385:
	s_and_b32 vcc_lo, exec_lo, s18
	s_cbranch_vccz .LBB119_594
; %bb.386:
	v_cmp_gt_i16_e32 vcc_lo, 5, v10
	s_mov_b32 s17, -1
	s_cbranch_vccnz .LBB119_407
; %bb.387:
	v_cmp_gt_i16_e32 vcc_lo, 8, v10
	s_cbranch_vccnz .LBB119_397
; %bb.388:
	v_cmp_gt_i16_e32 vcc_lo, 9, v10
	s_cbranch_vccnz .LBB119_394
; %bb.389:
	v_cmp_lt_i16_e32 vcc_lo, 9, v10
	s_cbranch_vccz .LBB119_391
; %bb.390:
	v_mov_b32_e32 v2, 0
	s_mov_b32 s17, 0
	s_delay_alu instid0(VALU_DEP_1)
	v_mov_b32_e32 v3, v2
	global_store_b128 v[8:9], v[0:3], off
.LBB119_391:
	s_and_not1_b32 vcc_lo, exec_lo, s17
	s_cbranch_vccnz .LBB119_393
; %bb.392:
	v_dual_mov_b32 v2, s25 :: v_dual_mov_b32 v3, 0
	global_store_b64 v[8:9], v[2:3], off
.LBB119_393:
	s_mov_b32 s17, 0
.LBB119_394:
	s_delay_alu instid0(SALU_CYCLE_1)
	s_and_not1_b32 vcc_lo, exec_lo, s17
	s_cbranch_vccnz .LBB119_396
; %bb.395:
	global_store_b32 v[8:9], v14, off
.LBB119_396:
	s_mov_b32 s17, 0
.LBB119_397:
	s_delay_alu instid0(SALU_CYCLE_1)
	s_and_not1_b32 vcc_lo, exec_lo, s17
	s_cbranch_vccnz .LBB119_406
; %bb.398:
	v_cmp_gt_i16_e32 vcc_lo, 6, v10
	s_mov_b32 s17, -1
	s_cbranch_vccnz .LBB119_404
; %bb.399:
	v_cmp_lt_i16_e32 vcc_lo, 6, v10
	s_cbranch_vccz .LBB119_401
; %bb.400:
	s_mov_b32 s17, 0
	global_store_b64 v[8:9], v[0:1], off
.LBB119_401:
	s_and_not1_b32 vcc_lo, exec_lo, s17
	s_cbranch_vccnz .LBB119_403
; %bb.402:
	v_mov_b32_e32 v2, s25
	global_store_b32 v[8:9], v2, off
.LBB119_403:
	s_mov_b32 s17, 0
.LBB119_404:
	s_delay_alu instid0(SALU_CYCLE_1)
	s_and_not1_b32 vcc_lo, exec_lo, s17
	s_cbranch_vccnz .LBB119_406
; %bb.405:
	global_store_b16 v[8:9], v13, off
.LBB119_406:
	s_mov_b32 s17, 0
.LBB119_407:
	s_delay_alu instid0(SALU_CYCLE_1)
	s_and_not1_b32 vcc_lo, exec_lo, s17
	s_cbranch_vccnz .LBB119_423
; %bb.408:
	v_cmp_gt_i16_e32 vcc_lo, 2, v10
	s_mov_b32 s17, -1
	s_cbranch_vccnz .LBB119_418
; %bb.409:
	v_cmp_gt_i16_e32 vcc_lo, 3, v10
	s_cbranch_vccnz .LBB119_415
; %bb.410:
	v_cmp_lt_i16_e32 vcc_lo, 3, v10
	s_cbranch_vccz .LBB119_412
; %bb.411:
	s_mov_b32 s17, 0
	global_store_b64 v[8:9], v[4:5], off
.LBB119_412:
	s_and_not1_b32 vcc_lo, exec_lo, s17
	s_cbranch_vccnz .LBB119_414
; %bb.413:
	global_store_b32 v[8:9], v11, off
.LBB119_414:
	s_mov_b32 s17, 0
.LBB119_415:
	s_delay_alu instid0(SALU_CYCLE_1)
	s_and_not1_b32 vcc_lo, exec_lo, s17
	s_cbranch_vccnz .LBB119_417
; %bb.416:
	global_store_b16 v[8:9], v11, off
.LBB119_417:
	s_mov_b32 s17, 0
.LBB119_418:
	s_delay_alu instid0(SALU_CYCLE_1)
	s_and_not1_b32 vcc_lo, exec_lo, s17
	s_cbranch_vccnz .LBB119_423
; %bb.419:
	v_cmp_lt_i16_e32 vcc_lo, 0, v10
	s_mov_b32 s17, -1
	s_cbranch_vccz .LBB119_421
; %bb.420:
	s_mov_b32 s17, 0
	global_store_b8 v[8:9], v11, off
.LBB119_421:
	s_and_not1_b32 vcc_lo, exec_lo, s17
	s_cbranch_vccnz .LBB119_423
; %bb.422:
	global_store_b8 v[8:9], v4, off
.LBB119_423:
	s_branch .LBB119_595
.LBB119_424:
	s_mov_b32 s17, 0
                                        ; implicit-def: $vgpr12
	s_branch .LBB119_596
.LBB119_425:
	s_mov_b32 s16, s46
	s_branch .LBB119_571
.LBB119_426:
	s_mov_b32 s16, s46
	s_branch .LBB119_557
.LBB119_427:
	s_mov_b32 s16, s46
	s_branch .LBB119_553
.LBB119_428:
	s_mov_b32 s8, -1
	s_mov_b32 s5, 0
                                        ; implicit-def: $vgpr6
.LBB119_429:
	s_and_not1_b32 vcc_lo, exec_lo, s8
                                        ; implicit-def: $sgpr8
	s_cbranch_vccnz .LBB119_431
; %bb.430:
	v_add_f32_e64 v6, 0x42800000, |s4|
	s_mov_b32 s8, 0
	s_delay_alu instid0(VALU_DEP_1) | instskip(NEXT) | instid1(VALU_DEP_1)
	v_and_b32_e32 v6, 0xff, v6
	v_cmp_ne_u32_e64 s5, 0, v6
.LBB119_431:
	v_mov_b32_e32 v7, s8
	s_delay_alu instid0(VALU_DEP_2)
	s_and_not1_b32 vcc_lo, exec_lo, s5
	s_cbranch_vccnz .LBB119_433
; %bb.432:
	s_lshr_b32 s4, s4, 24
	s_delay_alu instid0(SALU_CYCLE_1) | instskip(NEXT) | instid1(SALU_CYCLE_1)
	s_and_b32 s4, s4, 0x80
	v_or_b32_e32 v7, s4, v6
.LBB119_433:
	s_mov_b32 s4, 0
	global_store_b8 v[3:4], v7, off
.LBB119_434:
	s_and_b32 vcc_lo, exec_lo, s4
	s_cbranch_vccz .LBB119_446
; %bb.435:
	s_lshl_b32 s4, s2, 8
	s_lshl_b32 s5, s2, 25
	s_and_b32 s4, s4, 0x7f00
	s_lshr_b32 s8, s5, 4
	s_or_b32 s4, s4, 0.5
	s_or_b32 s8, s8, 0x70000000
	v_add_f32_e64 v6, s4, -0.5
	v_mul_f32_e64 v7, 0x7800000, s8
	s_cmp_lt_u32 s5, 0x8000000
	s_cselect_b32 vcc_lo, -1, 0
	s_lshl_b32 s4, s2, 24
	s_delay_alu instid0(VALU_DEP_1) | instskip(SKIP_1) | instid1(VALU_DEP_1)
	v_cndmask_b32_e32 v6, v7, v6, vcc_lo
	s_and_b32 s4, s4, 0x80000000
	v_readfirstlane_b32 s8, v6
	s_delay_alu instid0(VALU_DEP_1) | instskip(NEXT) | instid1(SALU_CYCLE_1)
	s_or_b32 s4, s4, s8
	s_and_b32 s5, s4, 0x7fffffff
	s_delay_alu instid0(SALU_CYCLE_1)
	s_cmp_lt_u32 s5, 0x43f00000
	s_cbranch_scc0 .LBB119_438
; %bb.436:
	s_cmp_gt_u32 s5, 0x3c7fffff
	s_cbranch_scc0 .LBB119_439
; %bb.437:
	s_bfe_u32 s8, s8, 0x10014
	s_delay_alu instid0(SALU_CYCLE_1) | instskip(NEXT) | instid1(SALU_CYCLE_1)
	s_add_i32 s8, s4, s8
	s_add_i32 s8, s8, 0x407ffff
	s_delay_alu instid0(SALU_CYCLE_1)
	s_and_b32 s9, s8, 0xff00000
	s_lshr_b32 s8, s8, 20
	s_cmp_lg_u32 s9, 0x7f00000
	s_cselect_b32 s9, s8, 0x7e
	s_mov_b32 s8, 0
	s_branch .LBB119_440
.LBB119_438:
	s_mov_b32 s8, -1
                                        ; implicit-def: $vgpr6
	s_branch .LBB119_443
.LBB119_439:
	s_mov_b32 s8, -1
                                        ; implicit-def: $sgpr9
.LBB119_440:
	v_mov_b32_e32 v6, s9
	s_and_not1_b32 vcc_lo, exec_lo, s8
	s_cbranch_vccnz .LBB119_442
; %bb.441:
	v_add_f32_e64 v6, 0x46800000, |s4|
.LBB119_442:
	s_mov_b32 s8, 0
.LBB119_443:
	s_delay_alu instid0(SALU_CYCLE_1)
	s_and_not1_b32 vcc_lo, exec_lo, s8
	s_cbranch_vccnz .LBB119_445
; %bb.444:
	s_cmp_gt_u32 s5, 0x7f800000
	s_movk_i32 s5, 0x7f
	s_delay_alu instid0(SALU_CYCLE_1) | instskip(NEXT) | instid1(SALU_CYCLE_1)
	s_cselect_b32 s5, s5, 0x7e
	v_mov_b32_e32 v6, s5
.LBB119_445:
	s_lshr_b32 s4, s4, 24
	s_delay_alu instid0(SALU_CYCLE_1)
	s_and_b32 s4, s4, 0x80
	s_delay_alu instid0(VALU_DEP_1) | instid1(SALU_CYCLE_1)
	v_or_b32_e32 v6, s4, v6
	global_store_b8 v[3:4], v6, off
.LBB119_446:
	s_mov_b32 s4, 0
.LBB119_447:
	s_delay_alu instid0(SALU_CYCLE_1)
	s_and_not1_b32 vcc_lo, exec_lo, s4
	s_cbranch_vccnz .LBB119_449
; %bb.448:
	v_mov_b32_e32 v6, s2
	global_store_b8 v[3:4], v6, off
.LBB119_449:
	s_mov_b32 s4, 0
	s_mov_b32 s5, -1
.LBB119_450:
	s_and_not1_b32 vcc_lo, exec_lo, s4
	s_mov_b32 s4, 0
	s_cbranch_vccnz .LBB119_457
; %bb.451:
	v_cmp_lt_i16_e32 vcc_lo, 14, v5
	s_mov_b32 s4, -1
	s_cbranch_vccz .LBB119_455
; %bb.452:
	v_cmp_eq_u16_e32 vcc_lo, 15, v5
	s_mov_b32 s3, -1
	s_cbranch_vccz .LBB119_454
; %bb.453:
	s_lshl_b32 s3, s2, 8
	s_lshl_b32 s4, s2, 25
	s_and_b32 s3, s3, 0x7f00
	s_lshr_b32 s5, s4, 4
	s_or_b32 s3, s3, 0.5
	s_or_b32 s5, s5, 0x70000000
	v_add_f32_e64 v6, s3, -0.5
	v_mul_f32_e64 v7, 0x7800000, s5
	s_cmp_lt_u32 s4, 0x8000000
	s_mov_b32 s5, -1
	s_cselect_b32 vcc_lo, -1, 0
	s_lshl_b32 s3, s2, 24
	v_cndmask_b32_e32 v6, v7, v6, vcc_lo
	s_and_b32 s3, s3, 0x80000000
	s_delay_alu instid0(VALU_DEP_1) | instid1(SALU_CYCLE_1)
	v_or_b32_e32 v7, s3, v6
	v_bfe_u32 v6, v6, 16, 1
	s_mov_b32 s3, 0
	s_delay_alu instid0(VALU_DEP_2) | instskip(NEXT) | instid1(VALU_DEP_2)
	v_cmp_o_f32_e32 vcc_lo, v7, v7
	v_add_nc_u32_e32 v6, v7, v6
	s_delay_alu instid0(VALU_DEP_1) | instskip(NEXT) | instid1(VALU_DEP_1)
	v_add_nc_u32_e32 v6, 0x7fff, v6
	v_lshrrev_b32_e32 v6, 16, v6
	s_delay_alu instid0(VALU_DEP_1)
	v_cndmask_b32_e32 v6, 0x7fc0, v6, vcc_lo
	global_store_b16 v[3:4], v6, off
.LBB119_454:
	s_mov_b32 s4, 0
.LBB119_455:
	s_delay_alu instid0(SALU_CYCLE_1)
	s_and_b32 vcc_lo, exec_lo, s4
	s_mov_b32 s4, 0
	s_cbranch_vccz .LBB119_457
; %bb.456:
	v_cmp_ne_u16_e64 s3, 11, v5
	s_mov_b32 s4, -1
.LBB119_457:
	s_delay_alu instid0(VALU_DEP_1)
	s_and_b32 vcc_lo, exec_lo, s3
	s_mov_b32 s3, s6
	s_cbranch_vccnz .LBB119_529
; %bb.458:
	s_and_not1_b32 vcc_lo, exec_lo, s4
	s_cbranch_vccnz .LBB119_460
.LBB119_459:
	s_lshl_b32 s4, s2, 8
	s_lshl_b32 s5, s2, 25
	s_and_b32 s4, s4, 0x7f00
	s_lshr_b32 s8, s5, 4
	s_or_b32 s4, s4, 0.5
	s_or_b32 s8, s8, 0x70000000
	v_add_f32_e64 v6, s4, -0.5
	v_mul_f32_e64 v7, 0x7800000, s8
	s_cmp_lt_u32 s5, 0x8000000
	s_mov_b32 s5, -1
	s_cselect_b32 vcc_lo, -1, 0
	s_delay_alu instid0(VALU_DEP_1) | instskip(NEXT) | instid1(VALU_DEP_1)
	v_cndmask_b32_e32 v6, v7, v6, vcc_lo
	v_cmp_neq_f32_e32 vcc_lo, 0, v6
	v_cndmask_b32_e64 v6, 0, 1, vcc_lo
	global_store_b8 v[3:4], v6, off
.LBB119_460:
	s_mov_b32 s4, 0
.LBB119_461:
	s_delay_alu instid0(SALU_CYCLE_1)
	s_and_b32 vcc_lo, exec_lo, s4
	s_cbranch_vccz .LBB119_500
; %bb.462:
	v_cmp_gt_i16_e32 vcc_lo, 5, v5
	s_mov_b32 s4, -1
	s_cbranch_vccnz .LBB119_483
; %bb.463:
	v_cmp_gt_i16_e32 vcc_lo, 8, v5
	s_cbranch_vccnz .LBB119_473
; %bb.464:
	v_cmp_gt_i16_e32 vcc_lo, 9, v5
	s_cbranch_vccnz .LBB119_470
; %bb.465:
	v_cmp_lt_i16_e32 vcc_lo, 9, v5
	s_cbranch_vccz .LBB119_467
; %bb.466:
	s_lshl_b32 s4, s2, 8
	s_lshl_b32 s5, s2, 25
	s_and_b32 s4, s4, 0x7f00
	s_lshr_b32 s8, s5, 4
	s_or_b32 s4, s4, 0.5
	s_or_b32 s8, s8, 0x70000000
	v_add_f32_e64 v6, s4, -0.5
	v_mul_f32_e64 v7, 0x7800000, s8
	s_cmp_lt_u32 s5, 0x8000000
	v_mov_b32_e32 v8, 0
	s_cselect_b32 vcc_lo, -1, 0
	s_lshl_b32 s4, s2, 24
	v_cndmask_b32_e32 v6, v7, v6, vcc_lo
	s_and_b32 s4, s4, 0x80000000
	v_mov_b32_e32 v9, v8
	s_delay_alu instid0(VALU_DEP_2) | instskip(SKIP_1) | instid1(VALU_DEP_1)
	v_or_b32_e32 v6, s4, v6
	s_mov_b32 s4, 0
	v_cvt_f64_f32_e32 v[6:7], v6
	global_store_b128 v[3:4], v[6:9], off
.LBB119_467:
	s_and_not1_b32 vcc_lo, exec_lo, s4
	s_cbranch_vccnz .LBB119_469
; %bb.468:
	s_lshl_b32 s4, s2, 8
	s_lshl_b32 s5, s2, 25
	s_and_b32 s4, s4, 0x7f00
	s_lshr_b32 s8, s5, 4
	s_or_b32 s4, s4, 0.5
	s_or_b32 s8, s8, 0x70000000
	v_add_f32_e64 v6, s4, -0.5
	v_mul_f32_e64 v7, 0x7800000, s8
	s_cmp_lt_u32 s5, 0x8000000
	s_cselect_b32 vcc_lo, -1, 0
	s_lshl_b32 s4, s2, 24
	s_delay_alu instid0(VALU_DEP_1)
	v_dual_cndmask_b32 v6, v7, v6 :: v_dual_mov_b32 v7, 0
	s_and_b32 s4, s4, 0x80000000
	s_delay_alu instid0(VALU_DEP_1) | instid1(SALU_CYCLE_1)
	v_or_b32_e32 v6, s4, v6
	global_store_b64 v[3:4], v[6:7], off
.LBB119_469:
	s_mov_b32 s4, 0
.LBB119_470:
	s_delay_alu instid0(SALU_CYCLE_1)
	s_and_not1_b32 vcc_lo, exec_lo, s4
	s_cbranch_vccnz .LBB119_472
; %bb.471:
	s_lshl_b32 s4, s2, 8
	s_lshl_b32 s5, s2, 25
	s_and_b32 s4, s4, 0x7f00
	s_lshr_b32 s8, s5, 4
	s_or_b32 s4, s4, 0.5
	s_or_b32 s8, s8, 0x70000000
	v_add_f32_e64 v6, s4, -0.5
	v_mul_f32_e64 v7, 0x7800000, s8
	s_cmp_lt_u32 s5, 0x8000000
	s_cselect_b32 vcc_lo, -1, 0
	s_lshl_b32 s4, s2, 24
	s_delay_alu instid0(VALU_DEP_1)
	v_cndmask_b32_e32 v6, v7, v6, vcc_lo
	s_and_b32 s4, s4, 0x80000000
	s_delay_alu instid0(VALU_DEP_1) | instid1(SALU_CYCLE_1)
	v_or_b32_e32 v6, s4, v6
	s_delay_alu instid0(VALU_DEP_1) | instskip(NEXT) | instid1(VALU_DEP_1)
	v_cvt_f16_f32_e32 v6, v6
	v_and_b32_e32 v6, 0xffff, v6
	global_store_b32 v[3:4], v6, off
.LBB119_472:
	s_mov_b32 s4, 0
.LBB119_473:
	s_delay_alu instid0(SALU_CYCLE_1)
	s_and_not1_b32 vcc_lo, exec_lo, s4
	s_cbranch_vccnz .LBB119_482
; %bb.474:
	v_cmp_gt_i16_e32 vcc_lo, 6, v5
	s_mov_b32 s4, -1
	s_cbranch_vccnz .LBB119_480
; %bb.475:
	v_cmp_lt_i16_e32 vcc_lo, 6, v5
	s_cbranch_vccz .LBB119_477
; %bb.476:
	s_lshl_b32 s4, s2, 8
	s_lshl_b32 s5, s2, 25
	s_and_b32 s4, s4, 0x7f00
	s_lshr_b32 s8, s5, 4
	s_or_b32 s4, s4, 0.5
	s_or_b32 s8, s8, 0x70000000
	v_add_f32_e64 v6, s4, -0.5
	v_mul_f32_e64 v7, 0x7800000, s8
	s_cmp_lt_u32 s5, 0x8000000
	s_cselect_b32 vcc_lo, -1, 0
	s_lshl_b32 s4, s2, 24
	s_delay_alu instid0(VALU_DEP_1)
	v_cndmask_b32_e32 v6, v7, v6, vcc_lo
	s_and_b32 s4, s4, 0x80000000
	s_delay_alu instid0(VALU_DEP_1) | instid1(SALU_CYCLE_1)
	v_or_b32_e32 v6, s4, v6
	s_mov_b32 s4, 0
	s_delay_alu instid0(VALU_DEP_1)
	v_cvt_f64_f32_e32 v[6:7], v6
	global_store_b64 v[3:4], v[6:7], off
.LBB119_477:
	s_and_not1_b32 vcc_lo, exec_lo, s4
	s_cbranch_vccnz .LBB119_479
; %bb.478:
	s_lshl_b32 s4, s2, 8
	s_lshl_b32 s5, s2, 25
	s_and_b32 s4, s4, 0x7f00
	s_lshr_b32 s8, s5, 4
	s_or_b32 s4, s4, 0.5
	s_or_b32 s8, s8, 0x70000000
	v_add_f32_e64 v6, s4, -0.5
	v_mul_f32_e64 v7, 0x7800000, s8
	s_cmp_lt_u32 s5, 0x8000000
	s_cselect_b32 vcc_lo, -1, 0
	s_lshl_b32 s4, s2, 24
	s_delay_alu instid0(VALU_DEP_1)
	v_cndmask_b32_e32 v6, v7, v6, vcc_lo
	s_and_b32 s4, s4, 0x80000000
	s_delay_alu instid0(VALU_DEP_1) | instid1(SALU_CYCLE_1)
	v_or_b32_e32 v6, s4, v6
	global_store_b32 v[3:4], v6, off
.LBB119_479:
	s_mov_b32 s4, 0
.LBB119_480:
	s_delay_alu instid0(SALU_CYCLE_1)
	s_and_not1_b32 vcc_lo, exec_lo, s4
	s_cbranch_vccnz .LBB119_482
; %bb.481:
	s_lshl_b32 s4, s2, 8
	s_lshl_b32 s5, s2, 25
	s_and_b32 s4, s4, 0x7f00
	s_lshr_b32 s8, s5, 4
	s_or_b32 s4, s4, 0.5
	s_or_b32 s8, s8, 0x70000000
	v_add_f32_e64 v6, s4, -0.5
	v_mul_f32_e64 v7, 0x7800000, s8
	s_cmp_lt_u32 s5, 0x8000000
	s_cselect_b32 vcc_lo, -1, 0
	s_lshl_b32 s4, s2, 24
	s_delay_alu instid0(VALU_DEP_1)
	v_cndmask_b32_e32 v6, v7, v6, vcc_lo
	s_and_b32 s4, s4, 0x80000000
	s_delay_alu instid0(VALU_DEP_1) | instid1(SALU_CYCLE_1)
	v_or_b32_e32 v6, s4, v6
	s_delay_alu instid0(VALU_DEP_1)
	v_cvt_f16_f32_e32 v6, v6
	global_store_b16 v[3:4], v6, off
.LBB119_482:
	s_mov_b32 s4, 0
.LBB119_483:
	s_delay_alu instid0(SALU_CYCLE_1)
	s_and_not1_b32 vcc_lo, exec_lo, s4
	s_cbranch_vccnz .LBB119_499
; %bb.484:
	v_cmp_gt_i16_e32 vcc_lo, 2, v5
	s_mov_b32 s4, -1
	s_cbranch_vccnz .LBB119_494
; %bb.485:
	v_cmp_gt_i16_e32 vcc_lo, 3, v5
	s_cbranch_vccnz .LBB119_491
; %bb.486:
	v_cmp_lt_i16_e32 vcc_lo, 3, v5
	s_cbranch_vccz .LBB119_488
; %bb.487:
	s_lshl_b32 s4, s2, 8
	s_lshl_b32 s5, s2, 25
	s_and_b32 s4, s4, 0x7f00
	s_lshr_b32 s8, s5, 4
	s_or_b32 s4, s4, 0.5
	s_or_b32 s8, s8, 0x70000000
	v_add_f32_e64 v6, s4, -0.5
	v_mul_f32_e64 v7, 0x7800000, s8
	s_cmp_lt_u32 s5, 0x8000000
	s_cselect_b32 vcc_lo, -1, 0
	s_lshl_b32 s4, s2, 24
	s_delay_alu instid0(VALU_DEP_1)
	v_cndmask_b32_e32 v6, v7, v6, vcc_lo
	s_and_b32 s4, s4, 0x80000000
	s_delay_alu instid0(VALU_DEP_1) | instid1(SALU_CYCLE_1)
	v_or_b32_e32 v6, s4, v6
	s_mov_b32 s4, 0
	s_delay_alu instid0(VALU_DEP_1) | instskip(NEXT) | instid1(VALU_DEP_1)
	v_trunc_f32_e32 v6, v6
	v_mul_f32_e64 v7, 0x2f800000, |v6|
	v_ashrrev_i32_e32 v9, 31, v6
	s_delay_alu instid0(VALU_DEP_2) | instskip(NEXT) | instid1(VALU_DEP_1)
	v_floor_f32_e32 v7, v7
	v_fma_f32 v8, 0xcf800000, v7, |v6|
	v_cvt_u32_f32_e32 v7, v7
	s_delay_alu instid0(VALU_DEP_2) | instskip(NEXT) | instid1(VALU_DEP_2)
	v_cvt_u32_f32_e32 v6, v8
	v_xor_b32_e32 v7, v7, v9
	s_delay_alu instid0(VALU_DEP_2) | instskip(NEXT) | instid1(VALU_DEP_1)
	v_xor_b32_e32 v6, v6, v9
	v_sub_co_u32 v6, vcc_lo, v6, v9
	s_delay_alu instid0(VALU_DEP_3)
	v_sub_co_ci_u32_e32 v7, vcc_lo, v7, v9, vcc_lo
	global_store_b64 v[3:4], v[6:7], off
.LBB119_488:
	s_and_not1_b32 vcc_lo, exec_lo, s4
	s_cbranch_vccnz .LBB119_490
; %bb.489:
	s_lshl_b32 s4, s2, 8
	s_lshl_b32 s5, s2, 25
	s_and_b32 s4, s4, 0x7f00
	s_lshr_b32 s8, s5, 4
	s_or_b32 s4, s4, 0.5
	s_or_b32 s8, s8, 0x70000000
	v_add_f32_e64 v6, s4, -0.5
	v_mul_f32_e64 v7, 0x7800000, s8
	s_cmp_lt_u32 s5, 0x8000000
	s_cselect_b32 vcc_lo, -1, 0
	s_lshl_b32 s4, s2, 24
	s_delay_alu instid0(VALU_DEP_1)
	v_cndmask_b32_e32 v6, v7, v6, vcc_lo
	s_and_b32 s4, s4, 0x80000000
	s_delay_alu instid0(VALU_DEP_1) | instid1(SALU_CYCLE_1)
	v_or_b32_e32 v6, s4, v6
	s_delay_alu instid0(VALU_DEP_1)
	v_cvt_i32_f32_e32 v6, v6
	global_store_b32 v[3:4], v6, off
.LBB119_490:
	s_mov_b32 s4, 0
.LBB119_491:
	s_delay_alu instid0(SALU_CYCLE_1)
	s_and_not1_b32 vcc_lo, exec_lo, s4
	s_cbranch_vccnz .LBB119_493
; %bb.492:
	s_lshl_b32 s4, s2, 8
	s_lshl_b32 s5, s2, 25
	s_and_b32 s4, s4, 0x7f00
	s_lshr_b32 s8, s5, 4
	s_or_b32 s4, s4, 0.5
	s_or_b32 s8, s8, 0x70000000
	v_add_f32_e64 v6, s4, -0.5
	v_mul_f32_e64 v7, 0x7800000, s8
	s_cmp_lt_u32 s5, 0x8000000
	s_cselect_b32 vcc_lo, -1, 0
	s_lshl_b32 s4, s2, 24
	s_delay_alu instid0(VALU_DEP_1)
	v_cndmask_b32_e32 v6, v7, v6, vcc_lo
	s_and_b32 s4, s4, 0x80000000
	s_delay_alu instid0(VALU_DEP_1) | instid1(SALU_CYCLE_1)
	v_or_b32_e32 v6, s4, v6
	s_delay_alu instid0(VALU_DEP_1)
	v_cvt_i32_f32_e32 v6, v6
	global_store_b16 v[3:4], v6, off
.LBB119_493:
	s_mov_b32 s4, 0
.LBB119_494:
	s_delay_alu instid0(SALU_CYCLE_1)
	s_and_not1_b32 vcc_lo, exec_lo, s4
	s_cbranch_vccnz .LBB119_499
; %bb.495:
	v_cmp_lt_i16_e32 vcc_lo, 0, v5
	s_mov_b32 s4, -1
	s_cbranch_vccz .LBB119_497
; %bb.496:
	s_lshl_b32 s4, s2, 8
	s_lshl_b32 s5, s2, 25
	s_and_b32 s4, s4, 0x7f00
	s_lshr_b32 s8, s5, 4
	s_or_b32 s4, s4, 0.5
	s_or_b32 s8, s8, 0x70000000
	v_add_f32_e64 v6, s4, -0.5
	v_mul_f32_e64 v7, 0x7800000, s8
	s_cmp_lt_u32 s5, 0x8000000
	s_cselect_b32 vcc_lo, -1, 0
	s_lshl_b32 s4, s2, 24
	s_delay_alu instid0(VALU_DEP_1)
	v_cndmask_b32_e32 v6, v7, v6, vcc_lo
	s_and_b32 s4, s4, 0x80000000
	s_delay_alu instid0(VALU_DEP_1) | instid1(SALU_CYCLE_1)
	v_or_b32_e32 v6, s4, v6
	s_mov_b32 s4, 0
	s_delay_alu instid0(VALU_DEP_1)
	v_cvt_i32_f32_e32 v6, v6
	global_store_b8 v[3:4], v6, off
.LBB119_497:
	s_and_not1_b32 vcc_lo, exec_lo, s4
	s_cbranch_vccnz .LBB119_499
; %bb.498:
	s_lshl_b32 s4, s2, 8
	s_lshl_b32 s5, s2, 25
	s_and_b32 s4, s4, 0x7f00
	s_lshr_b32 s8, s5, 4
	s_or_b32 s4, s4, 0.5
	s_or_b32 s8, s8, 0x70000000
	v_add_f32_e64 v6, s4, -0.5
	v_mul_f32_e64 v7, 0x7800000, s8
	s_cmp_lt_u32 s5, 0x8000000
	s_cselect_b32 vcc_lo, -1, 0
	s_lshl_b32 s4, s2, 24
	s_delay_alu instid0(VALU_DEP_1)
	v_cndmask_b32_e32 v6, v7, v6, vcc_lo
	s_and_b32 s4, s4, 0x80000000
	s_delay_alu instid0(VALU_DEP_1) | instid1(SALU_CYCLE_1)
	v_or_b32_e32 v6, s4, v6
	s_delay_alu instid0(VALU_DEP_1) | instskip(NEXT) | instid1(VALU_DEP_1)
	v_trunc_f32_e32 v6, v6
	v_mul_f32_e64 v7, 0x2f800000, |v6|
	s_delay_alu instid0(VALU_DEP_1) | instskip(NEXT) | instid1(VALU_DEP_1)
	v_floor_f32_e32 v7, v7
	v_fma_f32 v7, 0xcf800000, v7, |v6|
	v_ashrrev_i32_e32 v6, 31, v6
	s_delay_alu instid0(VALU_DEP_2) | instskip(NEXT) | instid1(VALU_DEP_1)
	v_cvt_u32_f32_e32 v7, v7
	v_xor_b32_e32 v7, v7, v6
	s_delay_alu instid0(VALU_DEP_1)
	v_sub_nc_u32_e32 v6, v7, v6
	global_store_b8 v[3:4], v6, off
.LBB119_499:
	s_mov_b32 s5, -1
.LBB119_500:
	s_delay_alu instid0(SALU_CYCLE_1)
	s_and_not1_b32 vcc_lo, exec_lo, s5
	s_cbranch_vccnz .LBB119_893
; %bb.501:
	v_cmp_gt_i16_e32 vcc_lo, 11, v5
	v_add_co_u32 v2, s4, s0, v2
	s_delay_alu instid0(VALU_DEP_1)
	v_add_co_ci_u32_e64 v3, null, s1, 0, s4
	s_mov_b32 s8, 0
	s_mov_b32 s4, -1
	s_cbranch_vccnz .LBB119_704
; %bb.502:
	v_cmp_lt_i16_e32 vcc_lo, 25, v5
	s_mov_b32 s9, -1
	s_mov_b32 s5, 0
	s_mov_b32 s4, 0
	s_cbranch_vccz .LBB119_541
; %bb.503:
	v_cmp_lt_i16_e32 vcc_lo, 28, v5
	s_cbranch_vccz .LBB119_518
; %bb.504:
	v_cmp_lt_i16_e32 vcc_lo, 43, v5
	;; [unrolled: 3-line block ×3, first 2 shown]
	s_cbranch_vccz .LBB119_508
; %bb.506:
	v_cmp_eq_u16_e32 vcc_lo, 46, v5
	s_mov_b32 s4, -1
	s_mov_b32 s9, 0
	s_cbranch_vccz .LBB119_508
; %bb.507:
	s_lshl_b32 s4, s2, 8
	s_lshl_b32 s8, s2, 25
	s_and_b32 s4, s4, 0x7f00
	s_lshr_b32 s10, s8, 4
	s_or_b32 s4, s4, 0.5
	s_or_b32 s10, s10, 0x70000000
	v_add_f32_e64 v4, s4, -0.5
	v_mul_f32_e64 v6, 0x7800000, s10
	s_cmp_lt_u32 s8, 0x8000000
	s_mov_b32 s8, -1
	s_cselect_b32 vcc_lo, -1, 0
	s_lshl_b32 s4, s2, 24
	v_cndmask_b32_e32 v4, v6, v4, vcc_lo
	s_and_b32 s4, s4, 0x80000000
	s_delay_alu instid0(VALU_DEP_1) | instid1(SALU_CYCLE_1)
	v_or_b32_e32 v6, s4, v4
	v_bfe_u32 v4, v4, 16, 1
	s_mov_b32 s4, 0
	s_delay_alu instid0(VALU_DEP_2) | instskip(NEXT) | instid1(VALU_DEP_2)
	v_cmp_o_f32_e32 vcc_lo, v6, v6
	v_add_nc_u32_e32 v4, v6, v4
	s_delay_alu instid0(VALU_DEP_1) | instskip(NEXT) | instid1(VALU_DEP_1)
	v_add_nc_u32_e32 v4, 0x7fff, v4
	v_lshrrev_b32_e32 v4, 16, v4
	s_delay_alu instid0(VALU_DEP_1)
	v_cndmask_b32_e32 v4, 0x7fc0, v4, vcc_lo
	global_store_b32 v[2:3], v4, off
.LBB119_508:
	s_and_b32 vcc_lo, exec_lo, s9
	s_cbranch_vccz .LBB119_513
; %bb.509:
	v_cmp_eq_u16_e32 vcc_lo, 44, v5
	s_mov_b32 s4, -1
	s_cbranch_vccz .LBB119_513
; %bb.510:
	s_lshl_b32 s4, s2, 8
	s_lshl_b32 s8, s2, 25
	s_and_b32 s4, s4, 0x7f00
	s_lshr_b32 s9, s8, 4
	s_or_b32 s4, s4, 0.5
	s_or_b32 s9, s9, 0x70000000
	v_add_f32_e64 v4, s4, -0.5
	v_mul_f32_e64 v6, 0x7800000, s9
	s_cmp_lt_u32 s8, 0x8000000
	s_cselect_b32 vcc_lo, -1, 0
	s_delay_alu instid0(VALU_DEP_1) | instskip(SKIP_1) | instid1(VALU_DEP_2)
	v_cndmask_b32_e32 v4, v6, v4, vcc_lo
	v_mov_b32_e32 v6, 0xff
	v_readfirstlane_b32 s4, v4
	s_delay_alu instid0(VALU_DEP_1) | instskip(NEXT) | instid1(SALU_CYCLE_1)
	s_bfe_u32 s8, s4, 0x80017
	s_cmpk_eq_i32 s8, 0xff
	s_cbranch_scc1 .LBB119_512
; %bb.511:
	s_bitcmp1_b32 s4, 22
	v_lshrrev_b32_e32 v4, 23, v4
	s_cselect_b32 s9, -1, 0
	s_and_b32 s4, s4, 0x3fffff
	s_delay_alu instid0(SALU_CYCLE_1) | instskip(NEXT) | instid1(SALU_CYCLE_1)
	s_or_b32 s4, s8, s4
	s_cmp_lg_u32 s4, 0
	s_cselect_b32 s4, -1, 0
	s_delay_alu instid0(SALU_CYCLE_1) | instskip(NEXT) | instid1(SALU_CYCLE_1)
	s_and_b32 s4, s9, s4
	v_cndmask_b32_e64 v6, 0, 1, s4
	s_delay_alu instid0(VALU_DEP_1)
	v_add_nc_u32_e32 v6, v4, v6
.LBB119_512:
	s_mov_b32 s4, 0
	s_mov_b32 s8, -1
	global_store_b8 v[2:3], v6, off
.LBB119_513:
	s_mov_b32 s9, 0
.LBB119_514:
	s_delay_alu instid0(SALU_CYCLE_1)
	s_and_b32 vcc_lo, exec_lo, s9
	s_cbranch_vccz .LBB119_517
; %bb.515:
	v_cmp_eq_u16_e32 vcc_lo, 29, v5
	s_mov_b32 s4, -1
	s_cbranch_vccz .LBB119_517
; %bb.516:
	s_lshl_b32 s4, s2, 8
	s_lshl_b32 s8, s2, 25
	s_and_b32 s4, s4, 0x7f00
	s_lshr_b32 s9, s8, 4
	s_or_b32 s4, s4, 0.5
	s_or_b32 s9, s9, 0x70000000
	v_add_f32_e64 v4, s4, -0.5
	v_mul_f32_e64 v6, 0x7800000, s9
	s_cmp_lt_u32 s8, 0x8000000
	s_mov_b32 s8, -1
	s_cselect_b32 vcc_lo, -1, 0
	s_lshl_b32 s4, s2, 24
	v_cndmask_b32_e32 v4, v6, v4, vcc_lo
	s_and_b32 s4, s4, 0x80000000
	s_delay_alu instid0(VALU_DEP_1) | instid1(SALU_CYCLE_1)
	v_or_b32_e32 v4, s4, v4
	s_mov_b32 s4, 0
	s_delay_alu instid0(VALU_DEP_1) | instskip(NEXT) | instid1(VALU_DEP_1)
	v_trunc_f32_e32 v4, v4
	v_mul_f32_e32 v6, 0x2f800000, v4
	s_delay_alu instid0(VALU_DEP_1) | instskip(NEXT) | instid1(VALU_DEP_1)
	v_floor_f32_e32 v7, v6
	v_fmamk_f32 v4, v7, 0xcf800000, v4
	v_cvt_u32_f32_e32 v7, v7
	s_delay_alu instid0(VALU_DEP_2)
	v_cvt_u32_f32_e32 v6, v4
	global_store_b64 v[2:3], v[6:7], off
.LBB119_517:
	s_mov_b32 s9, 0
.LBB119_518:
	s_delay_alu instid0(SALU_CYCLE_1)
	s_and_b32 vcc_lo, exec_lo, s9
	s_cbranch_vccz .LBB119_540
; %bb.519:
	v_cmp_gt_i16_e32 vcc_lo, 27, v5
	s_mov_b32 s8, -1
	s_cbranch_vccnz .LBB119_525
; %bb.520:
	v_cmp_lt_i16_e32 vcc_lo, 27, v5
	s_cbranch_vccz .LBB119_522
; %bb.521:
	s_lshl_b32 s8, s2, 8
	s_lshl_b32 s9, s2, 25
	s_and_b32 s8, s8, 0x7f00
	s_lshr_b32 s10, s9, 4
	s_or_b32 s8, s8, 0.5
	s_or_b32 s10, s10, 0x70000000
	v_add_f32_e64 v4, s8, -0.5
	v_mul_f32_e64 v6, 0x7800000, s10
	s_cmp_lt_u32 s9, 0x8000000
	s_cselect_b32 vcc_lo, -1, 0
	s_lshl_b32 s8, s2, 24
	s_delay_alu instid0(VALU_DEP_1)
	v_cndmask_b32_e32 v4, v6, v4, vcc_lo
	s_and_b32 s8, s8, 0x80000000
	s_delay_alu instid0(VALU_DEP_1) | instid1(SALU_CYCLE_1)
	v_or_b32_e32 v4, s8, v4
	s_mov_b32 s8, 0
	s_delay_alu instid0(VALU_DEP_1)
	v_cvt_u32_f32_e32 v4, v4
	global_store_b32 v[2:3], v4, off
.LBB119_522:
	s_and_not1_b32 vcc_lo, exec_lo, s8
	s_cbranch_vccnz .LBB119_524
; %bb.523:
	s_lshl_b32 s8, s2, 8
	s_lshl_b32 s9, s2, 25
	s_and_b32 s8, s8, 0x7f00
	s_lshr_b32 s10, s9, 4
	s_or_b32 s8, s8, 0.5
	s_or_b32 s10, s10, 0x70000000
	v_add_f32_e64 v4, s8, -0.5
	v_mul_f32_e64 v6, 0x7800000, s10
	s_cmp_lt_u32 s9, 0x8000000
	s_cselect_b32 vcc_lo, -1, 0
	s_lshl_b32 s8, s2, 24
	s_delay_alu instid0(VALU_DEP_1)
	v_cndmask_b32_e32 v4, v6, v4, vcc_lo
	s_and_b32 s8, s8, 0x80000000
	s_delay_alu instid0(VALU_DEP_1) | instid1(SALU_CYCLE_1)
	v_or_b32_e32 v4, s8, v4
	s_delay_alu instid0(VALU_DEP_1)
	v_cvt_u32_f32_e32 v4, v4
	global_store_b16 v[2:3], v4, off
.LBB119_524:
	s_mov_b32 s8, 0
.LBB119_525:
	s_delay_alu instid0(SALU_CYCLE_1)
	s_and_not1_b32 vcc_lo, exec_lo, s8
	s_cbranch_vccnz .LBB119_539
; %bb.526:
	s_lshl_b32 s8, s2, 8
	s_lshl_b32 s9, s2, 25
	s_and_b32 s8, s8, 0x7f00
	s_lshr_b32 s10, s9, 4
	s_or_b32 s8, s8, 0.5
	s_or_b32 s10, s10, 0x70000000
	v_add_f32_e64 v4, s8, -0.5
	v_mul_f32_e64 v6, 0x7800000, s10
	s_cmp_lt_u32 s9, 0x8000000
	s_cselect_b32 vcc_lo, -1, 0
	s_lshl_b32 s9, s2, 24
	s_delay_alu instid0(VALU_DEP_1) | instskip(SKIP_2) | instid1(VALU_DEP_2)
	v_cndmask_b32_e32 v4, v6, v4, vcc_lo
	s_and_b32 s9, s9, 0x80000000
	v_mov_b32_e32 v6, 0x80
	v_readfirstlane_b32 s8, v4
	s_delay_alu instid0(VALU_DEP_1) | instskip(NEXT) | instid1(SALU_CYCLE_1)
	s_or_b32 s8, s9, s8
	s_and_b32 s9, s8, 0x7fffffff
	s_delay_alu instid0(SALU_CYCLE_1)
	s_cmp_gt_u32 s9, 0x437fffff
	s_cbranch_scc1 .LBB119_538
; %bb.527:
	s_cmp_gt_u32 s9, 0x3bffffff
	s_cbranch_scc0 .LBB119_533
; %bb.528:
	v_bfe_u32 v4, v4, 20, 1
	s_mov_b32 s10, 0
	s_mov_b32 s9, -1
	s_delay_alu instid0(VALU_DEP_1) | instskip(NEXT) | instid1(VALU_DEP_1)
	v_add_nc_u32_e32 v4, s8, v4
	v_add_nc_u32_e32 v4, 0x487ffff, v4
	s_delay_alu instid0(VALU_DEP_1)
	v_lshrrev_b32_e32 v4, 20, v4
	s_branch .LBB119_534
.LBB119_529:
	s_cbranch_execnz .LBB119_531
; %bb.530:
	s_or_b32 s3, s6, exec_lo
	s_cbranch_execz .LBB119_459
	s_branch .LBB119_460
.LBB119_531:
	s_trap 2
	s_sendmsg_rtn_b32 s0, sendmsg(MSG_RTN_GET_DOORBELL)
	s_mov_b32 ttmp2, m0
	s_waitcnt lgkmcnt(0)
	s_and_b32 s0, s0, 0x3ff
	s_delay_alu instid0(SALU_CYCLE_1) | instskip(NEXT) | instid1(SALU_CYCLE_1)
	s_bitset1_b32 s0, 10
	s_mov_b32 m0, s0
	s_sendmsg sendmsg(MSG_INTERRUPT)
	s_mov_b32 m0, ttmp2
.LBB119_532:                            ; =>This Inner Loop Header: Depth=1
	s_sethalt 5
	s_branch .LBB119_532
.LBB119_533:
	s_mov_b32 s10, -1
	s_mov_b32 s9, 0
                                        ; implicit-def: $vgpr4
.LBB119_534:
	s_and_not1_b32 vcc_lo, exec_lo, s10
                                        ; implicit-def: $sgpr10
	s_cbranch_vccnz .LBB119_536
; %bb.535:
	v_add_f32_e64 v4, 0x46000000, |s8|
	s_mov_b32 s10, 0
	s_delay_alu instid0(VALU_DEP_1) | instskip(NEXT) | instid1(VALU_DEP_1)
	v_and_b32_e32 v4, 0xff, v4
	v_cmp_ne_u32_e64 s9, 0, v4
.LBB119_536:
	v_mov_b32_e32 v6, s10
	s_delay_alu instid0(VALU_DEP_2)
	s_and_not1_b32 vcc_lo, exec_lo, s9
	s_cbranch_vccnz .LBB119_538
; %bb.537:
	s_lshr_b32 s8, s8, 24
	s_delay_alu instid0(SALU_CYCLE_1) | instskip(NEXT) | instid1(SALU_CYCLE_1)
	s_and_b32 s8, s8, 0x80
	v_or_b32_e32 v6, s8, v4
.LBB119_538:
	global_store_b8 v[2:3], v6, off
.LBB119_539:
	s_mov_b32 s8, -1
.LBB119_540:
	s_mov_b32 s9, 0
.LBB119_541:
	s_delay_alu instid0(SALU_CYCLE_1)
	s_and_b32 vcc_lo, exec_lo, s9
	s_cbranch_vccz .LBB119_700
; %bb.542:
	v_cmp_lt_i16_e32 vcc_lo, 22, v5
	s_mov_b32 s5, -1
	s_cbranch_vccz .LBB119_693
; %bb.543:
	v_cmp_gt_i16_e32 vcc_lo, 24, v5
	s_cbranch_vccnz .LBB119_690
; %bb.544:
	v_cmp_lt_i16_e32 vcc_lo, 24, v5
	s_cbranch_vccz .LBB119_677
; %bb.545:
	s_lshl_b32 s5, s2, 8
	s_lshl_b32 s8, s2, 25
	s_and_b32 s5, s5, 0x7f00
	s_lshr_b32 s9, s8, 4
	s_or_b32 s5, s5, 0.5
	s_or_b32 s9, s9, 0x70000000
	v_add_f32_e64 v4, s5, -0.5
	v_mul_f32_e64 v6, 0x7800000, s9
	s_cmp_lt_u32 s8, 0x8000000
	s_cselect_b32 vcc_lo, -1, 0
	s_lshl_b32 s8, s2, 24
	s_delay_alu instid0(VALU_DEP_1) | instskip(SKIP_2) | instid1(VALU_DEP_2)
	v_cndmask_b32_e32 v4, v6, v4, vcc_lo
	s_and_b32 s8, s8, 0x80000000
	v_mov_b32_e32 v6, 0x80
	v_readfirstlane_b32 s5, v4
	s_delay_alu instid0(VALU_DEP_1) | instskip(NEXT) | instid1(SALU_CYCLE_1)
	s_or_b32 s5, s8, s5
	s_and_b32 s8, s5, 0x7fffffff
	s_delay_alu instid0(SALU_CYCLE_1)
	s_cmp_gt_u32 s8, 0x477fffff
	s_cbranch_scc1 .LBB119_676
; %bb.546:
	s_cmp_gt_u32 s8, 0x37ffffff
	s_cbranch_scc0 .LBB119_671
; %bb.547:
	v_bfe_u32 v4, v4, 21, 1
	s_mov_b32 s9, 0
	s_mov_b32 s8, -1
	s_delay_alu instid0(VALU_DEP_1) | instskip(NEXT) | instid1(VALU_DEP_1)
	v_add_nc_u32_e32 v4, s5, v4
	v_add_nc_u32_e32 v4, 0x88fffff, v4
	s_delay_alu instid0(VALU_DEP_1)
	v_lshrrev_b32_e32 v4, 21, v4
	s_branch .LBB119_672
.LBB119_548:
	s_mov_b32 s16, s46
.LBB119_549:
	s_and_b32 vcc_lo, exec_lo, s18
	s_cbranch_vccz .LBB119_552
; %bb.550:
	v_cmp_eq_u16_e32 vcc_lo, 44, v10
	s_mov_b32 s16, -1
	s_cbranch_vccz .LBB119_552
; %bb.551:
	v_cndmask_b32_e64 v2, v21, 0xff, s3
	s_mov_b32 s17, -1
	s_mov_b32 s16, 0
	global_store_b8 v[8:9], v2, off
.LBB119_552:
	s_mov_b32 s18, 0
.LBB119_553:
	s_delay_alu instid0(SALU_CYCLE_1)
	s_and_b32 vcc_lo, exec_lo, s18
	s_cbranch_vccz .LBB119_556
; %bb.554:
	v_cmp_eq_u16_e32 vcc_lo, 29, v10
	s_mov_b32 s16, -1
	s_cbranch_vccz .LBB119_556
; %bb.555:
	s_mov_b32 s17, -1
	s_mov_b32 s16, 0
	global_store_b64 v[8:9], v[6:7], off
.LBB119_556:
	s_mov_b32 s18, 0
.LBB119_557:
	s_delay_alu instid0(SALU_CYCLE_1)
	s_and_b32 vcc_lo, exec_lo, s18
	s_cbranch_vccz .LBB119_570
; %bb.558:
	v_cmp_gt_i16_e32 vcc_lo, 27, v10
	s_mov_b32 s17, -1
	s_cbranch_vccnz .LBB119_564
; %bb.559:
	v_cmp_lt_i16_e32 vcc_lo, 27, v10
	s_cbranch_vccz .LBB119_561
; %bb.560:
	s_mov_b32 s17, 0
	global_store_b32 v[8:9], v20, off
.LBB119_561:
	s_and_not1_b32 vcc_lo, exec_lo, s17
	s_cbranch_vccnz .LBB119_563
; %bb.562:
	global_store_b16 v[8:9], v20, off
.LBB119_563:
	s_mov_b32 s17, 0
.LBB119_564:
	s_delay_alu instid0(SALU_CYCLE_1)
	s_and_not1_b32 vcc_lo, exec_lo, s17
	s_cbranch_vccnz .LBB119_569
; %bb.565:
	v_mov_b32_e32 v2, 0x80
	s_and_not1_b32 vcc_lo, exec_lo, s38
	s_cbranch_vccnz .LBB119_568
; %bb.566:
	v_mov_b32_e32 v2, 0
	s_or_b32 s17, s36, s39
	s_delay_alu instid0(SALU_CYCLE_1)
	s_and_not1_b32 vcc_lo, exec_lo, s17
	s_cbranch_vccnz .LBB119_568
; %bb.567:
	v_cndmask_b32_e64 v2, v19, s37, s36
	s_delay_alu instid0(VALU_DEP_1)
	v_or_b32_e32 v2, s27, v2
.LBB119_568:
	global_store_b8 v[8:9], v2, off
.LBB119_569:
	s_mov_b32 s17, -1
.LBB119_570:
	s_mov_b32 s18, 0
.LBB119_571:
	s_delay_alu instid0(SALU_CYCLE_1)
	s_and_b32 vcc_lo, exec_lo, s18
	s_cbranch_vccz .LBB119_593
; %bb.572:
	v_cmp_lt_i16_e32 vcc_lo, 22, v10
	s_mov_b32 s18, -1
	s_cbranch_vccz .LBB119_585
; %bb.573:
	v_cmp_gt_i16_e32 vcc_lo, 24, v10
	s_mov_b32 s17, -1
	s_cbranch_vccnz .LBB119_582
; %bb.574:
	v_cmp_lt_i16_e32 vcc_lo, 24, v10
	s_cbranch_vccz .LBB119_579
; %bb.575:
	v_mov_b32_e32 v2, 0x80
	s_and_not1_b32 vcc_lo, exec_lo, s33
	s_cbranch_vccnz .LBB119_578
; %bb.576:
	v_mov_b32_e32 v2, 0
	s_or_b32 s17, s2, s34
	s_delay_alu instid0(SALU_CYCLE_1)
	s_and_not1_b32 vcc_lo, exec_lo, s17
	s_cbranch_vccnz .LBB119_578
; %bb.577:
	v_cndmask_b32_e64 v2, v17, v18, s2
	s_delay_alu instid0(VALU_DEP_1)
	v_or_b32_e32 v2, s27, v2
.LBB119_578:
	s_mov_b32 s17, 0
	global_store_b8 v[8:9], v2, off
.LBB119_579:
	s_and_b32 vcc_lo, exec_lo, s17
	s_cbranch_vccz .LBB119_581
; %bb.580:
	s_and_b32 s17, s29, exec_lo
	s_cselect_b32 s17, s31, s30
	s_and_b32 s18, s28, exec_lo
	s_cselect_b32 s17, s35, s17
	s_delay_alu instid0(SALU_CYCLE_1) | instskip(NEXT) | instid1(SALU_CYCLE_1)
	s_or_b32 s17, s17, s27
	v_mov_b32_e32 v2, s17
	global_store_b8 v[8:9], v2, off
.LBB119_581:
	s_mov_b32 s17, 0
.LBB119_582:
	s_delay_alu instid0(SALU_CYCLE_1)
	s_and_not1_b32 vcc_lo, exec_lo, s17
	s_cbranch_vccnz .LBB119_584
; %bb.583:
	v_mov_b32_e32 v2, s26
	global_store_b8 v[8:9], v2, off
.LBB119_584:
	s_mov_b32 s18, 0
	s_mov_b32 s17, -1
.LBB119_585:
	s_and_not1_b32 vcc_lo, exec_lo, s18
	s_cbranch_vccnz .LBB119_593
; %bb.586:
	v_cmp_lt_i16_e32 vcc_lo, 14, v10
	s_mov_b32 s18, -1
	s_cbranch_vccz .LBB119_590
; %bb.587:
	v_cmp_eq_u16_e32 vcc_lo, 15, v10
	s_mov_b32 s16, -1
	s_cbranch_vccz .LBB119_589
; %bb.588:
	s_mov_b32 s17, -1
	s_mov_b32 s16, 0
	global_store_b16 v[8:9], v16, off
.LBB119_589:
	s_mov_b32 s18, 0
.LBB119_590:
	s_delay_alu instid0(SALU_CYCLE_1)
	s_and_b32 vcc_lo, exec_lo, s18
	s_cbranch_vccz .LBB119_593
; %bb.591:
	v_cmp_eq_u16_e32 vcc_lo, 11, v10
	s_mov_b32 s16, -1
	s_cbranch_vccz .LBB119_593
; %bb.592:
	s_mov_b32 s17, -1
	s_mov_b32 s16, 0
	global_store_b8 v[8:9], v15, off
.LBB119_593:
.LBB119_594:
	s_and_not1_b32 vcc_lo, exec_lo, s17
	s_cbranch_vccnz .LBB119_424
.LBB119_595:
	v_add_nc_u32_e32 v12, 0x80, v12
	s_mov_b32 s17, -1
.LBB119_596:
	s_and_not1_b32 s18, s46, exec_lo
	s_and_b32 s16, s16, exec_lo
	s_or_not1_b32 s49, s17, exec_lo
	s_or_b32 s18, s18, s16
.LBB119_597:
	s_or_b32 exec_lo, exec_lo, s48
	s_mov_b32 s16, 0
	s_mov_b32 s17, 0
                                        ; implicit-def: $vgpr8_vgpr9
	s_and_saveexec_b32 s19, s49
	s_cbranch_execz .LBB119_665
; %bb.598:
	v_cmp_gt_i32_e32 vcc_lo, s41, v12
	s_mov_b32 s48, s18
                                        ; implicit-def: $vgpr8_vgpr9
	s_and_saveexec_b32 s41, vcc_lo
	s_cbranch_execz .LBB119_664
; %bb.599:
	s_and_not1_b32 vcc_lo, exec_lo, s23
	s_cbranch_vccnz .LBB119_604
; %bb.600:
	v_mov_b32_e32 v2, 0
	s_and_not1_b32 vcc_lo, exec_lo, s43
	s_cbranch_vccnz .LBB119_609
; %bb.601:
	s_add_i32 s43, s42, 1
	s_cmp_eq_u32 s21, 2
	s_mov_b32 s42, 0
	s_cbranch_scc1 .LBB119_605
; %bb.602:
	v_dual_mov_b32 v2, 0 :: v_dual_mov_b32 v3, v12
	s_and_b32 s42, s43, 28
	s_mov_b32 s48, 0
	s_mov_b64 s[16:17], s[0:1]
.LBB119_603:                            ; =>This Inner Loop Header: Depth=1
	s_clause 0x1
	s_load_b256 s[52:59], s[16:17], 0x4
	s_load_b128 s[60:63], s[16:17], 0x24
	s_load_b128 s[64:67], s[14:15], 0x0
	s_add_u32 s16, s16, 48
	s_addc_u32 s17, s17, 0
	s_add_i32 s48, s48, 4
	s_add_u32 s14, s14, 16
	s_addc_u32 s15, s15, 0
	s_cmp_eq_u32 s42, s48
	s_waitcnt lgkmcnt(0)
	v_mul_hi_u32 v8, s53, v3
	s_delay_alu instid0(VALU_DEP_1) | instskip(NEXT) | instid1(VALU_DEP_1)
	v_add_nc_u32_e32 v8, v3, v8
	v_lshrrev_b32_e32 v8, s54, v8
	s_delay_alu instid0(VALU_DEP_1) | instskip(SKIP_1) | instid1(VALU_DEP_2)
	v_mul_hi_u32 v9, s56, v8
	v_mul_lo_u32 v24, v8, s52
	v_add_nc_u32_e32 v9, v8, v9
	s_delay_alu instid0(VALU_DEP_2) | instskip(NEXT) | instid1(VALU_DEP_2)
	v_sub_nc_u32_e32 v24, v3, v24
	v_lshrrev_b32_e32 v9, s57, v9
	s_delay_alu instid0(VALU_DEP_2) | instskip(NEXT) | instid1(VALU_DEP_2)
	v_mul_lo_u32 v24, v24, s64
	v_mul_hi_u32 v22, s59, v9
	v_mul_lo_u32 v25, v9, s55
	s_delay_alu instid0(VALU_DEP_2) | instskip(NEXT) | instid1(VALU_DEP_2)
	v_add_nc_u32_e32 v22, v9, v22
	v_sub_nc_u32_e32 v8, v8, v25
	s_delay_alu instid0(VALU_DEP_2) | instskip(NEXT) | instid1(VALU_DEP_2)
	v_lshrrev_b32_e32 v22, s60, v22
	v_mul_lo_u32 v8, v8, s65
	s_delay_alu instid0(VALU_DEP_2) | instskip(NEXT) | instid1(VALU_DEP_2)
	v_mul_hi_u32 v23, s62, v22
	v_add3_u32 v2, v24, v2, v8
	s_delay_alu instid0(VALU_DEP_2) | instskip(NEXT) | instid1(VALU_DEP_1)
	v_add_nc_u32_e32 v23, v22, v23
	v_lshrrev_b32_e32 v3, s63, v23
	v_mul_lo_u32 v23, v22, s58
	s_delay_alu instid0(VALU_DEP_2) | instskip(NEXT) | instid1(VALU_DEP_2)
	v_mul_lo_u32 v26, v3, s61
	v_sub_nc_u32_e32 v9, v9, v23
	s_delay_alu instid0(VALU_DEP_2) | instskip(NEXT) | instid1(VALU_DEP_2)
	v_sub_nc_u32_e32 v22, v22, v26
	v_mul_lo_u32 v9, v9, s66
	s_delay_alu instid0(VALU_DEP_2) | instskip(NEXT) | instid1(VALU_DEP_1)
	v_mul_lo_u32 v22, v22, s67
	v_add3_u32 v2, v9, v2, v22
	s_cbranch_scc0 .LBB119_603
	s_branch .LBB119_606
.LBB119_604:
	s_mov_b32 s14, -1
                                        ; implicit-def: $vgpr2
	s_branch .LBB119_610
.LBB119_605:
	v_mov_b32_e32 v3, v12
.LBB119_606:
	s_and_b32 s43, s43, 3
	s_delay_alu instid0(SALU_CYCLE_1)
	s_cmp_eq_u32 s43, 0
	s_cbranch_scc1 .LBB119_609
; %bb.607:
	s_lshl_b32 s14, s42, 2
	s_mul_i32 s16, s42, 12
	s_add_u32 s14, s14, s0
	s_addc_u32 s15, s1, 0
	s_add_u32 s14, s14, 0xc4
	s_addc_u32 s15, s15, 0
	;; [unrolled: 2-line block ×3, first 2 shown]
.LBB119_608:                            ; =>This Inner Loop Header: Depth=1
	s_clause 0x1
	s_load_b64 s[48:49], s[16:17], 0x4
	s_load_b32 s42, s[16:17], 0xc
	s_add_u32 s16, s16, 12
	s_addc_u32 s17, s17, 0
	s_waitcnt lgkmcnt(0)
	v_mul_hi_u32 v8, s49, v3
	s_load_b32 s49, s[14:15], 0x0
	s_add_u32 s14, s14, 4
	s_addc_u32 s15, s15, 0
	s_add_i32 s43, s43, -1
	s_delay_alu instid0(SALU_CYCLE_1) | instskip(NEXT) | instid1(VALU_DEP_1)
	s_cmp_lg_u32 s43, 0
	v_add_nc_u32_e32 v8, v3, v8
	s_delay_alu instid0(VALU_DEP_1) | instskip(NEXT) | instid1(VALU_DEP_1)
	v_lshrrev_b32_e32 v22, s42, v8
	v_mul_lo_u32 v8, v22, s48
	s_delay_alu instid0(VALU_DEP_1) | instskip(SKIP_1) | instid1(VALU_DEP_1)
	v_sub_nc_u32_e32 v3, v3, v8
	s_waitcnt lgkmcnt(0)
	v_mad_u64_u32 v[8:9], null, v3, s49, v[2:3]
	s_delay_alu instid0(VALU_DEP_1)
	v_dual_mov_b32 v3, v22 :: v_dual_mov_b32 v2, v8
	s_cbranch_scc1 .LBB119_608
.LBB119_609:
	s_mov_b32 s14, 0
.LBB119_610:
	s_delay_alu instid0(SALU_CYCLE_1)
	s_and_not1_b32 vcc_lo, exec_lo, s14
	s_cbranch_vccnz .LBB119_613
; %bb.611:
	s_waitcnt lgkmcnt(0)
	v_mul_hi_u32 v2, s5, v12
	s_and_not1_b32 vcc_lo, exec_lo, s40
	s_delay_alu instid0(VALU_DEP_1) | instskip(NEXT) | instid1(VALU_DEP_1)
	v_add_nc_u32_e32 v2, v12, v2
	v_lshrrev_b32_e32 v3, s6, v2
	s_delay_alu instid0(VALU_DEP_1) | instskip(NEXT) | instid1(VALU_DEP_1)
	v_mul_lo_u32 v2, v3, s4
	v_sub_nc_u32_e32 v2, v12, v2
	s_delay_alu instid0(VALU_DEP_1)
	v_mul_lo_u32 v2, v2, s10
	s_cbranch_vccnz .LBB119_613
; %bb.612:
	v_mul_hi_u32 v8, s12, v3
	s_delay_alu instid0(VALU_DEP_1) | instskip(NEXT) | instid1(VALU_DEP_1)
	v_add_nc_u32_e32 v8, v3, v8
	v_lshrrev_b32_e32 v8, s13, v8
	s_delay_alu instid0(VALU_DEP_1) | instskip(NEXT) | instid1(VALU_DEP_1)
	v_mul_lo_u32 v8, v8, s7
	v_sub_nc_u32_e32 v3, v3, v8
	s_delay_alu instid0(VALU_DEP_1) | instskip(NEXT) | instid1(VALU_DEP_1)
	v_mad_u64_u32 v[8:9], null, v3, s11, v[2:3]
	v_mov_b32_e32 v2, v8
.LBB119_613:
	v_cmp_gt_i16_e32 vcc_lo, 11, v10
	s_waitcnt lgkmcnt(0)
	s_delay_alu instid0(VALU_DEP_2) | instskip(NEXT) | instid1(VALU_DEP_1)
	v_add_co_u32 v8, s4, s8, v2
	v_add_co_ci_u32_e64 v9, null, s9, 0, s4
	s_mov_b32 s6, 0
	s_mov_b32 s5, -1
	s_mov_b32 s4, s18
	s_cbranch_vccnz .LBB119_663
; %bb.614:
	v_cmp_lt_i16_e32 vcc_lo, 25, v10
	s_mov_b32 s4, s18
	s_cbranch_vccz .LBB119_642
; %bb.615:
	v_cmp_lt_i16_e32 vcc_lo, 28, v10
	s_mov_b32 s4, s18
	s_cbranch_vccz .LBB119_629
	;; [unrolled: 4-line block ×4, first 2 shown]
; %bb.618:
	v_cmp_eq_u16_e32 vcc_lo, 46, v10
	s_mov_b32 s4, -1
	s_cbranch_vccz .LBB119_620
; %bb.619:
	s_mov_b32 s4, 0
	global_store_b32 v[8:9], v16, off
.LBB119_620:
	s_mov_b32 s5, 0
.LBB119_621:
	s_delay_alu instid0(SALU_CYCLE_1)
	s_and_b32 vcc_lo, exec_lo, s5
	s_cbranch_vccz .LBB119_624
; %bb.622:
	v_cmp_eq_u16_e32 vcc_lo, 44, v10
	s_mov_b32 s4, -1
	s_cbranch_vccz .LBB119_624
; %bb.623:
	v_cndmask_b32_e64 v2, v21, 0xff, s3
	s_mov_b32 s4, 0
	global_store_b8 v[8:9], v2, off
.LBB119_624:
	s_mov_b32 s5, 0
.LBB119_625:
	s_delay_alu instid0(SALU_CYCLE_1)
	s_and_b32 vcc_lo, exec_lo, s5
	s_cbranch_vccz .LBB119_628
; %bb.626:
	v_cmp_eq_u16_e32 vcc_lo, 29, v10
	s_mov_b32 s4, -1
	s_cbranch_vccz .LBB119_628
; %bb.627:
	s_mov_b32 s4, 0
	global_store_b64 v[8:9], v[6:7], off
.LBB119_628:
	s_mov_b32 s5, 0
.LBB119_629:
	s_delay_alu instid0(SALU_CYCLE_1)
	s_and_b32 vcc_lo, exec_lo, s5
	s_cbranch_vccz .LBB119_641
; %bb.630:
	v_cmp_gt_i16_e32 vcc_lo, 27, v10
	s_mov_b32 s3, -1
	s_cbranch_vccnz .LBB119_636
; %bb.631:
	v_cmp_lt_i16_e32 vcc_lo, 27, v10
	s_cbranch_vccz .LBB119_633
; %bb.632:
	s_mov_b32 s3, 0
	global_store_b32 v[8:9], v20, off
.LBB119_633:
	s_and_not1_b32 vcc_lo, exec_lo, s3
	s_cbranch_vccnz .LBB119_635
; %bb.634:
	global_store_b16 v[8:9], v20, off
.LBB119_635:
	s_mov_b32 s3, 0
.LBB119_636:
	s_delay_alu instid0(SALU_CYCLE_1)
	s_and_not1_b32 vcc_lo, exec_lo, s3
	s_cbranch_vccnz .LBB119_641
; %bb.637:
	v_mov_b32_e32 v2, 0x80
	s_and_not1_b32 vcc_lo, exec_lo, s38
	s_cbranch_vccnz .LBB119_640
; %bb.638:
	v_mov_b32_e32 v2, 0
	s_or_b32 s3, s36, s39
	s_delay_alu instid0(SALU_CYCLE_1)
	s_and_not1_b32 vcc_lo, exec_lo, s3
	s_cbranch_vccnz .LBB119_640
; %bb.639:
	v_cndmask_b32_e64 v2, v19, s37, s36
	s_delay_alu instid0(VALU_DEP_1)
	v_or_b32_e32 v2, s27, v2
.LBB119_640:
	global_store_b8 v[8:9], v2, off
.LBB119_641:
	s_mov_b32 s5, 0
.LBB119_642:
	s_delay_alu instid0(SALU_CYCLE_1)
	s_and_b32 vcc_lo, exec_lo, s5
	s_mov_b32 s5, 0
	s_cbranch_vccz .LBB119_663
; %bb.643:
	v_cmp_lt_i16_e32 vcc_lo, 22, v10
	s_mov_b32 s3, -1
	s_cbranch_vccz .LBB119_656
; %bb.644:
	v_cmp_gt_i16_e32 vcc_lo, 24, v10
	s_cbranch_vccnz .LBB119_653
; %bb.645:
	v_cmp_lt_i16_e32 vcc_lo, 24, v10
	s_cbranch_vccz .LBB119_650
; %bb.646:
	v_mov_b32_e32 v2, 0x80
	s_and_not1_b32 vcc_lo, exec_lo, s33
	s_cbranch_vccnz .LBB119_649
; %bb.647:
	v_mov_b32_e32 v2, 0
	s_or_b32 s3, s2, s34
	s_delay_alu instid0(SALU_CYCLE_1)
	s_and_not1_b32 vcc_lo, exec_lo, s3
	s_cbranch_vccnz .LBB119_649
; %bb.648:
	v_cndmask_b32_e64 v2, v17, v18, s2
	s_delay_alu instid0(VALU_DEP_1)
	v_or_b32_e32 v2, s27, v2
.LBB119_649:
	s_mov_b32 s3, 0
	global_store_b8 v[8:9], v2, off
.LBB119_650:
	s_and_b32 vcc_lo, exec_lo, s3
	s_cbranch_vccz .LBB119_652
; %bb.651:
	s_and_b32 s2, s29, exec_lo
	s_cselect_b32 s2, s31, s30
	s_and_b32 s3, s28, exec_lo
	s_cselect_b32 s2, s35, s2
	s_delay_alu instid0(SALU_CYCLE_1) | instskip(NEXT) | instid1(SALU_CYCLE_1)
	s_or_b32 s2, s2, s27
	v_mov_b32_e32 v2, s2
	global_store_b8 v[8:9], v2, off
.LBB119_652:
	s_mov_b32 s3, 0
.LBB119_653:
	s_delay_alu instid0(SALU_CYCLE_1)
	s_and_not1_b32 vcc_lo, exec_lo, s3
	s_cbranch_vccnz .LBB119_655
; %bb.654:
	v_mov_b32_e32 v2, s26
	global_store_b8 v[8:9], v2, off
.LBB119_655:
	s_mov_b32 s3, 0
.LBB119_656:
	s_delay_alu instid0(SALU_CYCLE_1)
	s_and_not1_b32 vcc_lo, exec_lo, s3
	s_cbranch_vccnz .LBB119_663
; %bb.657:
	v_cmp_lt_i16_e32 vcc_lo, 14, v10
	s_mov_b32 s2, -1
	s_cbranch_vccz .LBB119_661
; %bb.658:
	v_cmp_eq_u16_e32 vcc_lo, 15, v10
	s_mov_b32 s4, -1
	s_cbranch_vccz .LBB119_660
; %bb.659:
	s_mov_b32 s4, 0
	global_store_b16 v[8:9], v16, off
.LBB119_660:
	s_mov_b32 s2, 0
.LBB119_661:
	s_delay_alu instid0(SALU_CYCLE_1)
	s_and_b32 vcc_lo, exec_lo, s2
	s_cbranch_vccz .LBB119_663
; %bb.662:
	v_cmp_ne_u16_e32 vcc_lo, 11, v10
	s_and_not1_b32 s2, s4, exec_lo
	s_mov_b32 s6, -1
	s_and_b32 s3, vcc_lo, exec_lo
	s_delay_alu instid0(SALU_CYCLE_1)
	s_or_b32 s4, s2, s3
.LBB119_663:
	s_and_not1_b32 s2, s18, exec_lo
	s_and_b32 s3, s4, exec_lo
	s_and_b32 s17, s5, exec_lo
	;; [unrolled: 1-line block ×3, first 2 shown]
	s_or_b32 s48, s2, s3
.LBB119_664:
	s_or_b32 exec_lo, exec_lo, s41
	s_delay_alu instid0(SALU_CYCLE_1)
	s_and_not1_b32 s2, s18, exec_lo
	s_and_b32 s3, s48, exec_lo
	s_and_b32 s17, s17, exec_lo
	;; [unrolled: 1-line block ×3, first 2 shown]
	s_or_b32 s18, s2, s3
.LBB119_665:
	s_or_b32 exec_lo, exec_lo, s19
	s_delay_alu instid0(SALU_CYCLE_1)
	s_and_not1_b32 s2, s46, exec_lo
	s_and_b32 s3, s18, exec_lo
	s_and_b32 s17, s17, exec_lo
	s_and_b32 s16, s16, exec_lo
	s_or_b32 s46, s2, s3
.LBB119_666:
	s_or_b32 exec_lo, exec_lo, s47
	s_delay_alu instid0(SALU_CYCLE_1)
	s_and_not1_b32 s2, s44, exec_lo
	s_and_b32 s3, s46, exec_lo
	s_and_b32 s17, s17, exec_lo
	;; [unrolled: 1-line block ×3, first 2 shown]
	s_or_b32 s44, s2, s3
	s_or_b32 exec_lo, exec_lo, s45
	s_mov_b32 s2, 0
	s_and_saveexec_b32 s3, s44
	s_cbranch_execz .LBB119_118
.LBB119_667:
	s_cbranch_execnz .LBB119_669
; %bb.668:
	s_mov_b32 s2, exec_lo
	s_and_not1_b32 s46, s46, exec_lo
	s_or_b32 exec_lo, exec_lo, s3
	s_and_saveexec_b32 s3, s46
	s_delay_alu instid0(SALU_CYCLE_1)
	s_xor_b32 s3, exec_lo, s3
	s_cbranch_execnz .LBB119_119
	s_branch .LBB119_120
.LBB119_669:
	s_trap 2
	s_sendmsg_rtn_b32 s0, sendmsg(MSG_RTN_GET_DOORBELL)
	s_mov_b32 ttmp2, m0
	s_waitcnt lgkmcnt(0)
	s_and_b32 s0, s0, 0x3ff
	s_delay_alu instid0(SALU_CYCLE_1) | instskip(NEXT) | instid1(SALU_CYCLE_1)
	s_bitset1_b32 s0, 10
	s_mov_b32 m0, s0
	s_sendmsg sendmsg(MSG_INTERRUPT)
	s_mov_b32 m0, ttmp2
.LBB119_670:                            ; =>This Inner Loop Header: Depth=1
	s_sethalt 5
	s_branch .LBB119_670
.LBB119_671:
	s_mov_b32 s9, -1
	s_mov_b32 s8, 0
                                        ; implicit-def: $vgpr4
.LBB119_672:
	s_and_not1_b32 vcc_lo, exec_lo, s9
                                        ; implicit-def: $sgpr9
	s_cbranch_vccnz .LBB119_674
; %bb.673:
	v_add_f32_e64 v4, 0x42800000, |s5|
	s_mov_b32 s9, 0
	s_delay_alu instid0(VALU_DEP_1) | instskip(NEXT) | instid1(VALU_DEP_1)
	v_and_b32_e32 v4, 0xff, v4
	v_cmp_ne_u32_e64 s8, 0, v4
.LBB119_674:
	v_mov_b32_e32 v6, s9
	s_delay_alu instid0(VALU_DEP_2)
	s_and_not1_b32 vcc_lo, exec_lo, s8
	s_cbranch_vccnz .LBB119_676
; %bb.675:
	s_lshr_b32 s5, s5, 24
	s_delay_alu instid0(SALU_CYCLE_1) | instskip(NEXT) | instid1(SALU_CYCLE_1)
	s_and_b32 s5, s5, 0x80
	v_or_b32_e32 v6, s5, v4
.LBB119_676:
	s_mov_b32 s5, 0
	global_store_b8 v[2:3], v6, off
.LBB119_677:
	s_and_b32 vcc_lo, exec_lo, s5
	s_cbranch_vccz .LBB119_689
; %bb.678:
	s_lshl_b32 s5, s2, 8
	s_lshl_b32 s8, s2, 25
	s_and_b32 s5, s5, 0x7f00
	s_lshr_b32 s9, s8, 4
	s_or_b32 s5, s5, 0.5
	s_or_b32 s9, s9, 0x70000000
	v_add_f32_e64 v4, s5, -0.5
	v_mul_f32_e64 v6, 0x7800000, s9
	s_cmp_lt_u32 s8, 0x8000000
	s_cselect_b32 vcc_lo, -1, 0
	s_lshl_b32 s5, s2, 24
	s_delay_alu instid0(VALU_DEP_1) | instskip(SKIP_1) | instid1(VALU_DEP_1)
	v_cndmask_b32_e32 v4, v6, v4, vcc_lo
	s_and_b32 s5, s5, 0x80000000
	v_readfirstlane_b32 s9, v4
	s_delay_alu instid0(VALU_DEP_1) | instskip(NEXT) | instid1(SALU_CYCLE_1)
	s_or_b32 s5, s5, s9
	s_and_b32 s8, s5, 0x7fffffff
	s_delay_alu instid0(SALU_CYCLE_1)
	s_cmp_lt_u32 s8, 0x43f00000
	s_cbranch_scc0 .LBB119_681
; %bb.679:
	s_cmp_gt_u32 s8, 0x3c7fffff
	s_cbranch_scc0 .LBB119_682
; %bb.680:
	s_bfe_u32 s9, s9, 0x10014
	s_delay_alu instid0(SALU_CYCLE_1) | instskip(NEXT) | instid1(SALU_CYCLE_1)
	s_add_i32 s9, s5, s9
	s_add_i32 s9, s9, 0x407ffff
	s_delay_alu instid0(SALU_CYCLE_1)
	s_and_b32 s10, s9, 0xff00000
	s_lshr_b32 s9, s9, 20
	s_cmp_lg_u32 s10, 0x7f00000
	s_cselect_b32 s10, s9, 0x7e
	s_mov_b32 s9, 0
	s_branch .LBB119_683
.LBB119_681:
	s_mov_b32 s9, -1
                                        ; implicit-def: $vgpr4
	s_branch .LBB119_686
.LBB119_682:
	s_mov_b32 s9, -1
                                        ; implicit-def: $sgpr10
.LBB119_683:
	v_mov_b32_e32 v4, s10
	s_and_not1_b32 vcc_lo, exec_lo, s9
	s_cbranch_vccnz .LBB119_685
; %bb.684:
	v_add_f32_e64 v4, 0x46800000, |s5|
.LBB119_685:
	s_mov_b32 s9, 0
.LBB119_686:
	s_delay_alu instid0(SALU_CYCLE_1)
	s_and_not1_b32 vcc_lo, exec_lo, s9
	s_cbranch_vccnz .LBB119_688
; %bb.687:
	s_cmp_gt_u32 s8, 0x7f800000
	s_movk_i32 s8, 0x7f
	s_delay_alu instid0(SALU_CYCLE_1) | instskip(NEXT) | instid1(SALU_CYCLE_1)
	s_cselect_b32 s8, s8, 0x7e
	v_mov_b32_e32 v4, s8
.LBB119_688:
	s_lshr_b32 s5, s5, 24
	s_delay_alu instid0(SALU_CYCLE_1)
	s_and_b32 s5, s5, 0x80
	s_delay_alu instid0(VALU_DEP_1) | instid1(SALU_CYCLE_1)
	v_or_b32_e32 v4, s5, v4
	global_store_b8 v[2:3], v4, off
.LBB119_689:
	s_mov_b32 s5, 0
.LBB119_690:
	s_delay_alu instid0(SALU_CYCLE_1)
	s_and_not1_b32 vcc_lo, exec_lo, s5
	s_cbranch_vccnz .LBB119_692
; %bb.691:
	v_mov_b32_e32 v4, s2
	global_store_b8 v[2:3], v4, off
.LBB119_692:
	s_mov_b32 s5, 0
	s_mov_b32 s8, -1
.LBB119_693:
	s_and_not1_b32 vcc_lo, exec_lo, s5
	s_mov_b32 s5, 0
	s_cbranch_vccnz .LBB119_700
; %bb.694:
	v_cmp_lt_i16_e32 vcc_lo, 14, v5
	s_mov_b32 s5, -1
	s_cbranch_vccz .LBB119_698
; %bb.695:
	v_cmp_eq_u16_e32 vcc_lo, 15, v5
	s_mov_b32 s4, -1
	s_cbranch_vccz .LBB119_697
; %bb.696:
	s_lshl_b32 s4, s2, 8
	s_lshl_b32 s5, s2, 25
	s_and_b32 s4, s4, 0x7f00
	s_lshr_b32 s8, s5, 4
	s_or_b32 s4, s4, 0.5
	s_or_b32 s8, s8, 0x70000000
	v_add_f32_e64 v4, s4, -0.5
	v_mul_f32_e64 v6, 0x7800000, s8
	s_cmp_lt_u32 s5, 0x8000000
	s_mov_b32 s8, -1
	s_cselect_b32 vcc_lo, -1, 0
	s_lshl_b32 s4, s2, 24
	v_cndmask_b32_e32 v4, v6, v4, vcc_lo
	s_and_b32 s4, s4, 0x80000000
	s_delay_alu instid0(VALU_DEP_1) | instid1(SALU_CYCLE_1)
	v_or_b32_e32 v6, s4, v4
	v_bfe_u32 v4, v4, 16, 1
	s_mov_b32 s4, 0
	s_delay_alu instid0(VALU_DEP_2) | instskip(NEXT) | instid1(VALU_DEP_2)
	v_cmp_o_f32_e32 vcc_lo, v6, v6
	v_add_nc_u32_e32 v4, v6, v4
	s_delay_alu instid0(VALU_DEP_1) | instskip(NEXT) | instid1(VALU_DEP_1)
	v_add_nc_u32_e32 v4, 0x7fff, v4
	v_lshrrev_b32_e32 v4, 16, v4
	s_delay_alu instid0(VALU_DEP_1)
	v_cndmask_b32_e32 v4, 0x7fc0, v4, vcc_lo
	global_store_b16 v[2:3], v4, off
.LBB119_697:
	s_mov_b32 s5, 0
.LBB119_698:
	s_delay_alu instid0(SALU_CYCLE_1)
	s_and_b32 vcc_lo, exec_lo, s5
	s_mov_b32 s5, 0
	s_cbranch_vccz .LBB119_700
; %bb.699:
	v_cmp_ne_u16_e64 s4, 11, v5
	s_mov_b32 s5, -1
.LBB119_700:
	s_delay_alu instid0(VALU_DEP_1)
	s_and_b32 vcc_lo, exec_lo, s4
	s_cbranch_vccnz .LBB119_772
; %bb.701:
	s_and_not1_b32 vcc_lo, exec_lo, s5
	s_cbranch_vccnz .LBB119_703
.LBB119_702:
	s_lshl_b32 s4, s2, 8
	s_lshl_b32 s5, s2, 25
	s_and_b32 s4, s4, 0x7f00
	s_lshr_b32 s8, s5, 4
	s_or_b32 s4, s4, 0.5
	s_or_b32 s8, s8, 0x70000000
	v_add_f32_e64 v4, s4, -0.5
	v_mul_f32_e64 v6, 0x7800000, s8
	s_cmp_lt_u32 s5, 0x8000000
	s_mov_b32 s8, -1
	s_cselect_b32 vcc_lo, -1, 0
	s_delay_alu instid0(VALU_DEP_1) | instskip(NEXT) | instid1(VALU_DEP_1)
	v_cndmask_b32_e32 v4, v6, v4, vcc_lo
	v_cmp_neq_f32_e32 vcc_lo, 0, v4
	v_cndmask_b32_e64 v4, 0, 1, vcc_lo
	global_store_b8 v[2:3], v4, off
.LBB119_703:
	s_mov_b32 s4, 0
.LBB119_704:
	s_delay_alu instid0(SALU_CYCLE_1)
	s_and_b32 vcc_lo, exec_lo, s4
	s_cbranch_vccz .LBB119_743
; %bb.705:
	v_cmp_gt_i16_e32 vcc_lo, 5, v5
	s_mov_b32 s4, -1
	s_cbranch_vccnz .LBB119_726
; %bb.706:
	v_cmp_gt_i16_e32 vcc_lo, 8, v5
	s_cbranch_vccnz .LBB119_716
; %bb.707:
	v_cmp_gt_i16_e32 vcc_lo, 9, v5
	s_cbranch_vccnz .LBB119_713
; %bb.708:
	v_cmp_lt_i16_e32 vcc_lo, 9, v5
	s_cbranch_vccz .LBB119_710
; %bb.709:
	s_lshl_b32 s4, s2, 8
	s_lshl_b32 s5, s2, 25
	s_and_b32 s4, s4, 0x7f00
	s_lshr_b32 s8, s5, 4
	s_or_b32 s4, s4, 0.5
	s_or_b32 s8, s8, 0x70000000
	v_add_f32_e64 v4, s4, -0.5
	v_mul_f32_e64 v6, 0x7800000, s8
	s_cmp_lt_u32 s5, 0x8000000
	v_mov_b32_e32 v8, 0
	s_cselect_b32 vcc_lo, -1, 0
	s_lshl_b32 s4, s2, 24
	v_cndmask_b32_e32 v4, v6, v4, vcc_lo
	s_and_b32 s4, s4, 0x80000000
	v_mov_b32_e32 v9, v8
	s_delay_alu instid0(VALU_DEP_2) | instskip(SKIP_1) | instid1(VALU_DEP_1)
	v_or_b32_e32 v4, s4, v4
	s_mov_b32 s4, 0
	v_cvt_f64_f32_e32 v[6:7], v4
	global_store_b128 v[2:3], v[6:9], off
.LBB119_710:
	s_and_not1_b32 vcc_lo, exec_lo, s4
	s_cbranch_vccnz .LBB119_712
; %bb.711:
	s_lshl_b32 s4, s2, 8
	s_lshl_b32 s5, s2, 25
	s_and_b32 s4, s4, 0x7f00
	s_lshr_b32 s8, s5, 4
	s_or_b32 s4, s4, 0.5
	s_or_b32 s8, s8, 0x70000000
	v_add_f32_e64 v4, s4, -0.5
	v_mul_f32_e64 v6, 0x7800000, s8
	s_cmp_lt_u32 s5, 0x8000000
	v_mov_b32_e32 v7, 0
	s_cselect_b32 vcc_lo, -1, 0
	s_lshl_b32 s4, s2, 24
	v_cndmask_b32_e32 v4, v6, v4, vcc_lo
	s_and_b32 s4, s4, 0x80000000
	s_delay_alu instid0(VALU_DEP_1) | instid1(SALU_CYCLE_1)
	v_or_b32_e32 v6, s4, v4
	global_store_b64 v[2:3], v[6:7], off
.LBB119_712:
	s_mov_b32 s4, 0
.LBB119_713:
	s_delay_alu instid0(SALU_CYCLE_1)
	s_and_not1_b32 vcc_lo, exec_lo, s4
	s_cbranch_vccnz .LBB119_715
; %bb.714:
	s_lshl_b32 s4, s2, 8
	s_lshl_b32 s5, s2, 25
	s_and_b32 s4, s4, 0x7f00
	s_lshr_b32 s8, s5, 4
	s_or_b32 s4, s4, 0.5
	s_or_b32 s8, s8, 0x70000000
	v_add_f32_e64 v4, s4, -0.5
	v_mul_f32_e64 v6, 0x7800000, s8
	s_cmp_lt_u32 s5, 0x8000000
	s_cselect_b32 vcc_lo, -1, 0
	s_lshl_b32 s4, s2, 24
	s_delay_alu instid0(VALU_DEP_1)
	v_cndmask_b32_e32 v4, v6, v4, vcc_lo
	s_and_b32 s4, s4, 0x80000000
	s_delay_alu instid0(VALU_DEP_1) | instid1(SALU_CYCLE_1)
	v_or_b32_e32 v4, s4, v4
	s_delay_alu instid0(VALU_DEP_1) | instskip(NEXT) | instid1(VALU_DEP_1)
	v_cvt_f16_f32_e32 v4, v4
	v_and_b32_e32 v4, 0xffff, v4
	global_store_b32 v[2:3], v4, off
.LBB119_715:
	s_mov_b32 s4, 0
.LBB119_716:
	s_delay_alu instid0(SALU_CYCLE_1)
	s_and_not1_b32 vcc_lo, exec_lo, s4
	s_cbranch_vccnz .LBB119_725
; %bb.717:
	v_cmp_gt_i16_e32 vcc_lo, 6, v5
	s_mov_b32 s4, -1
	s_cbranch_vccnz .LBB119_723
; %bb.718:
	v_cmp_lt_i16_e32 vcc_lo, 6, v5
	s_cbranch_vccz .LBB119_720
; %bb.719:
	s_lshl_b32 s4, s2, 8
	s_lshl_b32 s5, s2, 25
	s_and_b32 s4, s4, 0x7f00
	s_lshr_b32 s8, s5, 4
	s_or_b32 s4, s4, 0.5
	s_or_b32 s8, s8, 0x70000000
	v_add_f32_e64 v4, s4, -0.5
	v_mul_f32_e64 v6, 0x7800000, s8
	s_cmp_lt_u32 s5, 0x8000000
	s_cselect_b32 vcc_lo, -1, 0
	s_lshl_b32 s4, s2, 24
	s_delay_alu instid0(VALU_DEP_1)
	v_cndmask_b32_e32 v4, v6, v4, vcc_lo
	s_and_b32 s4, s4, 0x80000000
	s_delay_alu instid0(VALU_DEP_1) | instid1(SALU_CYCLE_1)
	v_or_b32_e32 v4, s4, v4
	s_mov_b32 s4, 0
	s_delay_alu instid0(VALU_DEP_1)
	v_cvt_f64_f32_e32 v[6:7], v4
	global_store_b64 v[2:3], v[6:7], off
.LBB119_720:
	s_and_not1_b32 vcc_lo, exec_lo, s4
	s_cbranch_vccnz .LBB119_722
; %bb.721:
	s_lshl_b32 s4, s2, 8
	s_lshl_b32 s5, s2, 25
	s_and_b32 s4, s4, 0x7f00
	s_lshr_b32 s8, s5, 4
	s_or_b32 s4, s4, 0.5
	s_or_b32 s8, s8, 0x70000000
	v_add_f32_e64 v4, s4, -0.5
	v_mul_f32_e64 v6, 0x7800000, s8
	s_cmp_lt_u32 s5, 0x8000000
	s_cselect_b32 vcc_lo, -1, 0
	s_lshl_b32 s4, s2, 24
	s_delay_alu instid0(VALU_DEP_1)
	v_cndmask_b32_e32 v4, v6, v4, vcc_lo
	s_and_b32 s4, s4, 0x80000000
	s_delay_alu instid0(VALU_DEP_1) | instid1(SALU_CYCLE_1)
	v_or_b32_e32 v4, s4, v4
	global_store_b32 v[2:3], v4, off
.LBB119_722:
	s_mov_b32 s4, 0
.LBB119_723:
	s_delay_alu instid0(SALU_CYCLE_1)
	s_and_not1_b32 vcc_lo, exec_lo, s4
	s_cbranch_vccnz .LBB119_725
; %bb.724:
	s_lshl_b32 s4, s2, 8
	s_lshl_b32 s5, s2, 25
	s_and_b32 s4, s4, 0x7f00
	s_lshr_b32 s8, s5, 4
	s_or_b32 s4, s4, 0.5
	s_or_b32 s8, s8, 0x70000000
	v_add_f32_e64 v4, s4, -0.5
	v_mul_f32_e64 v6, 0x7800000, s8
	s_cmp_lt_u32 s5, 0x8000000
	s_cselect_b32 vcc_lo, -1, 0
	s_lshl_b32 s4, s2, 24
	s_delay_alu instid0(VALU_DEP_1)
	v_cndmask_b32_e32 v4, v6, v4, vcc_lo
	s_and_b32 s4, s4, 0x80000000
	s_delay_alu instid0(VALU_DEP_1) | instid1(SALU_CYCLE_1)
	v_or_b32_e32 v4, s4, v4
	s_delay_alu instid0(VALU_DEP_1)
	v_cvt_f16_f32_e32 v4, v4
	global_store_b16 v[2:3], v4, off
.LBB119_725:
	s_mov_b32 s4, 0
.LBB119_726:
	s_delay_alu instid0(SALU_CYCLE_1)
	s_and_not1_b32 vcc_lo, exec_lo, s4
	s_cbranch_vccnz .LBB119_742
; %bb.727:
	v_cmp_gt_i16_e32 vcc_lo, 2, v5
	s_mov_b32 s4, -1
	s_cbranch_vccnz .LBB119_737
; %bb.728:
	v_cmp_gt_i16_e32 vcc_lo, 3, v5
	s_cbranch_vccnz .LBB119_734
; %bb.729:
	v_cmp_lt_i16_e32 vcc_lo, 3, v5
	s_cbranch_vccz .LBB119_731
; %bb.730:
	s_lshl_b32 s4, s2, 8
	s_lshl_b32 s5, s2, 25
	s_and_b32 s4, s4, 0x7f00
	s_lshr_b32 s8, s5, 4
	s_or_b32 s4, s4, 0.5
	s_or_b32 s8, s8, 0x70000000
	v_add_f32_e64 v4, s4, -0.5
	v_mul_f32_e64 v6, 0x7800000, s8
	s_cmp_lt_u32 s5, 0x8000000
	s_cselect_b32 vcc_lo, -1, 0
	s_lshl_b32 s4, s2, 24
	s_delay_alu instid0(VALU_DEP_1)
	v_cndmask_b32_e32 v4, v6, v4, vcc_lo
	s_and_b32 s4, s4, 0x80000000
	s_delay_alu instid0(VALU_DEP_1) | instid1(SALU_CYCLE_1)
	v_or_b32_e32 v4, s4, v4
	s_mov_b32 s4, 0
	s_delay_alu instid0(VALU_DEP_1) | instskip(NEXT) | instid1(VALU_DEP_1)
	v_trunc_f32_e32 v4, v4
	v_mul_f32_e64 v6, 0x2f800000, |v4|
	s_delay_alu instid0(VALU_DEP_1) | instskip(NEXT) | instid1(VALU_DEP_1)
	v_floor_f32_e32 v6, v6
	v_fma_f32 v7, 0xcf800000, v6, |v4|
	v_ashrrev_i32_e32 v4, 31, v4
	v_cvt_u32_f32_e32 v6, v6
	s_delay_alu instid0(VALU_DEP_3) | instskip(NEXT) | instid1(VALU_DEP_2)
	v_cvt_u32_f32_e32 v7, v7
	v_xor_b32_e32 v8, v6, v4
	s_delay_alu instid0(VALU_DEP_2) | instskip(NEXT) | instid1(VALU_DEP_1)
	v_xor_b32_e32 v7, v7, v4
	v_sub_co_u32 v6, vcc_lo, v7, v4
	s_delay_alu instid0(VALU_DEP_3)
	v_sub_co_ci_u32_e32 v7, vcc_lo, v8, v4, vcc_lo
	global_store_b64 v[2:3], v[6:7], off
.LBB119_731:
	s_and_not1_b32 vcc_lo, exec_lo, s4
	s_cbranch_vccnz .LBB119_733
; %bb.732:
	s_lshl_b32 s4, s2, 8
	s_lshl_b32 s5, s2, 25
	s_and_b32 s4, s4, 0x7f00
	s_lshr_b32 s8, s5, 4
	s_or_b32 s4, s4, 0.5
	s_or_b32 s8, s8, 0x70000000
	v_add_f32_e64 v4, s4, -0.5
	v_mul_f32_e64 v6, 0x7800000, s8
	s_cmp_lt_u32 s5, 0x8000000
	s_cselect_b32 vcc_lo, -1, 0
	s_lshl_b32 s4, s2, 24
	s_delay_alu instid0(VALU_DEP_1)
	v_cndmask_b32_e32 v4, v6, v4, vcc_lo
	s_and_b32 s4, s4, 0x80000000
	s_delay_alu instid0(VALU_DEP_1) | instid1(SALU_CYCLE_1)
	v_or_b32_e32 v4, s4, v4
	s_delay_alu instid0(VALU_DEP_1)
	v_cvt_i32_f32_e32 v4, v4
	global_store_b32 v[2:3], v4, off
.LBB119_733:
	s_mov_b32 s4, 0
.LBB119_734:
	s_delay_alu instid0(SALU_CYCLE_1)
	s_and_not1_b32 vcc_lo, exec_lo, s4
	s_cbranch_vccnz .LBB119_736
; %bb.735:
	s_lshl_b32 s4, s2, 8
	s_lshl_b32 s5, s2, 25
	s_and_b32 s4, s4, 0x7f00
	s_lshr_b32 s8, s5, 4
	s_or_b32 s4, s4, 0.5
	s_or_b32 s8, s8, 0x70000000
	v_add_f32_e64 v4, s4, -0.5
	v_mul_f32_e64 v6, 0x7800000, s8
	s_cmp_lt_u32 s5, 0x8000000
	s_cselect_b32 vcc_lo, -1, 0
	s_lshl_b32 s4, s2, 24
	s_delay_alu instid0(VALU_DEP_1)
	v_cndmask_b32_e32 v4, v6, v4, vcc_lo
	s_and_b32 s4, s4, 0x80000000
	s_delay_alu instid0(VALU_DEP_1) | instid1(SALU_CYCLE_1)
	v_or_b32_e32 v4, s4, v4
	s_delay_alu instid0(VALU_DEP_1)
	v_cvt_i32_f32_e32 v4, v4
	global_store_b16 v[2:3], v4, off
.LBB119_736:
	s_mov_b32 s4, 0
.LBB119_737:
	s_delay_alu instid0(SALU_CYCLE_1)
	s_and_not1_b32 vcc_lo, exec_lo, s4
	s_cbranch_vccnz .LBB119_742
; %bb.738:
	v_cmp_lt_i16_e32 vcc_lo, 0, v5
	s_mov_b32 s4, -1
	s_cbranch_vccz .LBB119_740
; %bb.739:
	s_lshl_b32 s4, s2, 8
	s_lshl_b32 s5, s2, 25
	s_and_b32 s4, s4, 0x7f00
	s_lshr_b32 s8, s5, 4
	s_or_b32 s4, s4, 0.5
	s_or_b32 s8, s8, 0x70000000
	v_add_f32_e64 v4, s4, -0.5
	v_mul_f32_e64 v6, 0x7800000, s8
	s_cmp_lt_u32 s5, 0x8000000
	s_cselect_b32 vcc_lo, -1, 0
	s_lshl_b32 s4, s2, 24
	s_delay_alu instid0(VALU_DEP_1)
	v_cndmask_b32_e32 v4, v6, v4, vcc_lo
	s_and_b32 s4, s4, 0x80000000
	s_delay_alu instid0(VALU_DEP_1) | instid1(SALU_CYCLE_1)
	v_or_b32_e32 v4, s4, v4
	s_mov_b32 s4, 0
	s_delay_alu instid0(VALU_DEP_1)
	v_cvt_i32_f32_e32 v4, v4
	global_store_b8 v[2:3], v4, off
.LBB119_740:
	s_and_not1_b32 vcc_lo, exec_lo, s4
	s_cbranch_vccnz .LBB119_742
; %bb.741:
	s_lshl_b32 s4, s2, 8
	s_lshl_b32 s5, s2, 25
	s_and_b32 s4, s4, 0x7f00
	s_lshr_b32 s8, s5, 4
	s_or_b32 s4, s4, 0.5
	s_or_b32 s8, s8, 0x70000000
	v_add_f32_e64 v4, s4, -0.5
	v_mul_f32_e64 v6, 0x7800000, s8
	s_cmp_lt_u32 s5, 0x8000000
	s_cselect_b32 vcc_lo, -1, 0
	s_lshl_b32 s4, s2, 24
	s_delay_alu instid0(VALU_DEP_1)
	v_cndmask_b32_e32 v4, v6, v4, vcc_lo
	s_and_b32 s4, s4, 0x80000000
	s_delay_alu instid0(VALU_DEP_1) | instid1(SALU_CYCLE_1)
	v_or_b32_e32 v4, s4, v4
	s_delay_alu instid0(VALU_DEP_1) | instskip(NEXT) | instid1(VALU_DEP_1)
	v_trunc_f32_e32 v4, v4
	v_mul_f32_e64 v6, 0x2f800000, |v4|
	s_delay_alu instid0(VALU_DEP_1) | instskip(NEXT) | instid1(VALU_DEP_1)
	v_floor_f32_e32 v6, v6
	v_fma_f32 v6, 0xcf800000, v6, |v4|
	v_ashrrev_i32_e32 v4, 31, v4
	s_delay_alu instid0(VALU_DEP_2) | instskip(NEXT) | instid1(VALU_DEP_1)
	v_cvt_u32_f32_e32 v6, v6
	v_xor_b32_e32 v6, v6, v4
	s_delay_alu instid0(VALU_DEP_1)
	v_sub_nc_u32_e32 v4, v6, v4
	global_store_b8 v[2:3], v4, off
.LBB119_742:
	s_mov_b32 s8, -1
.LBB119_743:
	s_delay_alu instid0(SALU_CYCLE_1)
	s_and_not1_b32 vcc_lo, exec_lo, s8
	s_cbranch_vccnz .LBB119_893
; %bb.744:
	v_cmp_gt_i16_e32 vcc_lo, 11, v5
	v_add_co_u32 v1, s4, s0, v1
	s_delay_alu instid0(VALU_DEP_1)
	v_add_co_ci_u32_e64 v2, null, s1, 0, s4
	s_mov_b32 s8, 0
	s_mov_b32 s4, -1
	s_cbranch_vccnz .LBB119_824
; %bb.745:
	v_cmp_lt_i16_e32 vcc_lo, 25, v5
	s_mov_b32 s9, -1
	s_mov_b32 s5, 0
	s_mov_b32 s4, 0
	s_cbranch_vccz .LBB119_784
; %bb.746:
	v_cmp_lt_i16_e32 vcc_lo, 28, v5
	s_cbranch_vccz .LBB119_761
; %bb.747:
	v_cmp_lt_i16_e32 vcc_lo, 43, v5
	;; [unrolled: 3-line block ×3, first 2 shown]
	s_cbranch_vccz .LBB119_751
; %bb.749:
	v_cmp_eq_u16_e32 vcc_lo, 46, v5
	s_mov_b32 s4, -1
	s_mov_b32 s9, 0
	s_cbranch_vccz .LBB119_751
; %bb.750:
	s_lshl_b32 s4, s2, 8
	s_lshl_b32 s8, s2, 25
	s_and_b32 s4, s4, 0x7f00
	s_lshr_b32 s10, s8, 4
	s_or_b32 s4, s4, 0.5
	s_or_b32 s10, s10, 0x70000000
	v_add_f32_e64 v3, s4, -0.5
	v_mul_f32_e64 v4, 0x7800000, s10
	s_cmp_lt_u32 s8, 0x8000000
	s_mov_b32 s8, -1
	s_cselect_b32 vcc_lo, -1, 0
	s_lshl_b32 s4, s2, 24
	v_cndmask_b32_e32 v3, v4, v3, vcc_lo
	s_and_b32 s4, s4, 0x80000000
	s_delay_alu instid0(VALU_DEP_1) | instid1(SALU_CYCLE_1)
	v_or_b32_e32 v4, s4, v3
	v_bfe_u32 v3, v3, 16, 1
	s_mov_b32 s4, 0
	s_delay_alu instid0(VALU_DEP_2) | instskip(NEXT) | instid1(VALU_DEP_2)
	v_cmp_o_f32_e32 vcc_lo, v4, v4
	v_add_nc_u32_e32 v3, v4, v3
	s_delay_alu instid0(VALU_DEP_1) | instskip(NEXT) | instid1(VALU_DEP_1)
	v_add_nc_u32_e32 v3, 0x7fff, v3
	v_lshrrev_b32_e32 v3, 16, v3
	s_delay_alu instid0(VALU_DEP_1)
	v_cndmask_b32_e32 v3, 0x7fc0, v3, vcc_lo
	global_store_b32 v[1:2], v3, off
.LBB119_751:
	s_and_b32 vcc_lo, exec_lo, s9
	s_cbranch_vccz .LBB119_756
; %bb.752:
	v_cmp_eq_u16_e32 vcc_lo, 44, v5
	s_mov_b32 s4, -1
	s_cbranch_vccz .LBB119_756
; %bb.753:
	s_lshl_b32 s4, s2, 8
	s_lshl_b32 s8, s2, 25
	s_and_b32 s4, s4, 0x7f00
	s_lshr_b32 s9, s8, 4
	s_or_b32 s4, s4, 0.5
	s_or_b32 s9, s9, 0x70000000
	v_add_f32_e64 v3, s4, -0.5
	v_mul_f32_e64 v4, 0x7800000, s9
	s_cmp_lt_u32 s8, 0x8000000
	s_cselect_b32 vcc_lo, -1, 0
	s_delay_alu instid0(VALU_DEP_1) | instskip(NEXT) | instid1(VALU_DEP_1)
	v_dual_cndmask_b32 v3, v4, v3 :: v_dual_mov_b32 v4, 0xff
	v_readfirstlane_b32 s4, v3
	s_delay_alu instid0(VALU_DEP_1) | instskip(NEXT) | instid1(SALU_CYCLE_1)
	s_bfe_u32 s8, s4, 0x80017
	s_cmpk_eq_i32 s8, 0xff
	s_cbranch_scc1 .LBB119_755
; %bb.754:
	s_bitcmp1_b32 s4, 22
	v_lshrrev_b32_e32 v3, 23, v3
	s_cselect_b32 s9, -1, 0
	s_and_b32 s4, s4, 0x3fffff
	s_delay_alu instid0(SALU_CYCLE_1) | instskip(NEXT) | instid1(SALU_CYCLE_1)
	s_or_b32 s4, s8, s4
	s_cmp_lg_u32 s4, 0
	s_cselect_b32 s4, -1, 0
	s_delay_alu instid0(SALU_CYCLE_1) | instskip(NEXT) | instid1(SALU_CYCLE_1)
	s_and_b32 s4, s9, s4
	v_cndmask_b32_e64 v4, 0, 1, s4
	s_delay_alu instid0(VALU_DEP_1)
	v_add_nc_u32_e32 v4, v3, v4
.LBB119_755:
	s_mov_b32 s4, 0
	s_mov_b32 s8, -1
	global_store_b8 v[1:2], v4, off
.LBB119_756:
	s_mov_b32 s9, 0
.LBB119_757:
	s_delay_alu instid0(SALU_CYCLE_1)
	s_and_b32 vcc_lo, exec_lo, s9
	s_cbranch_vccz .LBB119_760
; %bb.758:
	v_cmp_eq_u16_e32 vcc_lo, 29, v5
	s_mov_b32 s4, -1
	s_cbranch_vccz .LBB119_760
; %bb.759:
	s_lshl_b32 s4, s2, 8
	s_lshl_b32 s8, s2, 25
	s_and_b32 s4, s4, 0x7f00
	s_lshr_b32 s9, s8, 4
	s_or_b32 s4, s4, 0.5
	s_or_b32 s9, s9, 0x70000000
	v_add_f32_e64 v3, s4, -0.5
	v_mul_f32_e64 v4, 0x7800000, s9
	s_cmp_lt_u32 s8, 0x8000000
	s_mov_b32 s8, -1
	s_cselect_b32 vcc_lo, -1, 0
	s_lshl_b32 s4, s2, 24
	v_cndmask_b32_e32 v3, v4, v3, vcc_lo
	s_and_b32 s4, s4, 0x80000000
	s_delay_alu instid0(VALU_DEP_1) | instid1(SALU_CYCLE_1)
	v_or_b32_e32 v3, s4, v3
	s_mov_b32 s4, 0
	s_delay_alu instid0(VALU_DEP_1) | instskip(NEXT) | instid1(VALU_DEP_1)
	v_trunc_f32_e32 v3, v3
	v_mul_f32_e32 v4, 0x2f800000, v3
	s_delay_alu instid0(VALU_DEP_1) | instskip(NEXT) | instid1(VALU_DEP_1)
	v_floor_f32_e32 v4, v4
	v_fmamk_f32 v3, v4, 0xcf800000, v3
	v_cvt_u32_f32_e32 v4, v4
	s_delay_alu instid0(VALU_DEP_2)
	v_cvt_u32_f32_e32 v3, v3
	global_store_b64 v[1:2], v[3:4], off
.LBB119_760:
	s_mov_b32 s9, 0
.LBB119_761:
	s_delay_alu instid0(SALU_CYCLE_1)
	s_and_b32 vcc_lo, exec_lo, s9
	s_cbranch_vccz .LBB119_783
; %bb.762:
	v_cmp_gt_i16_e32 vcc_lo, 27, v5
	s_mov_b32 s8, -1
	s_cbranch_vccnz .LBB119_768
; %bb.763:
	v_cmp_lt_i16_e32 vcc_lo, 27, v5
	s_cbranch_vccz .LBB119_765
; %bb.764:
	s_lshl_b32 s8, s2, 8
	s_lshl_b32 s9, s2, 25
	s_and_b32 s8, s8, 0x7f00
	s_lshr_b32 s10, s9, 4
	s_or_b32 s8, s8, 0.5
	s_or_b32 s10, s10, 0x70000000
	v_add_f32_e64 v3, s8, -0.5
	v_mul_f32_e64 v4, 0x7800000, s10
	s_cmp_lt_u32 s9, 0x8000000
	s_cselect_b32 vcc_lo, -1, 0
	s_lshl_b32 s8, s2, 24
	s_delay_alu instid0(VALU_DEP_1)
	v_cndmask_b32_e32 v3, v4, v3, vcc_lo
	s_and_b32 s8, s8, 0x80000000
	s_delay_alu instid0(VALU_DEP_1) | instid1(SALU_CYCLE_1)
	v_or_b32_e32 v3, s8, v3
	s_mov_b32 s8, 0
	s_delay_alu instid0(VALU_DEP_1)
	v_cvt_u32_f32_e32 v3, v3
	global_store_b32 v[1:2], v3, off
.LBB119_765:
	s_and_not1_b32 vcc_lo, exec_lo, s8
	s_cbranch_vccnz .LBB119_767
; %bb.766:
	s_lshl_b32 s8, s2, 8
	s_lshl_b32 s9, s2, 25
	s_and_b32 s8, s8, 0x7f00
	s_lshr_b32 s10, s9, 4
	s_or_b32 s8, s8, 0.5
	s_or_b32 s10, s10, 0x70000000
	v_add_f32_e64 v3, s8, -0.5
	v_mul_f32_e64 v4, 0x7800000, s10
	s_cmp_lt_u32 s9, 0x8000000
	s_cselect_b32 vcc_lo, -1, 0
	s_lshl_b32 s8, s2, 24
	s_delay_alu instid0(VALU_DEP_1)
	v_cndmask_b32_e32 v3, v4, v3, vcc_lo
	s_and_b32 s8, s8, 0x80000000
	s_delay_alu instid0(VALU_DEP_1) | instid1(SALU_CYCLE_1)
	v_or_b32_e32 v3, s8, v3
	s_delay_alu instid0(VALU_DEP_1)
	v_cvt_u32_f32_e32 v3, v3
	global_store_b16 v[1:2], v3, off
.LBB119_767:
	s_mov_b32 s8, 0
.LBB119_768:
	s_delay_alu instid0(SALU_CYCLE_1)
	s_and_not1_b32 vcc_lo, exec_lo, s8
	s_cbranch_vccnz .LBB119_782
; %bb.769:
	s_lshl_b32 s8, s2, 8
	s_lshl_b32 s9, s2, 25
	s_and_b32 s8, s8, 0x7f00
	s_lshr_b32 s10, s9, 4
	s_or_b32 s8, s8, 0.5
	s_or_b32 s10, s10, 0x70000000
	v_add_f32_e64 v3, s8, -0.5
	v_mul_f32_e64 v4, 0x7800000, s10
	s_cmp_lt_u32 s9, 0x8000000
	s_cselect_b32 vcc_lo, -1, 0
	s_lshl_b32 s9, s2, 24
	s_delay_alu instid0(VALU_DEP_1) | instskip(SKIP_1) | instid1(VALU_DEP_1)
	v_dual_cndmask_b32 v3, v4, v3 :: v_dual_mov_b32 v4, 0x80
	s_and_b32 s9, s9, 0x80000000
	v_readfirstlane_b32 s8, v3
	s_delay_alu instid0(VALU_DEP_1) | instskip(NEXT) | instid1(SALU_CYCLE_1)
	s_or_b32 s8, s9, s8
	s_and_b32 s9, s8, 0x7fffffff
	s_delay_alu instid0(SALU_CYCLE_1)
	s_cmp_gt_u32 s9, 0x437fffff
	s_cbranch_scc1 .LBB119_781
; %bb.770:
	s_cmp_gt_u32 s9, 0x3bffffff
	s_cbranch_scc0 .LBB119_776
; %bb.771:
	v_bfe_u32 v3, v3, 20, 1
	s_mov_b32 s10, 0
	s_mov_b32 s9, -1
	s_delay_alu instid0(VALU_DEP_1) | instskip(NEXT) | instid1(VALU_DEP_1)
	v_add_nc_u32_e32 v3, s8, v3
	v_add_nc_u32_e32 v3, 0x487ffff, v3
	s_delay_alu instid0(VALU_DEP_1)
	v_lshrrev_b32_e32 v3, 20, v3
	s_branch .LBB119_777
.LBB119_772:
	s_cbranch_execnz .LBB119_774
; %bb.773:
	s_or_b32 s3, s3, exec_lo
	s_cbranch_execz .LBB119_702
	s_branch .LBB119_703
.LBB119_774:
	s_trap 2
	s_sendmsg_rtn_b32 s0, sendmsg(MSG_RTN_GET_DOORBELL)
	s_mov_b32 ttmp2, m0
	s_waitcnt lgkmcnt(0)
	s_and_b32 s0, s0, 0x3ff
	s_delay_alu instid0(SALU_CYCLE_1) | instskip(NEXT) | instid1(SALU_CYCLE_1)
	s_bitset1_b32 s0, 10
	s_mov_b32 m0, s0
	s_sendmsg sendmsg(MSG_INTERRUPT)
	s_mov_b32 m0, ttmp2
.LBB119_775:                            ; =>This Inner Loop Header: Depth=1
	s_sethalt 5
	s_branch .LBB119_775
.LBB119_776:
	s_mov_b32 s10, -1
	s_mov_b32 s9, 0
                                        ; implicit-def: $vgpr3
.LBB119_777:
	s_and_not1_b32 vcc_lo, exec_lo, s10
                                        ; implicit-def: $sgpr10
	s_cbranch_vccnz .LBB119_779
; %bb.778:
	v_add_f32_e64 v3, 0x46000000, |s8|
	s_mov_b32 s10, 0
	s_delay_alu instid0(VALU_DEP_1) | instskip(NEXT) | instid1(VALU_DEP_1)
	v_and_b32_e32 v3, 0xff, v3
	v_cmp_ne_u32_e64 s9, 0, v3
.LBB119_779:
	v_mov_b32_e32 v4, s10
	s_delay_alu instid0(VALU_DEP_2)
	s_and_not1_b32 vcc_lo, exec_lo, s9
	s_cbranch_vccnz .LBB119_781
; %bb.780:
	s_lshr_b32 s8, s8, 24
	s_delay_alu instid0(SALU_CYCLE_1) | instskip(NEXT) | instid1(SALU_CYCLE_1)
	s_and_b32 s8, s8, 0x80
	v_or_b32_e32 v4, s8, v3
.LBB119_781:
	global_store_b8 v[1:2], v4, off
.LBB119_782:
	s_mov_b32 s8, -1
.LBB119_783:
	s_mov_b32 s9, 0
.LBB119_784:
	s_delay_alu instid0(SALU_CYCLE_1)
	s_and_b32 vcc_lo, exec_lo, s9
	s_cbranch_vccz .LBB119_820
; %bb.785:
	v_cmp_lt_i16_e32 vcc_lo, 22, v5
	s_mov_b32 s5, -1
	s_cbranch_vccz .LBB119_813
; %bb.786:
	v_cmp_gt_i16_e32 vcc_lo, 24, v5
	s_cbranch_vccnz .LBB119_810
; %bb.787:
	v_cmp_lt_i16_e32 vcc_lo, 24, v5
	s_cbranch_vccz .LBB119_797
; %bb.788:
	s_lshl_b32 s5, s2, 8
	s_lshl_b32 s8, s2, 25
	s_and_b32 s5, s5, 0x7f00
	s_lshr_b32 s9, s8, 4
	s_or_b32 s5, s5, 0.5
	s_or_b32 s9, s9, 0x70000000
	v_add_f32_e64 v3, s5, -0.5
	v_mul_f32_e64 v4, 0x7800000, s9
	s_cmp_lt_u32 s8, 0x8000000
	s_cselect_b32 vcc_lo, -1, 0
	s_lshl_b32 s8, s2, 24
	s_delay_alu instid0(VALU_DEP_1) | instskip(SKIP_1) | instid1(VALU_DEP_1)
	v_dual_cndmask_b32 v3, v4, v3 :: v_dual_mov_b32 v4, 0x80
	s_and_b32 s8, s8, 0x80000000
	v_readfirstlane_b32 s5, v3
	s_delay_alu instid0(VALU_DEP_1) | instskip(NEXT) | instid1(SALU_CYCLE_1)
	s_or_b32 s5, s8, s5
	s_and_b32 s8, s5, 0x7fffffff
	s_delay_alu instid0(SALU_CYCLE_1)
	s_cmp_gt_u32 s8, 0x477fffff
	s_cbranch_scc1 .LBB119_796
; %bb.789:
	s_cmp_gt_u32 s8, 0x37ffffff
	s_cbranch_scc0 .LBB119_791
; %bb.790:
	v_bfe_u32 v3, v3, 21, 1
	s_mov_b32 s9, 0
	s_mov_b32 s8, -1
	s_delay_alu instid0(VALU_DEP_1) | instskip(NEXT) | instid1(VALU_DEP_1)
	v_add_nc_u32_e32 v3, s5, v3
	v_add_nc_u32_e32 v3, 0x88fffff, v3
	s_delay_alu instid0(VALU_DEP_1)
	v_lshrrev_b32_e32 v3, 21, v3
	s_branch .LBB119_792
.LBB119_791:
	s_mov_b32 s9, -1
	s_mov_b32 s8, 0
                                        ; implicit-def: $vgpr3
.LBB119_792:
	s_and_not1_b32 vcc_lo, exec_lo, s9
                                        ; implicit-def: $sgpr9
	s_cbranch_vccnz .LBB119_794
; %bb.793:
	v_add_f32_e64 v3, 0x42800000, |s5|
	s_mov_b32 s9, 0
	s_delay_alu instid0(VALU_DEP_1) | instskip(NEXT) | instid1(VALU_DEP_1)
	v_and_b32_e32 v3, 0xff, v3
	v_cmp_ne_u32_e64 s8, 0, v3
.LBB119_794:
	v_mov_b32_e32 v4, s9
	s_delay_alu instid0(VALU_DEP_2)
	s_and_not1_b32 vcc_lo, exec_lo, s8
	s_cbranch_vccnz .LBB119_796
; %bb.795:
	s_lshr_b32 s5, s5, 24
	s_delay_alu instid0(SALU_CYCLE_1) | instskip(NEXT) | instid1(SALU_CYCLE_1)
	s_and_b32 s5, s5, 0x80
	v_or_b32_e32 v4, s5, v3
.LBB119_796:
	s_mov_b32 s5, 0
	global_store_b8 v[1:2], v4, off
.LBB119_797:
	s_and_b32 vcc_lo, exec_lo, s5
	s_cbranch_vccz .LBB119_809
; %bb.798:
	s_lshl_b32 s5, s2, 8
	s_lshl_b32 s8, s2, 25
	s_and_b32 s5, s5, 0x7f00
	s_lshr_b32 s9, s8, 4
	s_or_b32 s5, s5, 0.5
	s_or_b32 s9, s9, 0x70000000
	v_add_f32_e64 v3, s5, -0.5
	v_mul_f32_e64 v4, 0x7800000, s9
	s_cmp_lt_u32 s8, 0x8000000
	s_cselect_b32 vcc_lo, -1, 0
	s_lshl_b32 s5, s2, 24
	s_delay_alu instid0(VALU_DEP_1) | instskip(SKIP_1) | instid1(VALU_DEP_1)
	v_cndmask_b32_e32 v3, v4, v3, vcc_lo
	s_and_b32 s5, s5, 0x80000000
	v_readfirstlane_b32 s9, v3
	s_delay_alu instid0(VALU_DEP_1) | instskip(NEXT) | instid1(SALU_CYCLE_1)
	s_or_b32 s5, s5, s9
	s_and_b32 s8, s5, 0x7fffffff
	s_delay_alu instid0(SALU_CYCLE_1)
	s_cmp_lt_u32 s8, 0x43f00000
	s_cbranch_scc0 .LBB119_801
; %bb.799:
	s_cmp_gt_u32 s8, 0x3c7fffff
	s_cbranch_scc0 .LBB119_802
; %bb.800:
	s_bfe_u32 s9, s9, 0x10014
	s_delay_alu instid0(SALU_CYCLE_1) | instskip(NEXT) | instid1(SALU_CYCLE_1)
	s_add_i32 s9, s5, s9
	s_add_i32 s9, s9, 0x407ffff
	s_delay_alu instid0(SALU_CYCLE_1)
	s_and_b32 s10, s9, 0xff00000
	s_lshr_b32 s9, s9, 20
	s_cmp_lg_u32 s10, 0x7f00000
	s_cselect_b32 s10, s9, 0x7e
	s_mov_b32 s9, 0
	s_branch .LBB119_803
.LBB119_801:
	s_mov_b32 s9, -1
                                        ; implicit-def: $vgpr3
	s_branch .LBB119_806
.LBB119_802:
	s_mov_b32 s9, -1
                                        ; implicit-def: $sgpr10
.LBB119_803:
	v_mov_b32_e32 v3, s10
	s_and_not1_b32 vcc_lo, exec_lo, s9
	s_cbranch_vccnz .LBB119_805
; %bb.804:
	v_add_f32_e64 v3, 0x46800000, |s5|
.LBB119_805:
	s_mov_b32 s9, 0
.LBB119_806:
	s_delay_alu instid0(SALU_CYCLE_1)
	s_and_not1_b32 vcc_lo, exec_lo, s9
	s_cbranch_vccnz .LBB119_808
; %bb.807:
	s_cmp_gt_u32 s8, 0x7f800000
	s_movk_i32 s8, 0x7f
	s_delay_alu instid0(SALU_CYCLE_1) | instskip(NEXT) | instid1(SALU_CYCLE_1)
	s_cselect_b32 s8, s8, 0x7e
	v_mov_b32_e32 v3, s8
.LBB119_808:
	s_lshr_b32 s5, s5, 24
	s_delay_alu instid0(SALU_CYCLE_1)
	s_and_b32 s5, s5, 0x80
	s_delay_alu instid0(VALU_DEP_1) | instid1(SALU_CYCLE_1)
	v_or_b32_e32 v3, s5, v3
	global_store_b8 v[1:2], v3, off
.LBB119_809:
	s_mov_b32 s5, 0
.LBB119_810:
	s_delay_alu instid0(SALU_CYCLE_1)
	s_and_not1_b32 vcc_lo, exec_lo, s5
	s_cbranch_vccnz .LBB119_812
; %bb.811:
	v_mov_b32_e32 v3, s2
	global_store_b8 v[1:2], v3, off
.LBB119_812:
	s_mov_b32 s5, 0
	s_mov_b32 s8, -1
.LBB119_813:
	s_and_not1_b32 vcc_lo, exec_lo, s5
	s_mov_b32 s5, 0
	s_cbranch_vccnz .LBB119_820
; %bb.814:
	v_cmp_lt_i16_e32 vcc_lo, 14, v5
	s_mov_b32 s5, -1
	s_cbranch_vccz .LBB119_818
; %bb.815:
	v_cmp_eq_u16_e32 vcc_lo, 15, v5
	s_mov_b32 s4, -1
	s_cbranch_vccz .LBB119_817
; %bb.816:
	s_lshl_b32 s4, s2, 8
	s_lshl_b32 s5, s2, 25
	s_and_b32 s4, s4, 0x7f00
	s_lshr_b32 s8, s5, 4
	s_or_b32 s4, s4, 0.5
	s_or_b32 s8, s8, 0x70000000
	v_add_f32_e64 v3, s4, -0.5
	v_mul_f32_e64 v4, 0x7800000, s8
	s_cmp_lt_u32 s5, 0x8000000
	s_mov_b32 s8, -1
	s_cselect_b32 vcc_lo, -1, 0
	s_lshl_b32 s4, s2, 24
	v_cndmask_b32_e32 v3, v4, v3, vcc_lo
	s_and_b32 s4, s4, 0x80000000
	s_delay_alu instid0(VALU_DEP_1) | instid1(SALU_CYCLE_1)
	v_or_b32_e32 v4, s4, v3
	v_bfe_u32 v3, v3, 16, 1
	s_mov_b32 s4, 0
	s_delay_alu instid0(VALU_DEP_2) | instskip(NEXT) | instid1(VALU_DEP_2)
	v_cmp_o_f32_e32 vcc_lo, v4, v4
	v_add_nc_u32_e32 v3, v4, v3
	s_delay_alu instid0(VALU_DEP_1) | instskip(NEXT) | instid1(VALU_DEP_1)
	v_add_nc_u32_e32 v3, 0x7fff, v3
	v_lshrrev_b32_e32 v3, 16, v3
	s_delay_alu instid0(VALU_DEP_1)
	v_cndmask_b32_e32 v3, 0x7fc0, v3, vcc_lo
	global_store_b16 v[1:2], v3, off
.LBB119_817:
	s_mov_b32 s5, 0
.LBB119_818:
	s_delay_alu instid0(SALU_CYCLE_1)
	s_and_b32 vcc_lo, exec_lo, s5
	s_mov_b32 s5, 0
	s_cbranch_vccz .LBB119_820
; %bb.819:
	v_cmp_ne_u16_e64 s4, 11, v5
	s_mov_b32 s5, -1
.LBB119_820:
	s_delay_alu instid0(VALU_DEP_1)
	s_and_b32 vcc_lo, exec_lo, s4
	s_cbranch_vccnz .LBB119_938
; %bb.821:
	s_and_not1_b32 vcc_lo, exec_lo, s5
	s_cbranch_vccnz .LBB119_823
.LBB119_822:
	s_lshl_b32 s4, s2, 8
	s_lshl_b32 s5, s2, 25
	s_and_b32 s4, s4, 0x7f00
	s_lshr_b32 s8, s5, 4
	s_or_b32 s4, s4, 0.5
	s_or_b32 s8, s8, 0x70000000
	v_add_f32_e64 v3, s4, -0.5
	v_mul_f32_e64 v4, 0x7800000, s8
	s_cmp_lt_u32 s5, 0x8000000
	s_mov_b32 s8, -1
	s_cselect_b32 vcc_lo, -1, 0
	s_delay_alu instid0(VALU_DEP_1) | instskip(NEXT) | instid1(VALU_DEP_1)
	v_cndmask_b32_e32 v3, v4, v3, vcc_lo
	v_cmp_neq_f32_e32 vcc_lo, 0, v3
	v_cndmask_b32_e64 v3, 0, 1, vcc_lo
	global_store_b8 v[1:2], v3, off
.LBB119_823:
	s_mov_b32 s4, 0
.LBB119_824:
	s_delay_alu instid0(SALU_CYCLE_1)
	s_and_b32 vcc_lo, exec_lo, s4
	s_cbranch_vccz .LBB119_863
; %bb.825:
	v_cmp_gt_i16_e32 vcc_lo, 5, v5
	s_mov_b32 s4, -1
	s_cbranch_vccnz .LBB119_846
; %bb.826:
	v_cmp_gt_i16_e32 vcc_lo, 8, v5
	s_cbranch_vccnz .LBB119_836
; %bb.827:
	v_cmp_gt_i16_e32 vcc_lo, 9, v5
	s_cbranch_vccnz .LBB119_833
; %bb.828:
	v_cmp_lt_i16_e32 vcc_lo, 9, v5
	s_cbranch_vccz .LBB119_830
; %bb.829:
	s_lshl_b32 s4, s2, 8
	s_lshl_b32 s5, s2, 25
	s_and_b32 s4, s4, 0x7f00
	s_lshr_b32 s8, s5, 4
	s_or_b32 s4, s4, 0.5
	s_or_b32 s8, s8, 0x70000000
	v_add_f32_e64 v3, s4, -0.5
	v_mul_f32_e64 v4, 0x7800000, s8
	s_cmp_lt_u32 s5, 0x8000000
	v_mov_b32_e32 v8, 0
	s_cselect_b32 vcc_lo, -1, 0
	s_lshl_b32 s4, s2, 24
	v_cndmask_b32_e32 v3, v4, v3, vcc_lo
	s_and_b32 s4, s4, 0x80000000
	v_mov_b32_e32 v9, v8
	s_delay_alu instid0(VALU_DEP_2) | instskip(SKIP_1) | instid1(VALU_DEP_1)
	v_or_b32_e32 v3, s4, v3
	s_mov_b32 s4, 0
	v_cvt_f64_f32_e32 v[6:7], v3
	global_store_b128 v[1:2], v[6:9], off
.LBB119_830:
	s_and_not1_b32 vcc_lo, exec_lo, s4
	s_cbranch_vccnz .LBB119_832
; %bb.831:
	s_lshl_b32 s4, s2, 8
	s_lshl_b32 s5, s2, 25
	s_and_b32 s4, s4, 0x7f00
	s_lshr_b32 s8, s5, 4
	s_or_b32 s4, s4, 0.5
	s_or_b32 s8, s8, 0x70000000
	v_add_f32_e64 v3, s4, -0.5
	v_mul_f32_e64 v4, 0x7800000, s8
	s_cmp_lt_u32 s5, 0x8000000
	s_cselect_b32 vcc_lo, -1, 0
	s_lshl_b32 s4, s2, 24
	s_delay_alu instid0(VALU_DEP_1)
	v_dual_cndmask_b32 v3, v4, v3 :: v_dual_mov_b32 v4, 0
	s_and_b32 s4, s4, 0x80000000
	s_delay_alu instid0(VALU_DEP_1) | instid1(SALU_CYCLE_1)
	v_or_b32_e32 v3, s4, v3
	global_store_b64 v[1:2], v[3:4], off
.LBB119_832:
	s_mov_b32 s4, 0
.LBB119_833:
	s_delay_alu instid0(SALU_CYCLE_1)
	s_and_not1_b32 vcc_lo, exec_lo, s4
	s_cbranch_vccnz .LBB119_835
; %bb.834:
	s_lshl_b32 s4, s2, 8
	s_lshl_b32 s5, s2, 25
	s_and_b32 s4, s4, 0x7f00
	s_lshr_b32 s8, s5, 4
	s_or_b32 s4, s4, 0.5
	s_or_b32 s8, s8, 0x70000000
	v_add_f32_e64 v3, s4, -0.5
	v_mul_f32_e64 v4, 0x7800000, s8
	s_cmp_lt_u32 s5, 0x8000000
	s_cselect_b32 vcc_lo, -1, 0
	s_lshl_b32 s4, s2, 24
	s_delay_alu instid0(VALU_DEP_1)
	v_cndmask_b32_e32 v3, v4, v3, vcc_lo
	s_and_b32 s4, s4, 0x80000000
	s_delay_alu instid0(VALU_DEP_1) | instid1(SALU_CYCLE_1)
	v_or_b32_e32 v3, s4, v3
	s_delay_alu instid0(VALU_DEP_1) | instskip(NEXT) | instid1(VALU_DEP_1)
	v_cvt_f16_f32_e32 v3, v3
	v_and_b32_e32 v3, 0xffff, v3
	global_store_b32 v[1:2], v3, off
.LBB119_835:
	s_mov_b32 s4, 0
.LBB119_836:
	s_delay_alu instid0(SALU_CYCLE_1)
	s_and_not1_b32 vcc_lo, exec_lo, s4
	s_cbranch_vccnz .LBB119_845
; %bb.837:
	v_cmp_gt_i16_e32 vcc_lo, 6, v5
	s_mov_b32 s4, -1
	s_cbranch_vccnz .LBB119_843
; %bb.838:
	v_cmp_lt_i16_e32 vcc_lo, 6, v5
	s_cbranch_vccz .LBB119_840
; %bb.839:
	s_lshl_b32 s4, s2, 8
	s_lshl_b32 s5, s2, 25
	s_and_b32 s4, s4, 0x7f00
	s_lshr_b32 s8, s5, 4
	s_or_b32 s4, s4, 0.5
	s_or_b32 s8, s8, 0x70000000
	v_add_f32_e64 v3, s4, -0.5
	v_mul_f32_e64 v4, 0x7800000, s8
	s_cmp_lt_u32 s5, 0x8000000
	s_cselect_b32 vcc_lo, -1, 0
	s_lshl_b32 s4, s2, 24
	s_delay_alu instid0(VALU_DEP_1)
	v_cndmask_b32_e32 v3, v4, v3, vcc_lo
	s_and_b32 s4, s4, 0x80000000
	s_delay_alu instid0(VALU_DEP_1) | instid1(SALU_CYCLE_1)
	v_or_b32_e32 v3, s4, v3
	s_mov_b32 s4, 0
	s_delay_alu instid0(VALU_DEP_1)
	v_cvt_f64_f32_e32 v[3:4], v3
	global_store_b64 v[1:2], v[3:4], off
.LBB119_840:
	s_and_not1_b32 vcc_lo, exec_lo, s4
	s_cbranch_vccnz .LBB119_842
; %bb.841:
	s_lshl_b32 s4, s2, 8
	s_lshl_b32 s5, s2, 25
	s_and_b32 s4, s4, 0x7f00
	s_lshr_b32 s8, s5, 4
	s_or_b32 s4, s4, 0.5
	s_or_b32 s8, s8, 0x70000000
	v_add_f32_e64 v3, s4, -0.5
	v_mul_f32_e64 v4, 0x7800000, s8
	s_cmp_lt_u32 s5, 0x8000000
	s_cselect_b32 vcc_lo, -1, 0
	s_lshl_b32 s4, s2, 24
	s_delay_alu instid0(VALU_DEP_1)
	v_cndmask_b32_e32 v3, v4, v3, vcc_lo
	s_and_b32 s4, s4, 0x80000000
	s_delay_alu instid0(VALU_DEP_1) | instid1(SALU_CYCLE_1)
	v_or_b32_e32 v3, s4, v3
	global_store_b32 v[1:2], v3, off
.LBB119_842:
	s_mov_b32 s4, 0
.LBB119_843:
	s_delay_alu instid0(SALU_CYCLE_1)
	s_and_not1_b32 vcc_lo, exec_lo, s4
	s_cbranch_vccnz .LBB119_845
; %bb.844:
	s_lshl_b32 s4, s2, 8
	s_lshl_b32 s5, s2, 25
	s_and_b32 s4, s4, 0x7f00
	s_lshr_b32 s8, s5, 4
	s_or_b32 s4, s4, 0.5
	s_or_b32 s8, s8, 0x70000000
	v_add_f32_e64 v3, s4, -0.5
	v_mul_f32_e64 v4, 0x7800000, s8
	s_cmp_lt_u32 s5, 0x8000000
	s_cselect_b32 vcc_lo, -1, 0
	s_lshl_b32 s4, s2, 24
	s_delay_alu instid0(VALU_DEP_1)
	v_cndmask_b32_e32 v3, v4, v3, vcc_lo
	s_and_b32 s4, s4, 0x80000000
	s_delay_alu instid0(VALU_DEP_1) | instid1(SALU_CYCLE_1)
	v_or_b32_e32 v3, s4, v3
	s_delay_alu instid0(VALU_DEP_1)
	v_cvt_f16_f32_e32 v3, v3
	global_store_b16 v[1:2], v3, off
.LBB119_845:
	s_mov_b32 s4, 0
.LBB119_846:
	s_delay_alu instid0(SALU_CYCLE_1)
	s_and_not1_b32 vcc_lo, exec_lo, s4
	s_cbranch_vccnz .LBB119_862
; %bb.847:
	v_cmp_gt_i16_e32 vcc_lo, 2, v5
	s_mov_b32 s4, -1
	s_cbranch_vccnz .LBB119_857
; %bb.848:
	v_cmp_gt_i16_e32 vcc_lo, 3, v5
	s_cbranch_vccnz .LBB119_854
; %bb.849:
	v_cmp_lt_i16_e32 vcc_lo, 3, v5
	s_cbranch_vccz .LBB119_851
; %bb.850:
	s_lshl_b32 s4, s2, 8
	s_lshl_b32 s5, s2, 25
	s_and_b32 s4, s4, 0x7f00
	s_lshr_b32 s8, s5, 4
	s_or_b32 s4, s4, 0.5
	s_or_b32 s8, s8, 0x70000000
	v_add_f32_e64 v3, s4, -0.5
	v_mul_f32_e64 v4, 0x7800000, s8
	s_cmp_lt_u32 s5, 0x8000000
	s_cselect_b32 vcc_lo, -1, 0
	s_lshl_b32 s4, s2, 24
	s_delay_alu instid0(VALU_DEP_1)
	v_cndmask_b32_e32 v3, v4, v3, vcc_lo
	s_and_b32 s4, s4, 0x80000000
	s_delay_alu instid0(VALU_DEP_1) | instid1(SALU_CYCLE_1)
	v_or_b32_e32 v3, s4, v3
	s_mov_b32 s4, 0
	s_delay_alu instid0(VALU_DEP_1) | instskip(NEXT) | instid1(VALU_DEP_1)
	v_trunc_f32_e32 v3, v3
	v_mul_f32_e64 v4, 0x2f800000, |v3|
	v_ashrrev_i32_e32 v7, 31, v3
	s_delay_alu instid0(VALU_DEP_2) | instskip(NEXT) | instid1(VALU_DEP_1)
	v_floor_f32_e32 v4, v4
	v_fma_f32 v6, 0xcf800000, v4, |v3|
	v_cvt_u32_f32_e32 v4, v4
	s_delay_alu instid0(VALU_DEP_2) | instskip(NEXT) | instid1(VALU_DEP_2)
	v_cvt_u32_f32_e32 v3, v6
	v_xor_b32_e32 v4, v4, v7
	s_delay_alu instid0(VALU_DEP_2) | instskip(NEXT) | instid1(VALU_DEP_1)
	v_xor_b32_e32 v3, v3, v7
	v_sub_co_u32 v3, vcc_lo, v3, v7
	s_delay_alu instid0(VALU_DEP_3)
	v_sub_co_ci_u32_e32 v4, vcc_lo, v4, v7, vcc_lo
	global_store_b64 v[1:2], v[3:4], off
.LBB119_851:
	s_and_not1_b32 vcc_lo, exec_lo, s4
	s_cbranch_vccnz .LBB119_853
; %bb.852:
	s_lshl_b32 s4, s2, 8
	s_lshl_b32 s5, s2, 25
	s_and_b32 s4, s4, 0x7f00
	s_lshr_b32 s8, s5, 4
	s_or_b32 s4, s4, 0.5
	s_or_b32 s8, s8, 0x70000000
	v_add_f32_e64 v3, s4, -0.5
	v_mul_f32_e64 v4, 0x7800000, s8
	s_cmp_lt_u32 s5, 0x8000000
	s_cselect_b32 vcc_lo, -1, 0
	s_lshl_b32 s4, s2, 24
	s_delay_alu instid0(VALU_DEP_1)
	v_cndmask_b32_e32 v3, v4, v3, vcc_lo
	s_and_b32 s4, s4, 0x80000000
	s_delay_alu instid0(VALU_DEP_1) | instid1(SALU_CYCLE_1)
	v_or_b32_e32 v3, s4, v3
	s_delay_alu instid0(VALU_DEP_1)
	v_cvt_i32_f32_e32 v3, v3
	global_store_b32 v[1:2], v3, off
.LBB119_853:
	s_mov_b32 s4, 0
.LBB119_854:
	s_delay_alu instid0(SALU_CYCLE_1)
	s_and_not1_b32 vcc_lo, exec_lo, s4
	s_cbranch_vccnz .LBB119_856
; %bb.855:
	s_lshl_b32 s4, s2, 8
	s_lshl_b32 s5, s2, 25
	s_and_b32 s4, s4, 0x7f00
	s_lshr_b32 s8, s5, 4
	s_or_b32 s4, s4, 0.5
	s_or_b32 s8, s8, 0x70000000
	v_add_f32_e64 v3, s4, -0.5
	v_mul_f32_e64 v4, 0x7800000, s8
	s_cmp_lt_u32 s5, 0x8000000
	s_cselect_b32 vcc_lo, -1, 0
	s_lshl_b32 s4, s2, 24
	s_delay_alu instid0(VALU_DEP_1)
	v_cndmask_b32_e32 v3, v4, v3, vcc_lo
	s_and_b32 s4, s4, 0x80000000
	s_delay_alu instid0(VALU_DEP_1) | instid1(SALU_CYCLE_1)
	v_or_b32_e32 v3, s4, v3
	s_delay_alu instid0(VALU_DEP_1)
	v_cvt_i32_f32_e32 v3, v3
	global_store_b16 v[1:2], v3, off
.LBB119_856:
	s_mov_b32 s4, 0
.LBB119_857:
	s_delay_alu instid0(SALU_CYCLE_1)
	s_and_not1_b32 vcc_lo, exec_lo, s4
	s_cbranch_vccnz .LBB119_862
; %bb.858:
	v_cmp_lt_i16_e32 vcc_lo, 0, v5
	s_mov_b32 s4, -1
	s_cbranch_vccz .LBB119_860
; %bb.859:
	s_lshl_b32 s4, s2, 8
	s_lshl_b32 s5, s2, 25
	s_and_b32 s4, s4, 0x7f00
	s_lshr_b32 s8, s5, 4
	s_or_b32 s4, s4, 0.5
	s_or_b32 s8, s8, 0x70000000
	v_add_f32_e64 v3, s4, -0.5
	v_mul_f32_e64 v4, 0x7800000, s8
	s_cmp_lt_u32 s5, 0x8000000
	s_cselect_b32 vcc_lo, -1, 0
	s_lshl_b32 s4, s2, 24
	s_delay_alu instid0(VALU_DEP_1)
	v_cndmask_b32_e32 v3, v4, v3, vcc_lo
	s_and_b32 s4, s4, 0x80000000
	s_delay_alu instid0(VALU_DEP_1) | instid1(SALU_CYCLE_1)
	v_or_b32_e32 v3, s4, v3
	s_mov_b32 s4, 0
	s_delay_alu instid0(VALU_DEP_1)
	v_cvt_i32_f32_e32 v3, v3
	global_store_b8 v[1:2], v3, off
.LBB119_860:
	s_and_not1_b32 vcc_lo, exec_lo, s4
	s_cbranch_vccnz .LBB119_862
; %bb.861:
	s_lshl_b32 s4, s2, 8
	s_lshl_b32 s5, s2, 25
	s_and_b32 s4, s4, 0x7f00
	s_lshr_b32 s8, s5, 4
	s_or_b32 s4, s4, 0.5
	s_or_b32 s8, s8, 0x70000000
	v_add_f32_e64 v3, s4, -0.5
	v_mul_f32_e64 v4, 0x7800000, s8
	s_cmp_lt_u32 s5, 0x8000000
	s_cselect_b32 vcc_lo, -1, 0
	s_lshl_b32 s4, s2, 24
	s_delay_alu instid0(VALU_DEP_1)
	v_cndmask_b32_e32 v3, v4, v3, vcc_lo
	s_and_b32 s4, s4, 0x80000000
	s_delay_alu instid0(VALU_DEP_1) | instid1(SALU_CYCLE_1)
	v_or_b32_e32 v3, s4, v3
	s_delay_alu instid0(VALU_DEP_1) | instskip(NEXT) | instid1(VALU_DEP_1)
	v_trunc_f32_e32 v3, v3
	v_mul_f32_e64 v4, 0x2f800000, |v3|
	s_delay_alu instid0(VALU_DEP_1) | instskip(NEXT) | instid1(VALU_DEP_1)
	v_floor_f32_e32 v4, v4
	v_fma_f32 v4, 0xcf800000, v4, |v3|
	v_ashrrev_i32_e32 v3, 31, v3
	s_delay_alu instid0(VALU_DEP_2) | instskip(NEXT) | instid1(VALU_DEP_1)
	v_cvt_u32_f32_e32 v4, v4
	v_xor_b32_e32 v4, v4, v3
	s_delay_alu instid0(VALU_DEP_1)
	v_sub_nc_u32_e32 v3, v4, v3
	global_store_b8 v[1:2], v3, off
.LBB119_862:
	s_mov_b32 s8, -1
.LBB119_863:
	s_delay_alu instid0(SALU_CYCLE_1)
	s_and_not1_b32 vcc_lo, exec_lo, s8
	s_cbranch_vccnz .LBB119_893
; %bb.864:
	v_cmp_gt_i16_e32 vcc_lo, 11, v5
	v_add_co_u32 v0, s0, s0, v0
	s_delay_alu instid0(VALU_DEP_1)
	v_add_co_ci_u32_e64 v1, null, s1, 0, s0
	s_mov_b32 s4, 0
	s_mov_b32 s0, -1
	s_cbranch_vccnz .LBB119_894
; %bb.865:
	v_cmp_lt_i16_e32 vcc_lo, 25, v5
	s_mov_b32 s1, -1
	s_mov_b32 s0, 0
	s_cbranch_vccz .LBB119_949
; %bb.866:
	v_cmp_lt_i16_e32 vcc_lo, 28, v5
	s_cbranch_vccz .LBB119_882
; %bb.867:
	v_cmp_lt_i16_e32 vcc_lo, 43, v5
	;; [unrolled: 3-line block ×3, first 2 shown]
	s_cbranch_vccz .LBB119_872
; %bb.869:
	v_cmp_eq_u16_e32 vcc_lo, 46, v5
	s_mov_b32 s0, -1
	s_cbranch_vccz .LBB119_871
; %bb.870:
	s_lshl_b32 s0, s2, 8
	s_lshl_b32 s1, s2, 25
	s_and_b32 s0, s0, 0x7f00
	s_lshr_b32 s5, s1, 4
	s_or_b32 s0, s0, 0.5
	s_or_b32 s5, s5, 0x70000000
	v_add_f32_e64 v2, s0, -0.5
	v_mul_f32_e64 v3, 0x7800000, s5
	s_cmp_lt_u32 s1, 0x8000000
	s_cselect_b32 vcc_lo, -1, 0
	s_lshl_b32 s0, s2, 24
	s_delay_alu instid0(VALU_DEP_1)
	v_cndmask_b32_e32 v2, v3, v2, vcc_lo
	s_and_b32 s0, s0, 0x80000000
	s_delay_alu instid0(VALU_DEP_1) | instid1(SALU_CYCLE_1)
	v_or_b32_e32 v3, s0, v2
	v_bfe_u32 v2, v2, 16, 1
	s_mov_b32 s0, 0
	s_delay_alu instid0(VALU_DEP_2) | instskip(NEXT) | instid1(VALU_DEP_2)
	v_cmp_o_f32_e32 vcc_lo, v3, v3
	v_add_nc_u32_e32 v2, v3, v2
	s_delay_alu instid0(VALU_DEP_1) | instskip(NEXT) | instid1(VALU_DEP_1)
	v_add_nc_u32_e32 v2, 0x7fff, v2
	v_lshrrev_b32_e32 v2, 16, v2
	s_delay_alu instid0(VALU_DEP_1)
	v_cndmask_b32_e32 v2, 0x7fc0, v2, vcc_lo
	global_store_b32 v[0:1], v2, off
.LBB119_871:
	s_mov_b32 s1, 0
.LBB119_872:
	s_delay_alu instid0(SALU_CYCLE_1)
	s_and_b32 vcc_lo, exec_lo, s1
	s_cbranch_vccz .LBB119_877
; %bb.873:
	v_cmp_eq_u16_e32 vcc_lo, 44, v5
	s_mov_b32 s0, -1
	s_cbranch_vccz .LBB119_877
; %bb.874:
	s_lshl_b32 s0, s2, 8
	s_lshl_b32 s1, s2, 25
	s_and_b32 s0, s0, 0x7f00
	s_lshr_b32 s5, s1, 4
	s_or_b32 s0, s0, 0.5
	s_or_b32 s5, s5, 0x70000000
	v_add_f32_e64 v2, s0, -0.5
	v_mul_f32_e64 v3, 0x7800000, s5
	s_cmp_lt_u32 s1, 0x8000000
	s_cselect_b32 vcc_lo, -1, 0
	s_delay_alu instid0(VALU_DEP_1) | instskip(NEXT) | instid1(VALU_DEP_1)
	v_dual_cndmask_b32 v2, v3, v2 :: v_dual_mov_b32 v3, 0xff
	v_readfirstlane_b32 s0, v2
	s_delay_alu instid0(VALU_DEP_1) | instskip(NEXT) | instid1(SALU_CYCLE_1)
	s_bfe_u32 s1, s0, 0x80017
	s_cmpk_eq_i32 s1, 0xff
	s_cbranch_scc1 .LBB119_876
; %bb.875:
	s_bitcmp1_b32 s0, 22
	v_lshrrev_b32_e32 v2, 23, v2
	s_cselect_b32 s5, -1, 0
	s_and_b32 s0, s0, 0x3fffff
	s_delay_alu instid0(SALU_CYCLE_1) | instskip(NEXT) | instid1(SALU_CYCLE_1)
	s_or_b32 s0, s1, s0
	s_cmp_lg_u32 s0, 0
	s_cselect_b32 s0, -1, 0
	s_delay_alu instid0(SALU_CYCLE_1) | instskip(NEXT) | instid1(SALU_CYCLE_1)
	s_and_b32 s0, s5, s0
	v_cndmask_b32_e64 v3, 0, 1, s0
	s_delay_alu instid0(VALU_DEP_1)
	v_add_nc_u32_e32 v3, v2, v3
.LBB119_876:
	s_mov_b32 s0, 0
	global_store_b8 v[0:1], v3, off
.LBB119_877:
	s_mov_b32 s1, 0
.LBB119_878:
	s_delay_alu instid0(SALU_CYCLE_1)
	s_and_b32 vcc_lo, exec_lo, s1
	s_cbranch_vccz .LBB119_881
; %bb.879:
	v_cmp_eq_u16_e32 vcc_lo, 29, v5
	s_mov_b32 s0, -1
	s_cbranch_vccz .LBB119_881
; %bb.880:
	s_lshl_b32 s0, s2, 8
	s_lshl_b32 s1, s2, 25
	s_and_b32 s0, s0, 0x7f00
	s_lshr_b32 s5, s1, 4
	s_or_b32 s0, s0, 0.5
	s_or_b32 s5, s5, 0x70000000
	v_add_f32_e64 v2, s0, -0.5
	v_mul_f32_e64 v3, 0x7800000, s5
	s_cmp_lt_u32 s1, 0x8000000
	s_cselect_b32 vcc_lo, -1, 0
	s_lshl_b32 s0, s2, 24
	s_delay_alu instid0(VALU_DEP_1)
	v_cndmask_b32_e32 v2, v3, v2, vcc_lo
	s_and_b32 s0, s0, 0x80000000
	s_delay_alu instid0(VALU_DEP_1) | instid1(SALU_CYCLE_1)
	v_or_b32_e32 v2, s0, v2
	s_mov_b32 s0, 0
	s_delay_alu instid0(VALU_DEP_1) | instskip(NEXT) | instid1(VALU_DEP_1)
	v_trunc_f32_e32 v2, v2
	v_mul_f32_e32 v3, 0x2f800000, v2
	s_delay_alu instid0(VALU_DEP_1) | instskip(NEXT) | instid1(VALU_DEP_1)
	v_floor_f32_e32 v3, v3
	v_fmamk_f32 v2, v3, 0xcf800000, v2
	v_cvt_u32_f32_e32 v3, v3
	s_delay_alu instid0(VALU_DEP_2)
	v_cvt_u32_f32_e32 v2, v2
	global_store_b64 v[0:1], v[2:3], off
.LBB119_881:
	s_mov_b32 s1, 0
.LBB119_882:
	s_delay_alu instid0(SALU_CYCLE_1)
	s_and_b32 vcc_lo, exec_lo, s1
	s_cbranch_vccz .LBB119_948
; %bb.883:
	v_cmp_gt_i16_e32 vcc_lo, 27, v5
	s_mov_b32 s1, -1
	s_cbranch_vccnz .LBB119_889
; %bb.884:
	v_cmp_lt_i16_e32 vcc_lo, 27, v5
	s_cbranch_vccz .LBB119_886
; %bb.885:
	s_lshl_b32 s1, s2, 8
	s_lshl_b32 s5, s2, 25
	s_and_b32 s1, s1, 0x7f00
	s_lshr_b32 s8, s5, 4
	s_or_b32 s1, s1, 0.5
	s_or_b32 s8, s8, 0x70000000
	v_add_f32_e64 v2, s1, -0.5
	v_mul_f32_e64 v3, 0x7800000, s8
	s_cmp_lt_u32 s5, 0x8000000
	s_cselect_b32 vcc_lo, -1, 0
	s_lshl_b32 s1, s2, 24
	s_delay_alu instid0(VALU_DEP_1)
	v_cndmask_b32_e32 v2, v3, v2, vcc_lo
	s_and_b32 s1, s1, 0x80000000
	s_delay_alu instid0(VALU_DEP_1) | instid1(SALU_CYCLE_1)
	v_or_b32_e32 v2, s1, v2
	s_mov_b32 s1, 0
	s_delay_alu instid0(VALU_DEP_1)
	v_cvt_u32_f32_e32 v2, v2
	global_store_b32 v[0:1], v2, off
.LBB119_886:
	s_and_not1_b32 vcc_lo, exec_lo, s1
	s_cbranch_vccnz .LBB119_888
; %bb.887:
	s_lshl_b32 s1, s2, 8
	s_lshl_b32 s5, s2, 25
	s_and_b32 s1, s1, 0x7f00
	s_lshr_b32 s8, s5, 4
	s_or_b32 s1, s1, 0.5
	s_or_b32 s8, s8, 0x70000000
	v_add_f32_e64 v2, s1, -0.5
	v_mul_f32_e64 v3, 0x7800000, s8
	s_cmp_lt_u32 s5, 0x8000000
	s_cselect_b32 vcc_lo, -1, 0
	s_lshl_b32 s1, s2, 24
	s_delay_alu instid0(VALU_DEP_1)
	v_cndmask_b32_e32 v2, v3, v2, vcc_lo
	s_and_b32 s1, s1, 0x80000000
	s_delay_alu instid0(VALU_DEP_1) | instid1(SALU_CYCLE_1)
	v_or_b32_e32 v2, s1, v2
	s_delay_alu instid0(VALU_DEP_1)
	v_cvt_u32_f32_e32 v2, v2
	global_store_b16 v[0:1], v2, off
.LBB119_888:
	s_mov_b32 s1, 0
.LBB119_889:
	s_delay_alu instid0(SALU_CYCLE_1)
	s_and_not1_b32 vcc_lo, exec_lo, s1
	s_cbranch_vccnz .LBB119_948
; %bb.890:
	s_lshl_b32 s1, s2, 8
	s_lshl_b32 s5, s2, 25
	s_and_b32 s1, s1, 0x7f00
	s_lshr_b32 s8, s5, 4
	s_or_b32 s1, s1, 0.5
	s_or_b32 s8, s8, 0x70000000
	v_add_f32_e64 v2, s1, -0.5
	v_mul_f32_e64 v3, 0x7800000, s8
	s_cmp_lt_u32 s5, 0x8000000
	s_cselect_b32 vcc_lo, -1, 0
	s_lshl_b32 s5, s2, 24
	s_delay_alu instid0(VALU_DEP_1) | instskip(SKIP_1) | instid1(VALU_DEP_1)
	v_dual_cndmask_b32 v2, v3, v2 :: v_dual_mov_b32 v3, 0x80
	s_and_b32 s5, s5, 0x80000000
	v_readfirstlane_b32 s1, v2
	s_delay_alu instid0(VALU_DEP_1) | instskip(NEXT) | instid1(SALU_CYCLE_1)
	s_or_b32 s1, s5, s1
	s_and_b32 s5, s1, 0x7fffffff
	s_delay_alu instid0(SALU_CYCLE_1)
	s_cmp_gt_u32 s5, 0x437fffff
	s_cbranch_scc1 .LBB119_947
; %bb.891:
	s_cmp_gt_u32 s5, 0x3bffffff
	s_cbranch_scc0 .LBB119_942
; %bb.892:
	v_bfe_u32 v2, v2, 20, 1
	s_mov_b32 s8, 0
	s_mov_b32 s5, -1
	s_delay_alu instid0(VALU_DEP_1) | instskip(NEXT) | instid1(VALU_DEP_1)
	v_add_nc_u32_e32 v2, s1, v2
	v_add_nc_u32_e32 v2, 0x487ffff, v2
	s_delay_alu instid0(VALU_DEP_1)
	v_lshrrev_b32_e32 v2, 20, v2
	s_branch .LBB119_943
.LBB119_893:
	s_mov_b32 s0, 0
	s_mov_b32 s4, 0
                                        ; implicit-def: $vgpr5
                                        ; implicit-def: $vgpr0_vgpr1
.LBB119_894:
	s_and_b32 s5, s0, exec_lo
	s_and_not1_b32 s0, s6, exec_lo
	s_and_b32 s1, s3, exec_lo
	s_and_b32 s22, s4, exec_lo
	s_or_b32 s6, s0, s1
.LBB119_895:
	s_or_b32 exec_lo, exec_lo, s7
	s_and_saveexec_b32 s0, s6
	s_cbranch_execz .LBB119_898
; %bb.896:
	; divergent unreachable
	s_or_b32 exec_lo, exec_lo, s0
	s_and_saveexec_b32 s0, s22
	s_delay_alu instid0(SALU_CYCLE_1)
	s_xor_b32 s0, exec_lo, s0
	s_cbranch_execnz .LBB119_899
.LBB119_897:
	s_or_b32 exec_lo, exec_lo, s0
	s_and_saveexec_b32 s0, s5
	s_cbranch_execnz .LBB119_900
	s_branch .LBB119_937
.LBB119_898:
	s_or_b32 exec_lo, exec_lo, s0
	s_and_saveexec_b32 s0, s22
	s_delay_alu instid0(SALU_CYCLE_1)
	s_xor_b32 s0, exec_lo, s0
	s_cbranch_execz .LBB119_897
.LBB119_899:
	s_lshl_b32 s1, s2, 8
	s_lshl_b32 s3, s2, 25
	s_and_b32 s1, s1, 0x7f00
	s_lshr_b32 s4, s3, 4
	s_or_b32 s1, s1, 0.5
	s_or_b32 s4, s4, 0x70000000
	v_add_f32_e64 v2, s1, -0.5
	v_mul_f32_e64 v3, 0x7800000, s4
	s_cmp_lt_u32 s3, 0x8000000
	s_cselect_b32 vcc_lo, -1, 0
	s_delay_alu instid0(VALU_DEP_1) | instskip(NEXT) | instid1(VALU_DEP_1)
	v_cndmask_b32_e32 v2, v3, v2, vcc_lo
	v_cmp_neq_f32_e32 vcc_lo, 0, v2
	v_cndmask_b32_e64 v2, 0, 1, vcc_lo
	global_store_b8 v[0:1], v2, off
	s_or_b32 exec_lo, exec_lo, s0
	s_and_saveexec_b32 s0, s5
	s_cbranch_execz .LBB119_937
.LBB119_900:
	v_cmp_gt_i16_e32 vcc_lo, 5, v5
	s_mov_b32 s0, -1
	s_cbranch_vccnz .LBB119_921
; %bb.901:
	v_cmp_gt_i16_e32 vcc_lo, 8, v5
	s_cbranch_vccnz .LBB119_911
; %bb.902:
	v_cmp_gt_i16_e32 vcc_lo, 9, v5
	s_cbranch_vccnz .LBB119_908
; %bb.903:
	v_cmp_lt_i16_e32 vcc_lo, 9, v5
	s_cbranch_vccz .LBB119_905
; %bb.904:
	s_lshl_b32 s0, s2, 8
	s_lshl_b32 s1, s2, 25
	s_and_b32 s0, s0, 0x7f00
	s_lshr_b32 s3, s1, 4
	s_or_b32 s0, s0, 0.5
	s_or_b32 s3, s3, 0x70000000
	v_add_f32_e64 v2, s0, -0.5
	v_mul_f32_e64 v3, 0x7800000, s3
	s_cmp_lt_u32 s1, 0x8000000
	v_mov_b32_e32 v8, 0
	s_cselect_b32 vcc_lo, -1, 0
	s_lshl_b32 s0, s2, 24
	v_cndmask_b32_e32 v2, v3, v2, vcc_lo
	s_and_b32 s0, s0, 0x80000000
	v_mov_b32_e32 v9, v8
	s_delay_alu instid0(VALU_DEP_2) | instskip(SKIP_1) | instid1(VALU_DEP_1)
	v_or_b32_e32 v2, s0, v2
	s_mov_b32 s0, 0
	v_cvt_f64_f32_e32 v[6:7], v2
	global_store_b128 v[0:1], v[6:9], off
.LBB119_905:
	s_and_not1_b32 vcc_lo, exec_lo, s0
	s_cbranch_vccnz .LBB119_907
; %bb.906:
	s_lshl_b32 s0, s2, 8
	s_lshl_b32 s1, s2, 25
	s_and_b32 s0, s0, 0x7f00
	s_lshr_b32 s3, s1, 4
	s_or_b32 s0, s0, 0.5
	s_or_b32 s3, s3, 0x70000000
	v_add_f32_e64 v2, s0, -0.5
	v_mul_f32_e64 v3, 0x7800000, s3
	s_cmp_lt_u32 s1, 0x8000000
	s_cselect_b32 vcc_lo, -1, 0
	s_lshl_b32 s0, s2, 24
	s_delay_alu instid0(VALU_DEP_1)
	v_dual_cndmask_b32 v2, v3, v2 :: v_dual_mov_b32 v3, 0
	s_and_b32 s0, s0, 0x80000000
	s_delay_alu instid0(VALU_DEP_1) | instid1(SALU_CYCLE_1)
	v_or_b32_e32 v2, s0, v2
	global_store_b64 v[0:1], v[2:3], off
.LBB119_907:
	s_mov_b32 s0, 0
.LBB119_908:
	s_delay_alu instid0(SALU_CYCLE_1)
	s_and_not1_b32 vcc_lo, exec_lo, s0
	s_cbranch_vccnz .LBB119_910
; %bb.909:
	s_lshl_b32 s0, s2, 8
	s_lshl_b32 s1, s2, 25
	s_and_b32 s0, s0, 0x7f00
	s_lshr_b32 s3, s1, 4
	s_or_b32 s0, s0, 0.5
	s_or_b32 s3, s3, 0x70000000
	v_add_f32_e64 v2, s0, -0.5
	v_mul_f32_e64 v3, 0x7800000, s3
	s_cmp_lt_u32 s1, 0x8000000
	s_cselect_b32 vcc_lo, -1, 0
	s_lshl_b32 s0, s2, 24
	s_delay_alu instid0(VALU_DEP_1)
	v_cndmask_b32_e32 v2, v3, v2, vcc_lo
	s_and_b32 s0, s0, 0x80000000
	s_delay_alu instid0(VALU_DEP_1) | instid1(SALU_CYCLE_1)
	v_or_b32_e32 v2, s0, v2
	s_delay_alu instid0(VALU_DEP_1) | instskip(NEXT) | instid1(VALU_DEP_1)
	v_cvt_f16_f32_e32 v2, v2
	v_and_b32_e32 v2, 0xffff, v2
	global_store_b32 v[0:1], v2, off
.LBB119_910:
	s_mov_b32 s0, 0
.LBB119_911:
	s_delay_alu instid0(SALU_CYCLE_1)
	s_and_not1_b32 vcc_lo, exec_lo, s0
	s_cbranch_vccnz .LBB119_920
; %bb.912:
	v_cmp_gt_i16_e32 vcc_lo, 6, v5
	s_mov_b32 s0, -1
	s_cbranch_vccnz .LBB119_918
; %bb.913:
	v_cmp_lt_i16_e32 vcc_lo, 6, v5
	s_cbranch_vccz .LBB119_915
; %bb.914:
	s_lshl_b32 s0, s2, 8
	s_lshl_b32 s1, s2, 25
	s_and_b32 s0, s0, 0x7f00
	s_lshr_b32 s3, s1, 4
	s_or_b32 s0, s0, 0.5
	s_or_b32 s3, s3, 0x70000000
	v_add_f32_e64 v2, s0, -0.5
	v_mul_f32_e64 v3, 0x7800000, s3
	s_cmp_lt_u32 s1, 0x8000000
	s_cselect_b32 vcc_lo, -1, 0
	s_lshl_b32 s0, s2, 24
	s_delay_alu instid0(VALU_DEP_1)
	v_cndmask_b32_e32 v2, v3, v2, vcc_lo
	s_and_b32 s0, s0, 0x80000000
	s_delay_alu instid0(VALU_DEP_1) | instid1(SALU_CYCLE_1)
	v_or_b32_e32 v2, s0, v2
	s_mov_b32 s0, 0
	s_delay_alu instid0(VALU_DEP_1)
	v_cvt_f64_f32_e32 v[2:3], v2
	global_store_b64 v[0:1], v[2:3], off
.LBB119_915:
	s_and_not1_b32 vcc_lo, exec_lo, s0
	s_cbranch_vccnz .LBB119_917
; %bb.916:
	s_lshl_b32 s0, s2, 8
	s_lshl_b32 s1, s2, 25
	s_and_b32 s0, s0, 0x7f00
	s_lshr_b32 s3, s1, 4
	s_or_b32 s0, s0, 0.5
	s_or_b32 s3, s3, 0x70000000
	v_add_f32_e64 v2, s0, -0.5
	v_mul_f32_e64 v3, 0x7800000, s3
	s_cmp_lt_u32 s1, 0x8000000
	s_cselect_b32 vcc_lo, -1, 0
	s_lshl_b32 s0, s2, 24
	s_delay_alu instid0(VALU_DEP_1)
	v_cndmask_b32_e32 v2, v3, v2, vcc_lo
	s_and_b32 s0, s0, 0x80000000
	s_delay_alu instid0(VALU_DEP_1) | instid1(SALU_CYCLE_1)
	v_or_b32_e32 v2, s0, v2
	global_store_b32 v[0:1], v2, off
.LBB119_917:
	s_mov_b32 s0, 0
.LBB119_918:
	s_delay_alu instid0(SALU_CYCLE_1)
	s_and_not1_b32 vcc_lo, exec_lo, s0
	s_cbranch_vccnz .LBB119_920
; %bb.919:
	s_lshl_b32 s0, s2, 8
	s_lshl_b32 s1, s2, 25
	s_and_b32 s0, s0, 0x7f00
	s_lshr_b32 s3, s1, 4
	s_or_b32 s0, s0, 0.5
	s_or_b32 s3, s3, 0x70000000
	v_add_f32_e64 v2, s0, -0.5
	v_mul_f32_e64 v3, 0x7800000, s3
	s_cmp_lt_u32 s1, 0x8000000
	s_cselect_b32 vcc_lo, -1, 0
	s_lshl_b32 s0, s2, 24
	s_delay_alu instid0(VALU_DEP_1)
	v_cndmask_b32_e32 v2, v3, v2, vcc_lo
	s_and_b32 s0, s0, 0x80000000
	s_delay_alu instid0(VALU_DEP_1) | instid1(SALU_CYCLE_1)
	v_or_b32_e32 v2, s0, v2
	s_delay_alu instid0(VALU_DEP_1)
	v_cvt_f16_f32_e32 v2, v2
	global_store_b16 v[0:1], v2, off
.LBB119_920:
	s_mov_b32 s0, 0
.LBB119_921:
	s_delay_alu instid0(SALU_CYCLE_1)
	s_and_not1_b32 vcc_lo, exec_lo, s0
	s_cbranch_vccnz .LBB119_937
; %bb.922:
	v_cmp_gt_i16_e32 vcc_lo, 2, v5
	s_mov_b32 s0, -1
	s_cbranch_vccnz .LBB119_932
; %bb.923:
	v_cmp_gt_i16_e32 vcc_lo, 3, v5
	s_cbranch_vccnz .LBB119_929
; %bb.924:
	v_cmp_lt_i16_e32 vcc_lo, 3, v5
	s_cbranch_vccz .LBB119_926
; %bb.925:
	s_lshl_b32 s0, s2, 8
	s_lshl_b32 s1, s2, 25
	s_and_b32 s0, s0, 0x7f00
	s_lshr_b32 s3, s1, 4
	s_or_b32 s0, s0, 0.5
	s_or_b32 s3, s3, 0x70000000
	v_add_f32_e64 v2, s0, -0.5
	v_mul_f32_e64 v3, 0x7800000, s3
	s_cmp_lt_u32 s1, 0x8000000
	s_cselect_b32 vcc_lo, -1, 0
	s_lshl_b32 s0, s2, 24
	s_delay_alu instid0(VALU_DEP_1)
	v_cndmask_b32_e32 v2, v3, v2, vcc_lo
	s_and_b32 s0, s0, 0x80000000
	s_delay_alu instid0(VALU_DEP_1) | instid1(SALU_CYCLE_1)
	v_or_b32_e32 v2, s0, v2
	s_mov_b32 s0, 0
	s_delay_alu instid0(VALU_DEP_1) | instskip(NEXT) | instid1(VALU_DEP_1)
	v_trunc_f32_e32 v2, v2
	v_mul_f32_e64 v3, 0x2f800000, |v2|
	v_ashrrev_i32_e32 v6, 31, v2
	s_delay_alu instid0(VALU_DEP_2) | instskip(NEXT) | instid1(VALU_DEP_1)
	v_floor_f32_e32 v3, v3
	v_fma_f32 v4, 0xcf800000, v3, |v2|
	v_cvt_u32_f32_e32 v3, v3
	s_delay_alu instid0(VALU_DEP_2) | instskip(NEXT) | instid1(VALU_DEP_2)
	v_cvt_u32_f32_e32 v2, v4
	v_xor_b32_e32 v3, v3, v6
	s_delay_alu instid0(VALU_DEP_2) | instskip(NEXT) | instid1(VALU_DEP_1)
	v_xor_b32_e32 v2, v2, v6
	v_sub_co_u32 v2, vcc_lo, v2, v6
	s_delay_alu instid0(VALU_DEP_3)
	v_sub_co_ci_u32_e32 v3, vcc_lo, v3, v6, vcc_lo
	global_store_b64 v[0:1], v[2:3], off
.LBB119_926:
	s_and_not1_b32 vcc_lo, exec_lo, s0
	s_cbranch_vccnz .LBB119_928
; %bb.927:
	s_lshl_b32 s0, s2, 8
	s_lshl_b32 s1, s2, 25
	s_and_b32 s0, s0, 0x7f00
	s_lshr_b32 s3, s1, 4
	s_or_b32 s0, s0, 0.5
	s_or_b32 s3, s3, 0x70000000
	v_add_f32_e64 v2, s0, -0.5
	v_mul_f32_e64 v3, 0x7800000, s3
	s_cmp_lt_u32 s1, 0x8000000
	s_cselect_b32 vcc_lo, -1, 0
	s_lshl_b32 s0, s2, 24
	s_delay_alu instid0(VALU_DEP_1)
	v_cndmask_b32_e32 v2, v3, v2, vcc_lo
	s_and_b32 s0, s0, 0x80000000
	s_delay_alu instid0(VALU_DEP_1) | instid1(SALU_CYCLE_1)
	v_or_b32_e32 v2, s0, v2
	s_delay_alu instid0(VALU_DEP_1)
	v_cvt_i32_f32_e32 v2, v2
	global_store_b32 v[0:1], v2, off
.LBB119_928:
	s_mov_b32 s0, 0
.LBB119_929:
	s_delay_alu instid0(SALU_CYCLE_1)
	s_and_not1_b32 vcc_lo, exec_lo, s0
	s_cbranch_vccnz .LBB119_931
; %bb.930:
	s_lshl_b32 s0, s2, 8
	s_lshl_b32 s1, s2, 25
	s_and_b32 s0, s0, 0x7f00
	s_lshr_b32 s3, s1, 4
	s_or_b32 s0, s0, 0.5
	s_or_b32 s3, s3, 0x70000000
	v_add_f32_e64 v2, s0, -0.5
	v_mul_f32_e64 v3, 0x7800000, s3
	s_cmp_lt_u32 s1, 0x8000000
	s_cselect_b32 vcc_lo, -1, 0
	s_lshl_b32 s0, s2, 24
	s_delay_alu instid0(VALU_DEP_1)
	v_cndmask_b32_e32 v2, v3, v2, vcc_lo
	s_and_b32 s0, s0, 0x80000000
	s_delay_alu instid0(VALU_DEP_1) | instid1(SALU_CYCLE_1)
	v_or_b32_e32 v2, s0, v2
	s_delay_alu instid0(VALU_DEP_1)
	v_cvt_i32_f32_e32 v2, v2
	global_store_b16 v[0:1], v2, off
.LBB119_931:
	s_mov_b32 s0, 0
.LBB119_932:
	s_delay_alu instid0(SALU_CYCLE_1)
	s_and_not1_b32 vcc_lo, exec_lo, s0
	s_cbranch_vccnz .LBB119_937
; %bb.933:
	v_cmp_lt_i16_e32 vcc_lo, 0, v5
	s_mov_b32 s0, -1
	s_cbranch_vccz .LBB119_935
; %bb.934:
	s_lshl_b32 s0, s2, 8
	s_lshl_b32 s1, s2, 25
	s_and_b32 s0, s0, 0x7f00
	s_lshr_b32 s3, s1, 4
	s_or_b32 s0, s0, 0.5
	s_or_b32 s3, s3, 0x70000000
	v_add_f32_e64 v2, s0, -0.5
	v_mul_f32_e64 v3, 0x7800000, s3
	s_cmp_lt_u32 s1, 0x8000000
	s_cselect_b32 vcc_lo, -1, 0
	s_lshl_b32 s0, s2, 24
	s_delay_alu instid0(VALU_DEP_1)
	v_cndmask_b32_e32 v2, v3, v2, vcc_lo
	s_and_b32 s0, s0, 0x80000000
	s_delay_alu instid0(VALU_DEP_1) | instid1(SALU_CYCLE_1)
	v_or_b32_e32 v2, s0, v2
	s_mov_b32 s0, 0
	s_delay_alu instid0(VALU_DEP_1)
	v_cvt_i32_f32_e32 v2, v2
	global_store_b8 v[0:1], v2, off
.LBB119_935:
	s_and_not1_b32 vcc_lo, exec_lo, s0
	s_cbranch_vccnz .LBB119_937
; %bb.936:
	s_lshl_b32 s0, s2, 8
	s_lshl_b32 s1, s2, 25
	s_and_b32 s0, s0, 0x7f00
	s_lshr_b32 s3, s1, 4
	s_or_b32 s0, s0, 0.5
	s_or_b32 s3, s3, 0x70000000
	v_add_f32_e64 v2, s0, -0.5
	v_mul_f32_e64 v3, 0x7800000, s3
	s_cmp_lt_u32 s1, 0x8000000
	s_cselect_b32 vcc_lo, -1, 0
	s_lshl_b32 s0, s2, 24
	s_delay_alu instid0(VALU_DEP_1)
	v_cndmask_b32_e32 v2, v3, v2, vcc_lo
	s_and_b32 s0, s0, 0x80000000
	s_delay_alu instid0(VALU_DEP_1) | instid1(SALU_CYCLE_1)
	v_or_b32_e32 v2, s0, v2
	s_delay_alu instid0(VALU_DEP_1) | instskip(NEXT) | instid1(VALU_DEP_1)
	v_trunc_f32_e32 v2, v2
	v_mul_f32_e64 v3, 0x2f800000, |v2|
	s_delay_alu instid0(VALU_DEP_1) | instskip(NEXT) | instid1(VALU_DEP_1)
	v_floor_f32_e32 v3, v3
	v_fma_f32 v3, 0xcf800000, v3, |v2|
	v_ashrrev_i32_e32 v2, 31, v2
	s_delay_alu instid0(VALU_DEP_2) | instskip(NEXT) | instid1(VALU_DEP_1)
	v_cvt_u32_f32_e32 v3, v3
	v_xor_b32_e32 v3, v3, v2
	s_delay_alu instid0(VALU_DEP_1)
	v_sub_nc_u32_e32 v2, v3, v2
	global_store_b8 v[0:1], v2, off
	s_nop 0
	s_sendmsg sendmsg(MSG_DEALLOC_VGPRS)
	s_endpgm
.LBB119_937:
	s_nop 0
	s_sendmsg sendmsg(MSG_DEALLOC_VGPRS)
	s_endpgm
.LBB119_938:
	s_cbranch_execnz .LBB119_940
; %bb.939:
	s_or_b32 s3, s3, exec_lo
	s_cbranch_execz .LBB119_822
	s_branch .LBB119_823
.LBB119_940:
	s_trap 2
	s_sendmsg_rtn_b32 s0, sendmsg(MSG_RTN_GET_DOORBELL)
	s_mov_b32 ttmp2, m0
	s_waitcnt lgkmcnt(0)
	s_and_b32 s0, s0, 0x3ff
	s_delay_alu instid0(SALU_CYCLE_1) | instskip(NEXT) | instid1(SALU_CYCLE_1)
	s_bitset1_b32 s0, 10
	s_mov_b32 m0, s0
	s_sendmsg sendmsg(MSG_INTERRUPT)
	s_mov_b32 m0, ttmp2
.LBB119_941:                            ; =>This Inner Loop Header: Depth=1
	s_sethalt 5
	s_branch .LBB119_941
.LBB119_942:
	s_mov_b32 s8, -1
	s_mov_b32 s5, 0
                                        ; implicit-def: $vgpr2
.LBB119_943:
	s_and_not1_b32 vcc_lo, exec_lo, s8
                                        ; implicit-def: $sgpr8
	s_cbranch_vccnz .LBB119_945
; %bb.944:
	v_add_f32_e64 v2, 0x46000000, |s1|
	s_mov_b32 s8, 0
	s_delay_alu instid0(VALU_DEP_1) | instskip(NEXT) | instid1(VALU_DEP_1)
	v_and_b32_e32 v2, 0xff, v2
	v_cmp_ne_u32_e64 s5, 0, v2
.LBB119_945:
	v_mov_b32_e32 v3, s8
	s_delay_alu instid0(VALU_DEP_2)
	s_and_not1_b32 vcc_lo, exec_lo, s5
	s_cbranch_vccnz .LBB119_947
; %bb.946:
	s_lshr_b32 s1, s1, 24
	s_delay_alu instid0(SALU_CYCLE_1) | instskip(NEXT) | instid1(SALU_CYCLE_1)
	s_and_b32 s1, s1, 0x80
	v_or_b32_e32 v3, s1, v2
.LBB119_947:
	global_store_b8 v[0:1], v3, off
.LBB119_948:
	s_mov_b32 s1, 0
.LBB119_949:
	s_delay_alu instid0(SALU_CYCLE_1)
	s_and_b32 vcc_lo, exec_lo, s1
	s_cbranch_vccz .LBB119_985
; %bb.950:
	v_cmp_lt_i16_e32 vcc_lo, 22, v5
	s_mov_b32 s1, -1
	s_cbranch_vccz .LBB119_978
; %bb.951:
	v_cmp_gt_i16_e32 vcc_lo, 24, v5
	s_cbranch_vccnz .LBB119_975
; %bb.952:
	v_cmp_lt_i16_e32 vcc_lo, 24, v5
	s_cbranch_vccz .LBB119_962
; %bb.953:
	s_lshl_b32 s1, s2, 8
	s_lshl_b32 s4, s2, 25
	s_and_b32 s1, s1, 0x7f00
	s_lshr_b32 s5, s4, 4
	s_or_b32 s1, s1, 0.5
	s_or_b32 s5, s5, 0x70000000
	v_add_f32_e64 v2, s1, -0.5
	v_mul_f32_e64 v3, 0x7800000, s5
	s_cmp_lt_u32 s4, 0x8000000
	s_cselect_b32 vcc_lo, -1, 0
	s_lshl_b32 s4, s2, 24
	s_delay_alu instid0(VALU_DEP_1) | instskip(SKIP_1) | instid1(VALU_DEP_1)
	v_dual_cndmask_b32 v2, v3, v2 :: v_dual_mov_b32 v3, 0x80
	s_and_b32 s4, s4, 0x80000000
	v_readfirstlane_b32 s1, v2
	s_delay_alu instid0(VALU_DEP_1) | instskip(NEXT) | instid1(SALU_CYCLE_1)
	s_or_b32 s1, s4, s1
	s_and_b32 s4, s1, 0x7fffffff
	s_delay_alu instid0(SALU_CYCLE_1)
	s_cmp_gt_u32 s4, 0x477fffff
	s_cbranch_scc1 .LBB119_961
; %bb.954:
	s_cmp_gt_u32 s4, 0x37ffffff
	s_cbranch_scc0 .LBB119_956
; %bb.955:
	v_bfe_u32 v2, v2, 21, 1
	s_mov_b32 s5, 0
	s_mov_b32 s4, -1
	s_delay_alu instid0(VALU_DEP_1) | instskip(NEXT) | instid1(VALU_DEP_1)
	v_add_nc_u32_e32 v2, s1, v2
	v_add_nc_u32_e32 v2, 0x88fffff, v2
	s_delay_alu instid0(VALU_DEP_1)
	v_lshrrev_b32_e32 v2, 21, v2
	s_branch .LBB119_957
.LBB119_956:
	s_mov_b32 s5, -1
	s_mov_b32 s4, 0
                                        ; implicit-def: $vgpr2
.LBB119_957:
	s_and_not1_b32 vcc_lo, exec_lo, s5
                                        ; implicit-def: $sgpr5
	s_cbranch_vccnz .LBB119_959
; %bb.958:
	v_add_f32_e64 v2, 0x42800000, |s1|
	s_mov_b32 s5, 0
	s_delay_alu instid0(VALU_DEP_1) | instskip(NEXT) | instid1(VALU_DEP_1)
	v_and_b32_e32 v2, 0xff, v2
	v_cmp_ne_u32_e64 s4, 0, v2
.LBB119_959:
	v_mov_b32_e32 v3, s5
	s_delay_alu instid0(VALU_DEP_2)
	s_and_not1_b32 vcc_lo, exec_lo, s4
	s_cbranch_vccnz .LBB119_961
; %bb.960:
	s_lshr_b32 s1, s1, 24
	s_delay_alu instid0(SALU_CYCLE_1) | instskip(NEXT) | instid1(SALU_CYCLE_1)
	s_and_b32 s1, s1, 0x80
	v_or_b32_e32 v3, s1, v2
.LBB119_961:
	s_mov_b32 s1, 0
	global_store_b8 v[0:1], v3, off
.LBB119_962:
	s_and_b32 vcc_lo, exec_lo, s1
	s_cbranch_vccz .LBB119_974
; %bb.963:
	s_lshl_b32 s1, s2, 8
	s_lshl_b32 s4, s2, 25
	s_and_b32 s1, s1, 0x7f00
	s_lshr_b32 s5, s4, 4
	s_or_b32 s1, s1, 0.5
	s_or_b32 s5, s5, 0x70000000
	v_add_f32_e64 v2, s1, -0.5
	v_mul_f32_e64 v3, 0x7800000, s5
	s_cmp_lt_u32 s4, 0x8000000
	s_cselect_b32 vcc_lo, -1, 0
	s_lshl_b32 s1, s2, 24
	s_delay_alu instid0(VALU_DEP_1) | instskip(SKIP_1) | instid1(VALU_DEP_1)
	v_cndmask_b32_e32 v2, v3, v2, vcc_lo
	s_and_b32 s1, s1, 0x80000000
	v_readfirstlane_b32 s5, v2
	s_delay_alu instid0(VALU_DEP_1) | instskip(NEXT) | instid1(SALU_CYCLE_1)
	s_or_b32 s1, s1, s5
	s_and_b32 s4, s1, 0x7fffffff
	s_delay_alu instid0(SALU_CYCLE_1)
	s_cmp_lt_u32 s4, 0x43f00000
	s_cbranch_scc0 .LBB119_966
; %bb.964:
	s_cmp_gt_u32 s4, 0x3c7fffff
	s_cbranch_scc0 .LBB119_967
; %bb.965:
	s_bfe_u32 s5, s5, 0x10014
	s_delay_alu instid0(SALU_CYCLE_1) | instskip(NEXT) | instid1(SALU_CYCLE_1)
	s_add_i32 s5, s1, s5
	s_add_i32 s5, s5, 0x407ffff
	s_delay_alu instid0(SALU_CYCLE_1)
	s_and_b32 s8, s5, 0xff00000
	s_lshr_b32 s5, s5, 20
	s_cmp_lg_u32 s8, 0x7f00000
	s_cselect_b32 s8, s5, 0x7e
	s_mov_b32 s5, 0
	s_branch .LBB119_968
.LBB119_966:
	s_mov_b32 s5, -1
                                        ; implicit-def: $vgpr2
	s_branch .LBB119_971
.LBB119_967:
	s_mov_b32 s5, -1
                                        ; implicit-def: $sgpr8
.LBB119_968:
	v_mov_b32_e32 v2, s8
	s_and_not1_b32 vcc_lo, exec_lo, s5
	s_cbranch_vccnz .LBB119_970
; %bb.969:
	v_add_f32_e64 v2, 0x46800000, |s1|
.LBB119_970:
	s_mov_b32 s5, 0
.LBB119_971:
	s_delay_alu instid0(SALU_CYCLE_1)
	s_and_not1_b32 vcc_lo, exec_lo, s5
	s_cbranch_vccnz .LBB119_973
; %bb.972:
	s_cmp_gt_u32 s4, 0x7f800000
	s_movk_i32 s4, 0x7f
	s_delay_alu instid0(SALU_CYCLE_1) | instskip(NEXT) | instid1(SALU_CYCLE_1)
	s_cselect_b32 s4, s4, 0x7e
	v_mov_b32_e32 v2, s4
.LBB119_973:
	s_lshr_b32 s1, s1, 24
	s_delay_alu instid0(SALU_CYCLE_1)
	s_and_b32 s1, s1, 0x80
	s_delay_alu instid0(VALU_DEP_1) | instid1(SALU_CYCLE_1)
	v_or_b32_e32 v2, s1, v2
	global_store_b8 v[0:1], v2, off
.LBB119_974:
	s_mov_b32 s1, 0
.LBB119_975:
	s_delay_alu instid0(SALU_CYCLE_1)
	s_and_not1_b32 vcc_lo, exec_lo, s1
	s_cbranch_vccnz .LBB119_977
; %bb.976:
	v_mov_b32_e32 v2, s2
	global_store_b8 v[0:1], v2, off
.LBB119_977:
	s_mov_b32 s1, 0
.LBB119_978:
	s_delay_alu instid0(SALU_CYCLE_1)
	s_and_not1_b32 vcc_lo, exec_lo, s1
	s_mov_b32 s4, 0
	s_cbranch_vccnz .LBB119_985
; %bb.979:
	v_cmp_lt_i16_e32 vcc_lo, 14, v5
	s_mov_b32 s1, -1
	s_cbranch_vccz .LBB119_983
; %bb.980:
	v_cmp_eq_u16_e32 vcc_lo, 15, v5
	s_mov_b32 s0, -1
	s_cbranch_vccz .LBB119_982
; %bb.981:
	s_lshl_b32 s0, s2, 8
	s_lshl_b32 s1, s2, 25
	s_and_b32 s0, s0, 0x7f00
	s_lshr_b32 s4, s1, 4
	s_or_b32 s0, s0, 0.5
	s_or_b32 s4, s4, 0x70000000
	v_add_f32_e64 v2, s0, -0.5
	v_mul_f32_e64 v3, 0x7800000, s4
	s_cmp_lt_u32 s1, 0x8000000
	s_cselect_b32 vcc_lo, -1, 0
	s_lshl_b32 s0, s2, 24
	s_delay_alu instid0(VALU_DEP_1)
	v_cndmask_b32_e32 v2, v3, v2, vcc_lo
	s_and_b32 s0, s0, 0x80000000
	s_delay_alu instid0(VALU_DEP_1) | instid1(SALU_CYCLE_1)
	v_or_b32_e32 v3, s0, v2
	v_bfe_u32 v2, v2, 16, 1
	s_mov_b32 s0, 0
	s_delay_alu instid0(VALU_DEP_2) | instskip(NEXT) | instid1(VALU_DEP_2)
	v_cmp_o_f32_e32 vcc_lo, v3, v3
	v_add_nc_u32_e32 v2, v3, v2
	s_delay_alu instid0(VALU_DEP_1) | instskip(NEXT) | instid1(VALU_DEP_1)
	v_add_nc_u32_e32 v2, 0x7fff, v2
	v_lshrrev_b32_e32 v2, 16, v2
	s_delay_alu instid0(VALU_DEP_1)
	v_cndmask_b32_e32 v2, 0x7fc0, v2, vcc_lo
	global_store_b16 v[0:1], v2, off
.LBB119_982:
	s_mov_b32 s1, 0
.LBB119_983:
	s_delay_alu instid0(SALU_CYCLE_1)
	s_and_b32 vcc_lo, exec_lo, s1
	s_mov_b32 s4, 0
	s_cbranch_vccz .LBB119_985
; %bb.984:
	v_cmp_ne_u16_e64 s0, 11, v5
	s_mov_b32 s4, -1
.LBB119_985:
	s_delay_alu instid0(VALU_DEP_1)
	s_and_b32 vcc_lo, exec_lo, s0
	s_cbranch_vccnz .LBB119_987
.LBB119_986:
	s_mov_b32 s0, 0
	s_branch .LBB119_894
.LBB119_987:
	s_cbranch_execnz .LBB119_989
; %bb.988:
	s_mov_b32 s4, 0
	s_or_b32 s3, s3, exec_lo
	s_branch .LBB119_986
.LBB119_989:
	s_trap 2
	s_sendmsg_rtn_b32 s0, sendmsg(MSG_RTN_GET_DOORBELL)
	s_mov_b32 ttmp2, m0
	s_waitcnt lgkmcnt(0)
	s_and_b32 s0, s0, 0x3ff
	s_delay_alu instid0(SALU_CYCLE_1) | instskip(NEXT) | instid1(SALU_CYCLE_1)
	s_bitset1_b32 s0, 10
	s_mov_b32 m0, s0
	s_sendmsg sendmsg(MSG_INTERRUPT)
	s_mov_b32 m0, ttmp2
.LBB119_990:                            ; =>This Inner Loop Header: Depth=1
	s_sethalt 5
	s_branch .LBB119_990
	.section	.rodata,"a",@progbits
	.p2align	6, 0x0
	.amdhsa_kernel _ZN2at6native32elementwise_kernel_manual_unrollILi128ELi4EZNS0_15gpu_kernel_implINS0_11FillFunctorIN3c1011Float8_e5m2EEEEEvRNS_18TensorIteratorBaseERKT_EUlibE0_EEviT1_
		.amdhsa_group_segment_fixed_size 0
		.amdhsa_private_segment_fixed_size 0
		.amdhsa_kernarg_size 288
		.amdhsa_user_sgpr_count 15
		.amdhsa_user_sgpr_dispatch_ptr 0
		.amdhsa_user_sgpr_queue_ptr 0
		.amdhsa_user_sgpr_kernarg_segment_ptr 1
		.amdhsa_user_sgpr_dispatch_id 0
		.amdhsa_user_sgpr_private_segment_size 0
		.amdhsa_wavefront_size32 1
		.amdhsa_uses_dynamic_stack 0
		.amdhsa_enable_private_segment 0
		.amdhsa_system_sgpr_workgroup_id_x 1
		.amdhsa_system_sgpr_workgroup_id_y 0
		.amdhsa_system_sgpr_workgroup_id_z 0
		.amdhsa_system_sgpr_workgroup_info 0
		.amdhsa_system_vgpr_workitem_id 0
		.amdhsa_next_free_vgpr 27
		.amdhsa_next_free_sgpr 68
		.amdhsa_reserve_vcc 1
		.amdhsa_float_round_mode_32 0
		.amdhsa_float_round_mode_16_64 0
		.amdhsa_float_denorm_mode_32 3
		.amdhsa_float_denorm_mode_16_64 3
		.amdhsa_dx10_clamp 1
		.amdhsa_ieee_mode 1
		.amdhsa_fp16_overflow 0
		.amdhsa_workgroup_processor_mode 1
		.amdhsa_memory_ordered 1
		.amdhsa_forward_progress 0
		.amdhsa_shared_vgpr_count 0
		.amdhsa_exception_fp_ieee_invalid_op 0
		.amdhsa_exception_fp_denorm_src 0
		.amdhsa_exception_fp_ieee_div_zero 0
		.amdhsa_exception_fp_ieee_overflow 0
		.amdhsa_exception_fp_ieee_underflow 0
		.amdhsa_exception_fp_ieee_inexact 0
		.amdhsa_exception_int_div_zero 0
	.end_amdhsa_kernel
	.section	.text._ZN2at6native32elementwise_kernel_manual_unrollILi128ELi4EZNS0_15gpu_kernel_implINS0_11FillFunctorIN3c1011Float8_e5m2EEEEEvRNS_18TensorIteratorBaseERKT_EUlibE0_EEviT1_,"axG",@progbits,_ZN2at6native32elementwise_kernel_manual_unrollILi128ELi4EZNS0_15gpu_kernel_implINS0_11FillFunctorIN3c1011Float8_e5m2EEEEEvRNS_18TensorIteratorBaseERKT_EUlibE0_EEviT1_,comdat
.Lfunc_end119:
	.size	_ZN2at6native32elementwise_kernel_manual_unrollILi128ELi4EZNS0_15gpu_kernel_implINS0_11FillFunctorIN3c1011Float8_e5m2EEEEEvRNS_18TensorIteratorBaseERKT_EUlibE0_EEviT1_, .Lfunc_end119-_ZN2at6native32elementwise_kernel_manual_unrollILi128ELi4EZNS0_15gpu_kernel_implINS0_11FillFunctorIN3c1011Float8_e5m2EEEEEvRNS_18TensorIteratorBaseERKT_EUlibE0_EEviT1_
                                        ; -- End function
	.section	.AMDGPU.csdata,"",@progbits
; Kernel info:
; codeLenInByte = 26380
; NumSgprs: 70
; NumVgprs: 27
; ScratchSize: 0
; MemoryBound: 0
; FloatMode: 240
; IeeeMode: 1
; LDSByteSize: 0 bytes/workgroup (compile time only)
; SGPRBlocks: 8
; VGPRBlocks: 3
; NumSGPRsForWavesPerEU: 70
; NumVGPRsForWavesPerEU: 27
; Occupancy: 16
; WaveLimiterHint : 1
; COMPUTE_PGM_RSRC2:SCRATCH_EN: 0
; COMPUTE_PGM_RSRC2:USER_SGPR: 15
; COMPUTE_PGM_RSRC2:TRAP_HANDLER: 0
; COMPUTE_PGM_RSRC2:TGID_X_EN: 1
; COMPUTE_PGM_RSRC2:TGID_Y_EN: 0
; COMPUTE_PGM_RSRC2:TGID_Z_EN: 0
; COMPUTE_PGM_RSRC2:TIDIG_COMP_CNT: 0
	.section	.text._ZN2at6native29vectorized_elementwise_kernelILi16ENS0_11FillFunctorIN3c1015Float8_e5m2fnuzEEESt5arrayIPcLm1EEEEviT0_T1_,"axG",@progbits,_ZN2at6native29vectorized_elementwise_kernelILi16ENS0_11FillFunctorIN3c1015Float8_e5m2fnuzEEESt5arrayIPcLm1EEEEviT0_T1_,comdat
	.protected	_ZN2at6native29vectorized_elementwise_kernelILi16ENS0_11FillFunctorIN3c1015Float8_e5m2fnuzEEESt5arrayIPcLm1EEEEviT0_T1_ ; -- Begin function _ZN2at6native29vectorized_elementwise_kernelILi16ENS0_11FillFunctorIN3c1015Float8_e5m2fnuzEEESt5arrayIPcLm1EEEEviT0_T1_
	.globl	_ZN2at6native29vectorized_elementwise_kernelILi16ENS0_11FillFunctorIN3c1015Float8_e5m2fnuzEEESt5arrayIPcLm1EEEEviT0_T1_
	.p2align	8
	.type	_ZN2at6native29vectorized_elementwise_kernelILi16ENS0_11FillFunctorIN3c1015Float8_e5m2fnuzEEESt5arrayIPcLm1EEEEviT0_T1_,@function
_ZN2at6native29vectorized_elementwise_kernelILi16ENS0_11FillFunctorIN3c1015Float8_e5m2fnuzEEESt5arrayIPcLm1EEEEviT0_T1_: ; @_ZN2at6native29vectorized_elementwise_kernelILi16ENS0_11FillFunctorIN3c1015Float8_e5m2fnuzEEESt5arrayIPcLm1EEEEviT0_T1_
; %bb.0:
	s_load_b128 s[0:3], s[0:1], 0x0
	s_lshl_b32 s4, s15, 12
	s_waitcnt lgkmcnt(0)
	s_sub_i32 s0, s0, s4
	s_delay_alu instid0(SALU_CYCLE_1)
	s_cmpk_gt_i32 s0, 0xfff
	s_cbranch_scc0 .LBB120_4
; %bb.1:
	v_lshlrev_b16 v1, 8, s1
	v_and_b32_e64 v2, 0xff, s1
	v_dual_mov_b32 v8, s1 :: v_dual_lshlrev_b32 v7, 4, v0
	s_ashr_i32 s5, s4, 31
	s_add_u32 s8, s2, s4
	s_delay_alu instid0(VALU_DEP_2) | instskip(SKIP_1) | instid1(VALU_DEP_1)
	v_or_b32_e32 v6, v2, v1
	s_addc_u32 s9, s3, s5
	v_and_b32_e32 v1, 0xffff, v6
	v_lshlrev_b32_e32 v2, 16, v6
	s_delay_alu instid0(VALU_DEP_1) | instskip(SKIP_1) | instid1(VALU_DEP_1)
	v_or_b32_e32 v3, v1, v2
	v_add_co_u32 v1, s5, s8, v7
	v_add_co_ci_u32_e64 v2, null, s9, 0, s5
	s_delay_alu instid0(VALU_DEP_3) | instskip(SKIP_1) | instid1(VALU_DEP_4)
	v_mov_b32_e32 v5, v3
	v_mov_b32_e32 v4, v3
	v_add_co_u32 v1, vcc_lo, v1, 15
	s_delay_alu instid0(VALU_DEP_4)
	v_add_co_ci_u32_e32 v2, vcc_lo, 0, v2, vcc_lo
	s_mov_b32 s5, -1
	s_clause 0x2
	global_store_b8 v7, v8, s[8:9] offset:14
	global_store_b16 v7, v6, s[8:9] offset:12
	global_store_b96 v7, v[3:5], s[8:9]
	s_cbranch_execz .LBB120_5
; %bb.2:
	s_and_saveexec_b32 s0, s5
	s_cbranch_execz .LBB120_24
.LBB120_3:
	v_mov_b32_e32 v0, s1
	global_store_b8 v[1:2], v0, off
	s_nop 0
	s_sendmsg sendmsg(MSG_DEALLOC_VGPRS)
	s_endpgm
.LBB120_4:
	s_mov_b32 s5, 0
                                        ; implicit-def: $vgpr1_vgpr2
.LBB120_5:
	s_mov_b32 s6, exec_lo
	v_cmpx_gt_i32_e64 s0, v0
	s_cbranch_execz .LBB120_25
; %bb.6:
	v_or_b32_e32 v1, 0x100, v0
	v_or_b32_e32 v2, s4, v0
	s_delay_alu instid0(VALU_DEP_2) | instskip(SKIP_2) | instid1(SALU_CYCLE_1)
	v_dual_mov_b32 v3, s1 :: v_dual_mov_b32 v0, v1
	global_store_b8 v2, v3, s[2:3]
	s_or_b32 exec_lo, exec_lo, s6
	s_mov_b32 s6, exec_lo
	v_cmpx_gt_i32_e64 s0, v0
	s_cbranch_execnz .LBB120_26
.LBB120_7:
	s_or_b32 exec_lo, exec_lo, s6
	s_delay_alu instid0(SALU_CYCLE_1)
	s_mov_b32 s6, exec_lo
	v_cmpx_gt_i32_e64 s0, v0
	s_cbranch_execz .LBB120_27
.LBB120_8:
	v_dual_mov_b32 v2, s1 :: v_dual_add_nc_u32 v1, s4, v0
	v_add_nc_u32_e32 v0, 0x100, v0
	global_store_b8 v1, v2, s[2:3]
	s_or_b32 exec_lo, exec_lo, s6
	s_delay_alu instid0(SALU_CYCLE_1)
	s_mov_b32 s6, exec_lo
	v_cmpx_gt_i32_e64 s0, v0
	s_cbranch_execnz .LBB120_28
.LBB120_9:
	s_or_b32 exec_lo, exec_lo, s6
	s_delay_alu instid0(SALU_CYCLE_1)
	s_mov_b32 s6, exec_lo
	v_cmpx_gt_i32_e64 s0, v0
	s_cbranch_execz .LBB120_29
.LBB120_10:
	v_dual_mov_b32 v2, s1 :: v_dual_add_nc_u32 v1, s4, v0
	v_add_nc_u32_e32 v0, 0x100, v0
	global_store_b8 v1, v2, s[2:3]
	s_or_b32 exec_lo, exec_lo, s6
	s_delay_alu instid0(SALU_CYCLE_1)
	s_mov_b32 s6, exec_lo
	v_cmpx_gt_i32_e64 s0, v0
	s_cbranch_execnz .LBB120_30
.LBB120_11:
	s_or_b32 exec_lo, exec_lo, s6
	s_delay_alu instid0(SALU_CYCLE_1)
	s_mov_b32 s6, exec_lo
	v_cmpx_gt_i32_e64 s0, v0
	s_cbranch_execz .LBB120_31
.LBB120_12:
	v_dual_mov_b32 v2, s1 :: v_dual_add_nc_u32 v1, s4, v0
	v_add_nc_u32_e32 v0, 0x100, v0
	global_store_b8 v1, v2, s[2:3]
	s_or_b32 exec_lo, exec_lo, s6
	s_delay_alu instid0(SALU_CYCLE_1)
	s_mov_b32 s6, exec_lo
	v_cmpx_gt_i32_e64 s0, v0
	s_cbranch_execnz .LBB120_32
.LBB120_13:
	s_or_b32 exec_lo, exec_lo, s6
	s_delay_alu instid0(SALU_CYCLE_1)
	s_mov_b32 s6, exec_lo
	v_cmpx_gt_i32_e64 s0, v0
	s_cbranch_execz .LBB120_33
.LBB120_14:
	v_dual_mov_b32 v2, s1 :: v_dual_add_nc_u32 v1, s4, v0
	v_add_nc_u32_e32 v0, 0x100, v0
	global_store_b8 v1, v2, s[2:3]
	s_or_b32 exec_lo, exec_lo, s6
	s_delay_alu instid0(SALU_CYCLE_1)
	s_mov_b32 s6, exec_lo
	v_cmpx_gt_i32_e64 s0, v0
	s_cbranch_execnz .LBB120_34
.LBB120_15:
	s_or_b32 exec_lo, exec_lo, s6
	s_delay_alu instid0(SALU_CYCLE_1)
	s_mov_b32 s6, exec_lo
	v_cmpx_gt_i32_e64 s0, v0
	s_cbranch_execz .LBB120_35
.LBB120_16:
	v_dual_mov_b32 v2, s1 :: v_dual_add_nc_u32 v1, s4, v0
	v_add_nc_u32_e32 v0, 0x100, v0
	global_store_b8 v1, v2, s[2:3]
	s_or_b32 exec_lo, exec_lo, s6
	s_delay_alu instid0(SALU_CYCLE_1)
	s_mov_b32 s6, exec_lo
	v_cmpx_gt_i32_e64 s0, v0
	s_cbranch_execnz .LBB120_36
.LBB120_17:
	s_or_b32 exec_lo, exec_lo, s6
	s_delay_alu instid0(SALU_CYCLE_1)
	s_mov_b32 s6, exec_lo
	v_cmpx_gt_i32_e64 s0, v0
	s_cbranch_execz .LBB120_37
.LBB120_18:
	v_dual_mov_b32 v2, s1 :: v_dual_add_nc_u32 v1, s4, v0
	v_add_nc_u32_e32 v0, 0x100, v0
	global_store_b8 v1, v2, s[2:3]
	s_or_b32 exec_lo, exec_lo, s6
	s_delay_alu instid0(SALU_CYCLE_1)
	s_mov_b32 s6, exec_lo
	v_cmpx_gt_i32_e64 s0, v0
	s_cbranch_execnz .LBB120_38
.LBB120_19:
	s_or_b32 exec_lo, exec_lo, s6
	s_delay_alu instid0(SALU_CYCLE_1)
	s_mov_b32 s6, exec_lo
	v_cmpx_gt_i32_e64 s0, v0
	s_cbranch_execz .LBB120_21
.LBB120_20:
	v_dual_mov_b32 v2, s1 :: v_dual_add_nc_u32 v1, s4, v0
	v_add_nc_u32_e32 v0, 0x100, v0
	global_store_b8 v1, v2, s[2:3]
.LBB120_21:
	s_or_b32 exec_lo, exec_lo, s6
	v_cmp_gt_i32_e32 vcc_lo, s0, v0
                                        ; implicit-def: $vgpr1_vgpr2
	s_and_saveexec_b32 s0, vcc_lo
; %bb.22:
	v_add_nc_u32_e32 v0, s4, v0
	s_or_b32 s5, s5, exec_lo
	s_delay_alu instid0(VALU_DEP_1) | instskip(NEXT) | instid1(VALU_DEP_1)
	v_add_co_u32 v1, s2, s2, v0
	v_add_co_ci_u32_e64 v2, null, s3, 0, s2
; %bb.23:
	s_or_b32 exec_lo, exec_lo, s0
	s_and_saveexec_b32 s0, s5
	s_cbranch_execnz .LBB120_3
.LBB120_24:
	s_nop 0
	s_sendmsg sendmsg(MSG_DEALLOC_VGPRS)
	s_endpgm
.LBB120_25:
	s_or_b32 exec_lo, exec_lo, s6
	s_delay_alu instid0(SALU_CYCLE_1)
	s_mov_b32 s6, exec_lo
	v_cmpx_gt_i32_e64 s0, v0
	s_cbranch_execz .LBB120_7
.LBB120_26:
	v_dual_mov_b32 v2, s1 :: v_dual_add_nc_u32 v1, s4, v0
	v_add_nc_u32_e32 v0, 0x100, v0
	global_store_b8 v1, v2, s[2:3]
	s_or_b32 exec_lo, exec_lo, s6
	s_delay_alu instid0(SALU_CYCLE_1)
	s_mov_b32 s6, exec_lo
	v_cmpx_gt_i32_e64 s0, v0
	s_cbranch_execnz .LBB120_8
.LBB120_27:
	s_or_b32 exec_lo, exec_lo, s6
	s_delay_alu instid0(SALU_CYCLE_1)
	s_mov_b32 s6, exec_lo
	v_cmpx_gt_i32_e64 s0, v0
	s_cbranch_execz .LBB120_9
.LBB120_28:
	v_dual_mov_b32 v2, s1 :: v_dual_add_nc_u32 v1, s4, v0
	v_add_nc_u32_e32 v0, 0x100, v0
	global_store_b8 v1, v2, s[2:3]
	s_or_b32 exec_lo, exec_lo, s6
	s_delay_alu instid0(SALU_CYCLE_1)
	s_mov_b32 s6, exec_lo
	v_cmpx_gt_i32_e64 s0, v0
	s_cbranch_execnz .LBB120_10
.LBB120_29:
	s_or_b32 exec_lo, exec_lo, s6
	s_delay_alu instid0(SALU_CYCLE_1)
	s_mov_b32 s6, exec_lo
	v_cmpx_gt_i32_e64 s0, v0
	s_cbranch_execz .LBB120_11
.LBB120_30:
	v_dual_mov_b32 v2, s1 :: v_dual_add_nc_u32 v1, s4, v0
	v_add_nc_u32_e32 v0, 0x100, v0
	global_store_b8 v1, v2, s[2:3]
	s_or_b32 exec_lo, exec_lo, s6
	s_delay_alu instid0(SALU_CYCLE_1)
	s_mov_b32 s6, exec_lo
	v_cmpx_gt_i32_e64 s0, v0
	s_cbranch_execnz .LBB120_12
.LBB120_31:
	s_or_b32 exec_lo, exec_lo, s6
	s_delay_alu instid0(SALU_CYCLE_1)
	s_mov_b32 s6, exec_lo
	v_cmpx_gt_i32_e64 s0, v0
	s_cbranch_execz .LBB120_13
.LBB120_32:
	v_dual_mov_b32 v2, s1 :: v_dual_add_nc_u32 v1, s4, v0
	v_add_nc_u32_e32 v0, 0x100, v0
	global_store_b8 v1, v2, s[2:3]
	s_or_b32 exec_lo, exec_lo, s6
	s_delay_alu instid0(SALU_CYCLE_1)
	s_mov_b32 s6, exec_lo
	v_cmpx_gt_i32_e64 s0, v0
	s_cbranch_execnz .LBB120_14
.LBB120_33:
	s_or_b32 exec_lo, exec_lo, s6
	s_delay_alu instid0(SALU_CYCLE_1)
	s_mov_b32 s6, exec_lo
	v_cmpx_gt_i32_e64 s0, v0
	s_cbranch_execz .LBB120_15
.LBB120_34:
	v_dual_mov_b32 v2, s1 :: v_dual_add_nc_u32 v1, s4, v0
	v_add_nc_u32_e32 v0, 0x100, v0
	global_store_b8 v1, v2, s[2:3]
	s_or_b32 exec_lo, exec_lo, s6
	s_delay_alu instid0(SALU_CYCLE_1)
	s_mov_b32 s6, exec_lo
	v_cmpx_gt_i32_e64 s0, v0
	s_cbranch_execnz .LBB120_16
.LBB120_35:
	s_or_b32 exec_lo, exec_lo, s6
	s_delay_alu instid0(SALU_CYCLE_1)
	s_mov_b32 s6, exec_lo
	v_cmpx_gt_i32_e64 s0, v0
	s_cbranch_execz .LBB120_17
.LBB120_36:
	v_dual_mov_b32 v2, s1 :: v_dual_add_nc_u32 v1, s4, v0
	v_add_nc_u32_e32 v0, 0x100, v0
	global_store_b8 v1, v2, s[2:3]
	s_or_b32 exec_lo, exec_lo, s6
	s_delay_alu instid0(SALU_CYCLE_1)
	s_mov_b32 s6, exec_lo
	v_cmpx_gt_i32_e64 s0, v0
	s_cbranch_execnz .LBB120_18
.LBB120_37:
	s_or_b32 exec_lo, exec_lo, s6
	s_delay_alu instid0(SALU_CYCLE_1)
	s_mov_b32 s6, exec_lo
	v_cmpx_gt_i32_e64 s0, v0
	s_cbranch_execz .LBB120_19
.LBB120_38:
	v_dual_mov_b32 v2, s1 :: v_dual_add_nc_u32 v1, s4, v0
	v_add_nc_u32_e32 v0, 0x100, v0
	global_store_b8 v1, v2, s[2:3]
	s_or_b32 exec_lo, exec_lo, s6
	s_delay_alu instid0(SALU_CYCLE_1)
	s_mov_b32 s6, exec_lo
	v_cmpx_gt_i32_e64 s0, v0
	s_cbranch_execz .LBB120_21
	s_branch .LBB120_20
	.section	.rodata,"a",@progbits
	.p2align	6, 0x0
	.amdhsa_kernel _ZN2at6native29vectorized_elementwise_kernelILi16ENS0_11FillFunctorIN3c1015Float8_e5m2fnuzEEESt5arrayIPcLm1EEEEviT0_T1_
		.amdhsa_group_segment_fixed_size 0
		.amdhsa_private_segment_fixed_size 0
		.amdhsa_kernarg_size 16
		.amdhsa_user_sgpr_count 15
		.amdhsa_user_sgpr_dispatch_ptr 0
		.amdhsa_user_sgpr_queue_ptr 0
		.amdhsa_user_sgpr_kernarg_segment_ptr 1
		.amdhsa_user_sgpr_dispatch_id 0
		.amdhsa_user_sgpr_private_segment_size 0
		.amdhsa_wavefront_size32 1
		.amdhsa_uses_dynamic_stack 0
		.amdhsa_enable_private_segment 0
		.amdhsa_system_sgpr_workgroup_id_x 1
		.amdhsa_system_sgpr_workgroup_id_y 0
		.amdhsa_system_sgpr_workgroup_id_z 0
		.amdhsa_system_sgpr_workgroup_info 0
		.amdhsa_system_vgpr_workitem_id 0
		.amdhsa_next_free_vgpr 9
		.amdhsa_next_free_sgpr 16
		.amdhsa_reserve_vcc 1
		.amdhsa_float_round_mode_32 0
		.amdhsa_float_round_mode_16_64 0
		.amdhsa_float_denorm_mode_32 3
		.amdhsa_float_denorm_mode_16_64 3
		.amdhsa_dx10_clamp 1
		.amdhsa_ieee_mode 1
		.amdhsa_fp16_overflow 0
		.amdhsa_workgroup_processor_mode 1
		.amdhsa_memory_ordered 1
		.amdhsa_forward_progress 0
		.amdhsa_shared_vgpr_count 0
		.amdhsa_exception_fp_ieee_invalid_op 0
		.amdhsa_exception_fp_denorm_src 0
		.amdhsa_exception_fp_ieee_div_zero 0
		.amdhsa_exception_fp_ieee_overflow 0
		.amdhsa_exception_fp_ieee_underflow 0
		.amdhsa_exception_fp_ieee_inexact 0
		.amdhsa_exception_int_div_zero 0
	.end_amdhsa_kernel
	.section	.text._ZN2at6native29vectorized_elementwise_kernelILi16ENS0_11FillFunctorIN3c1015Float8_e5m2fnuzEEESt5arrayIPcLm1EEEEviT0_T1_,"axG",@progbits,_ZN2at6native29vectorized_elementwise_kernelILi16ENS0_11FillFunctorIN3c1015Float8_e5m2fnuzEEESt5arrayIPcLm1EEEEviT0_T1_,comdat
.Lfunc_end120:
	.size	_ZN2at6native29vectorized_elementwise_kernelILi16ENS0_11FillFunctorIN3c1015Float8_e5m2fnuzEEESt5arrayIPcLm1EEEEviT0_T1_, .Lfunc_end120-_ZN2at6native29vectorized_elementwise_kernelILi16ENS0_11FillFunctorIN3c1015Float8_e5m2fnuzEEESt5arrayIPcLm1EEEEviT0_T1_
                                        ; -- End function
	.section	.AMDGPU.csdata,"",@progbits
; Kernel info:
; codeLenInByte = 1336
; NumSgprs: 18
; NumVgprs: 9
; ScratchSize: 0
; MemoryBound: 0
; FloatMode: 240
; IeeeMode: 1
; LDSByteSize: 0 bytes/workgroup (compile time only)
; SGPRBlocks: 2
; VGPRBlocks: 1
; NumSGPRsForWavesPerEU: 18
; NumVGPRsForWavesPerEU: 9
; Occupancy: 16
; WaveLimiterHint : 0
; COMPUTE_PGM_RSRC2:SCRATCH_EN: 0
; COMPUTE_PGM_RSRC2:USER_SGPR: 15
; COMPUTE_PGM_RSRC2:TRAP_HANDLER: 0
; COMPUTE_PGM_RSRC2:TGID_X_EN: 1
; COMPUTE_PGM_RSRC2:TGID_Y_EN: 0
; COMPUTE_PGM_RSRC2:TGID_Z_EN: 0
; COMPUTE_PGM_RSRC2:TIDIG_COMP_CNT: 0
	.section	.text._ZN2at6native29vectorized_elementwise_kernelILi8ENS0_11FillFunctorIN3c1015Float8_e5m2fnuzEEESt5arrayIPcLm1EEEEviT0_T1_,"axG",@progbits,_ZN2at6native29vectorized_elementwise_kernelILi8ENS0_11FillFunctorIN3c1015Float8_e5m2fnuzEEESt5arrayIPcLm1EEEEviT0_T1_,comdat
	.protected	_ZN2at6native29vectorized_elementwise_kernelILi8ENS0_11FillFunctorIN3c1015Float8_e5m2fnuzEEESt5arrayIPcLm1EEEEviT0_T1_ ; -- Begin function _ZN2at6native29vectorized_elementwise_kernelILi8ENS0_11FillFunctorIN3c1015Float8_e5m2fnuzEEESt5arrayIPcLm1EEEEviT0_T1_
	.globl	_ZN2at6native29vectorized_elementwise_kernelILi8ENS0_11FillFunctorIN3c1015Float8_e5m2fnuzEEESt5arrayIPcLm1EEEEviT0_T1_
	.p2align	8
	.type	_ZN2at6native29vectorized_elementwise_kernelILi8ENS0_11FillFunctorIN3c1015Float8_e5m2fnuzEEESt5arrayIPcLm1EEEEviT0_T1_,@function
_ZN2at6native29vectorized_elementwise_kernelILi8ENS0_11FillFunctorIN3c1015Float8_e5m2fnuzEEESt5arrayIPcLm1EEEEviT0_T1_: ; @_ZN2at6native29vectorized_elementwise_kernelILi8ENS0_11FillFunctorIN3c1015Float8_e5m2fnuzEEESt5arrayIPcLm1EEEEviT0_T1_
; %bb.0:
	s_load_b128 s[0:3], s[0:1], 0x0
	s_lshl_b32 s4, s15, 12
	s_mov_b32 s5, -1
	s_waitcnt lgkmcnt(0)
	s_sub_i32 s0, s0, s4
	s_delay_alu instid0(SALU_CYCLE_1)
	s_cmpk_gt_i32 s0, 0xfff
	s_cbranch_scc0 .LBB121_2
; %bb.1:
	s_ashr_i32 s5, s4, 31
	s_add_u32 s6, s2, s4
	s_addc_u32 s7, s3, s5
	s_and_b32 s5, s1, 0xff
	s_delay_alu instid0(SALU_CYCLE_1)
	s_mul_i32 s8, s5, 0x1010101
	s_mov_b32 s5, 0
	s_mov_b32 s9, s8
	v_mov_b32_e32 v1, s8
	v_dual_mov_b32 v2, s9 :: v_dual_lshlrev_b32 v3, 3, v0
	s_clause 0x1
	global_store_b64 v3, v[1:2], s[6:7]
	global_store_b64 v3, v[1:2], s[6:7] offset:2048
.LBB121_2:
	s_and_not1_b32 vcc_lo, exec_lo, s5
	s_cbranch_vccnz .LBB121_20
; %bb.3:
	s_mov_b32 s5, exec_lo
	v_cmpx_gt_i32_e64 s0, v0
	s_cbranch_execnz .LBB121_21
; %bb.4:
	s_or_b32 exec_lo, exec_lo, s5
	s_delay_alu instid0(SALU_CYCLE_1)
	s_mov_b32 s5, exec_lo
	v_cmpx_gt_i32_e64 s0, v0
	s_cbranch_execnz .LBB121_22
.LBB121_5:
	s_or_b32 exec_lo, exec_lo, s5
	s_delay_alu instid0(SALU_CYCLE_1)
	s_mov_b32 s5, exec_lo
	v_cmpx_gt_i32_e64 s0, v0
	s_cbranch_execnz .LBB121_23
.LBB121_6:
	s_or_b32 exec_lo, exec_lo, s5
	s_delay_alu instid0(SALU_CYCLE_1)
	s_mov_b32 s5, exec_lo
	v_cmpx_gt_i32_e64 s0, v0
	s_cbranch_execnz .LBB121_24
.LBB121_7:
	s_or_b32 exec_lo, exec_lo, s5
	s_delay_alu instid0(SALU_CYCLE_1)
	s_mov_b32 s5, exec_lo
	v_cmpx_gt_i32_e64 s0, v0
	s_cbranch_execnz .LBB121_25
.LBB121_8:
	s_or_b32 exec_lo, exec_lo, s5
	s_delay_alu instid0(SALU_CYCLE_1)
	s_mov_b32 s5, exec_lo
	v_cmpx_gt_i32_e64 s0, v0
	s_cbranch_execnz .LBB121_26
.LBB121_9:
	s_or_b32 exec_lo, exec_lo, s5
	s_delay_alu instid0(SALU_CYCLE_1)
	s_mov_b32 s5, exec_lo
	v_cmpx_gt_i32_e64 s0, v0
	s_cbranch_execnz .LBB121_27
.LBB121_10:
	s_or_b32 exec_lo, exec_lo, s5
	s_delay_alu instid0(SALU_CYCLE_1)
	s_mov_b32 s5, exec_lo
	v_cmpx_gt_i32_e64 s0, v0
	s_cbranch_execnz .LBB121_28
.LBB121_11:
	s_or_b32 exec_lo, exec_lo, s5
	s_delay_alu instid0(SALU_CYCLE_1)
	s_mov_b32 s5, exec_lo
	v_cmpx_gt_i32_e64 s0, v0
	s_cbranch_execnz .LBB121_29
.LBB121_12:
	s_or_b32 exec_lo, exec_lo, s5
	s_delay_alu instid0(SALU_CYCLE_1)
	s_mov_b32 s5, exec_lo
	v_cmpx_gt_i32_e64 s0, v0
	s_cbranch_execnz .LBB121_30
.LBB121_13:
	s_or_b32 exec_lo, exec_lo, s5
	s_delay_alu instid0(SALU_CYCLE_1)
	s_mov_b32 s5, exec_lo
	v_cmpx_gt_i32_e64 s0, v0
	s_cbranch_execnz .LBB121_31
.LBB121_14:
	s_or_b32 exec_lo, exec_lo, s5
	s_delay_alu instid0(SALU_CYCLE_1)
	s_mov_b32 s5, exec_lo
	v_cmpx_gt_i32_e64 s0, v0
	s_cbranch_execnz .LBB121_32
.LBB121_15:
	s_or_b32 exec_lo, exec_lo, s5
	s_delay_alu instid0(SALU_CYCLE_1)
	s_mov_b32 s5, exec_lo
	v_cmpx_gt_i32_e64 s0, v0
	s_cbranch_execnz .LBB121_33
.LBB121_16:
	s_or_b32 exec_lo, exec_lo, s5
	s_delay_alu instid0(SALU_CYCLE_1)
	s_mov_b32 s5, exec_lo
	v_cmpx_gt_i32_e64 s0, v0
	s_cbranch_execnz .LBB121_34
.LBB121_17:
	s_or_b32 exec_lo, exec_lo, s5
	s_delay_alu instid0(SALU_CYCLE_1)
	s_mov_b32 s5, exec_lo
	v_cmpx_gt_i32_e64 s0, v0
	s_cbranch_execnz .LBB121_35
.LBB121_18:
	s_or_b32 exec_lo, exec_lo, s5
	v_cmp_gt_i32_e32 vcc_lo, s0, v0
	s_and_saveexec_b32 s0, vcc_lo
	s_cbranch_execz .LBB121_20
.LBB121_19:
	v_dual_mov_b32 v1, s1 :: v_dual_add_nc_u32 v0, s4, v0
	global_store_b8 v0, v1, s[2:3]
.LBB121_20:
	s_nop 0
	s_sendmsg sendmsg(MSG_DEALLOC_VGPRS)
	s_endpgm
.LBB121_21:
	v_or_b32_e32 v1, 0x100, v0
	v_or_b32_e32 v2, s4, v0
	s_delay_alu instid0(VALU_DEP_2) | instskip(SKIP_2) | instid1(SALU_CYCLE_1)
	v_dual_mov_b32 v3, s1 :: v_dual_mov_b32 v0, v1
	global_store_b8 v2, v3, s[2:3]
	s_or_b32 exec_lo, exec_lo, s5
	s_mov_b32 s5, exec_lo
	v_cmpx_gt_i32_e64 s0, v0
	s_cbranch_execz .LBB121_5
.LBB121_22:
	v_dual_mov_b32 v2, s1 :: v_dual_add_nc_u32 v1, s4, v0
	v_add_nc_u32_e32 v0, 0x100, v0
	global_store_b8 v1, v2, s[2:3]
	s_or_b32 exec_lo, exec_lo, s5
	s_delay_alu instid0(SALU_CYCLE_1)
	s_mov_b32 s5, exec_lo
	v_cmpx_gt_i32_e64 s0, v0
	s_cbranch_execz .LBB121_6
.LBB121_23:
	v_dual_mov_b32 v2, s1 :: v_dual_add_nc_u32 v1, s4, v0
	v_add_nc_u32_e32 v0, 0x100, v0
	global_store_b8 v1, v2, s[2:3]
	s_or_b32 exec_lo, exec_lo, s5
	s_delay_alu instid0(SALU_CYCLE_1)
	s_mov_b32 s5, exec_lo
	v_cmpx_gt_i32_e64 s0, v0
	s_cbranch_execz .LBB121_7
.LBB121_24:
	v_dual_mov_b32 v2, s1 :: v_dual_add_nc_u32 v1, s4, v0
	v_add_nc_u32_e32 v0, 0x100, v0
	global_store_b8 v1, v2, s[2:3]
	s_or_b32 exec_lo, exec_lo, s5
	s_delay_alu instid0(SALU_CYCLE_1)
	s_mov_b32 s5, exec_lo
	v_cmpx_gt_i32_e64 s0, v0
	s_cbranch_execz .LBB121_8
.LBB121_25:
	v_dual_mov_b32 v2, s1 :: v_dual_add_nc_u32 v1, s4, v0
	v_add_nc_u32_e32 v0, 0x100, v0
	global_store_b8 v1, v2, s[2:3]
	s_or_b32 exec_lo, exec_lo, s5
	s_delay_alu instid0(SALU_CYCLE_1)
	s_mov_b32 s5, exec_lo
	v_cmpx_gt_i32_e64 s0, v0
	s_cbranch_execz .LBB121_9
.LBB121_26:
	v_dual_mov_b32 v2, s1 :: v_dual_add_nc_u32 v1, s4, v0
	v_add_nc_u32_e32 v0, 0x100, v0
	global_store_b8 v1, v2, s[2:3]
	s_or_b32 exec_lo, exec_lo, s5
	s_delay_alu instid0(SALU_CYCLE_1)
	s_mov_b32 s5, exec_lo
	v_cmpx_gt_i32_e64 s0, v0
	s_cbranch_execz .LBB121_10
.LBB121_27:
	v_dual_mov_b32 v2, s1 :: v_dual_add_nc_u32 v1, s4, v0
	v_add_nc_u32_e32 v0, 0x100, v0
	global_store_b8 v1, v2, s[2:3]
	s_or_b32 exec_lo, exec_lo, s5
	s_delay_alu instid0(SALU_CYCLE_1)
	s_mov_b32 s5, exec_lo
	v_cmpx_gt_i32_e64 s0, v0
	s_cbranch_execz .LBB121_11
.LBB121_28:
	v_dual_mov_b32 v2, s1 :: v_dual_add_nc_u32 v1, s4, v0
	v_add_nc_u32_e32 v0, 0x100, v0
	global_store_b8 v1, v2, s[2:3]
	s_or_b32 exec_lo, exec_lo, s5
	s_delay_alu instid0(SALU_CYCLE_1)
	s_mov_b32 s5, exec_lo
	v_cmpx_gt_i32_e64 s0, v0
	s_cbranch_execz .LBB121_12
.LBB121_29:
	v_dual_mov_b32 v2, s1 :: v_dual_add_nc_u32 v1, s4, v0
	v_add_nc_u32_e32 v0, 0x100, v0
	global_store_b8 v1, v2, s[2:3]
	s_or_b32 exec_lo, exec_lo, s5
	s_delay_alu instid0(SALU_CYCLE_1)
	s_mov_b32 s5, exec_lo
	v_cmpx_gt_i32_e64 s0, v0
	s_cbranch_execz .LBB121_13
.LBB121_30:
	v_dual_mov_b32 v2, s1 :: v_dual_add_nc_u32 v1, s4, v0
	v_add_nc_u32_e32 v0, 0x100, v0
	global_store_b8 v1, v2, s[2:3]
	s_or_b32 exec_lo, exec_lo, s5
	s_delay_alu instid0(SALU_CYCLE_1)
	s_mov_b32 s5, exec_lo
	v_cmpx_gt_i32_e64 s0, v0
	s_cbranch_execz .LBB121_14
.LBB121_31:
	v_dual_mov_b32 v2, s1 :: v_dual_add_nc_u32 v1, s4, v0
	v_add_nc_u32_e32 v0, 0x100, v0
	global_store_b8 v1, v2, s[2:3]
	s_or_b32 exec_lo, exec_lo, s5
	s_delay_alu instid0(SALU_CYCLE_1)
	s_mov_b32 s5, exec_lo
	v_cmpx_gt_i32_e64 s0, v0
	s_cbranch_execz .LBB121_15
.LBB121_32:
	v_dual_mov_b32 v2, s1 :: v_dual_add_nc_u32 v1, s4, v0
	v_add_nc_u32_e32 v0, 0x100, v0
	global_store_b8 v1, v2, s[2:3]
	s_or_b32 exec_lo, exec_lo, s5
	s_delay_alu instid0(SALU_CYCLE_1)
	s_mov_b32 s5, exec_lo
	v_cmpx_gt_i32_e64 s0, v0
	s_cbranch_execz .LBB121_16
.LBB121_33:
	v_dual_mov_b32 v2, s1 :: v_dual_add_nc_u32 v1, s4, v0
	v_add_nc_u32_e32 v0, 0x100, v0
	global_store_b8 v1, v2, s[2:3]
	s_or_b32 exec_lo, exec_lo, s5
	s_delay_alu instid0(SALU_CYCLE_1)
	s_mov_b32 s5, exec_lo
	v_cmpx_gt_i32_e64 s0, v0
	s_cbranch_execz .LBB121_17
.LBB121_34:
	v_dual_mov_b32 v2, s1 :: v_dual_add_nc_u32 v1, s4, v0
	v_add_nc_u32_e32 v0, 0x100, v0
	global_store_b8 v1, v2, s[2:3]
	s_or_b32 exec_lo, exec_lo, s5
	s_delay_alu instid0(SALU_CYCLE_1)
	s_mov_b32 s5, exec_lo
	v_cmpx_gt_i32_e64 s0, v0
	s_cbranch_execz .LBB121_18
.LBB121_35:
	v_dual_mov_b32 v2, s1 :: v_dual_add_nc_u32 v1, s4, v0
	v_add_nc_u32_e32 v0, 0x100, v0
	global_store_b8 v1, v2, s[2:3]
	s_or_b32 exec_lo, exec_lo, s5
	v_cmp_gt_i32_e32 vcc_lo, s0, v0
	s_and_saveexec_b32 s0, vcc_lo
	s_cbranch_execnz .LBB121_19
	s_branch .LBB121_20
	.section	.rodata,"a",@progbits
	.p2align	6, 0x0
	.amdhsa_kernel _ZN2at6native29vectorized_elementwise_kernelILi8ENS0_11FillFunctorIN3c1015Float8_e5m2fnuzEEESt5arrayIPcLm1EEEEviT0_T1_
		.amdhsa_group_segment_fixed_size 0
		.amdhsa_private_segment_fixed_size 0
		.amdhsa_kernarg_size 16
		.amdhsa_user_sgpr_count 15
		.amdhsa_user_sgpr_dispatch_ptr 0
		.amdhsa_user_sgpr_queue_ptr 0
		.amdhsa_user_sgpr_kernarg_segment_ptr 1
		.amdhsa_user_sgpr_dispatch_id 0
		.amdhsa_user_sgpr_private_segment_size 0
		.amdhsa_wavefront_size32 1
		.amdhsa_uses_dynamic_stack 0
		.amdhsa_enable_private_segment 0
		.amdhsa_system_sgpr_workgroup_id_x 1
		.amdhsa_system_sgpr_workgroup_id_y 0
		.amdhsa_system_sgpr_workgroup_id_z 0
		.amdhsa_system_sgpr_workgroup_info 0
		.amdhsa_system_vgpr_workitem_id 0
		.amdhsa_next_free_vgpr 4
		.amdhsa_next_free_sgpr 16
		.amdhsa_reserve_vcc 1
		.amdhsa_float_round_mode_32 0
		.amdhsa_float_round_mode_16_64 0
		.amdhsa_float_denorm_mode_32 3
		.amdhsa_float_denorm_mode_16_64 3
		.amdhsa_dx10_clamp 1
		.amdhsa_ieee_mode 1
		.amdhsa_fp16_overflow 0
		.amdhsa_workgroup_processor_mode 1
		.amdhsa_memory_ordered 1
		.amdhsa_forward_progress 0
		.amdhsa_shared_vgpr_count 0
		.amdhsa_exception_fp_ieee_invalid_op 0
		.amdhsa_exception_fp_denorm_src 0
		.amdhsa_exception_fp_ieee_div_zero 0
		.amdhsa_exception_fp_ieee_overflow 0
		.amdhsa_exception_fp_ieee_underflow 0
		.amdhsa_exception_fp_ieee_inexact 0
		.amdhsa_exception_int_div_zero 0
	.end_amdhsa_kernel
	.section	.text._ZN2at6native29vectorized_elementwise_kernelILi8ENS0_11FillFunctorIN3c1015Float8_e5m2fnuzEEESt5arrayIPcLm1EEEEviT0_T1_,"axG",@progbits,_ZN2at6native29vectorized_elementwise_kernelILi8ENS0_11FillFunctorIN3c1015Float8_e5m2fnuzEEESt5arrayIPcLm1EEEEviT0_T1_,comdat
.Lfunc_end121:
	.size	_ZN2at6native29vectorized_elementwise_kernelILi8ENS0_11FillFunctorIN3c1015Float8_e5m2fnuzEEESt5arrayIPcLm1EEEEviT0_T1_, .Lfunc_end121-_ZN2at6native29vectorized_elementwise_kernelILi8ENS0_11FillFunctorIN3c1015Float8_e5m2fnuzEEESt5arrayIPcLm1EEEEviT0_T1_
                                        ; -- End function
	.section	.AMDGPU.csdata,"",@progbits
; Kernel info:
; codeLenInByte = 1232
; NumSgprs: 18
; NumVgprs: 4
; ScratchSize: 0
; MemoryBound: 0
; FloatMode: 240
; IeeeMode: 1
; LDSByteSize: 0 bytes/workgroup (compile time only)
; SGPRBlocks: 2
; VGPRBlocks: 0
; NumSGPRsForWavesPerEU: 18
; NumVGPRsForWavesPerEU: 4
; Occupancy: 16
; WaveLimiterHint : 1
; COMPUTE_PGM_RSRC2:SCRATCH_EN: 0
; COMPUTE_PGM_RSRC2:USER_SGPR: 15
; COMPUTE_PGM_RSRC2:TRAP_HANDLER: 0
; COMPUTE_PGM_RSRC2:TGID_X_EN: 1
; COMPUTE_PGM_RSRC2:TGID_Y_EN: 0
; COMPUTE_PGM_RSRC2:TGID_Z_EN: 0
; COMPUTE_PGM_RSRC2:TIDIG_COMP_CNT: 0
	.section	.text._ZN2at6native29vectorized_elementwise_kernelILi4ENS0_11FillFunctorIN3c1015Float8_e5m2fnuzEEESt5arrayIPcLm1EEEEviT0_T1_,"axG",@progbits,_ZN2at6native29vectorized_elementwise_kernelILi4ENS0_11FillFunctorIN3c1015Float8_e5m2fnuzEEESt5arrayIPcLm1EEEEviT0_T1_,comdat
	.protected	_ZN2at6native29vectorized_elementwise_kernelILi4ENS0_11FillFunctorIN3c1015Float8_e5m2fnuzEEESt5arrayIPcLm1EEEEviT0_T1_ ; -- Begin function _ZN2at6native29vectorized_elementwise_kernelILi4ENS0_11FillFunctorIN3c1015Float8_e5m2fnuzEEESt5arrayIPcLm1EEEEviT0_T1_
	.globl	_ZN2at6native29vectorized_elementwise_kernelILi4ENS0_11FillFunctorIN3c1015Float8_e5m2fnuzEEESt5arrayIPcLm1EEEEviT0_T1_
	.p2align	8
	.type	_ZN2at6native29vectorized_elementwise_kernelILi4ENS0_11FillFunctorIN3c1015Float8_e5m2fnuzEEESt5arrayIPcLm1EEEEviT0_T1_,@function
_ZN2at6native29vectorized_elementwise_kernelILi4ENS0_11FillFunctorIN3c1015Float8_e5m2fnuzEEESt5arrayIPcLm1EEEEviT0_T1_: ; @_ZN2at6native29vectorized_elementwise_kernelILi4ENS0_11FillFunctorIN3c1015Float8_e5m2fnuzEEESt5arrayIPcLm1EEEEviT0_T1_
; %bb.0:
	s_load_b128 s[0:3], s[0:1], 0x0
	s_lshl_b32 s4, s15, 12
	s_mov_b32 s5, -1
	s_waitcnt lgkmcnt(0)
	s_sub_i32 s0, s0, s4
	s_delay_alu instid0(SALU_CYCLE_1)
	s_cmpk_gt_i32 s0, 0xfff
	s_cbranch_scc0 .LBB122_2
; %bb.1:
	s_ashr_i32 s5, s4, 31
	s_add_u32 s6, s2, s4
	s_addc_u32 s7, s3, s5
	s_and_b32 s5, s1, 0xff
	s_delay_alu instid0(SALU_CYCLE_1) | instskip(NEXT) | instid1(SALU_CYCLE_1)
	s_mul_i32 s5, s5, 0x1010101
	v_dual_mov_b32 v2, s5 :: v_dual_lshlrev_b32 v1, 2, v0
	s_mov_b32 s5, 0
	s_clause 0x3
	global_store_b32 v1, v2, s[6:7]
	global_store_b32 v1, v2, s[6:7] offset:1024
	global_store_b32 v1, v2, s[6:7] offset:2048
	;; [unrolled: 1-line block ×3, first 2 shown]
.LBB122_2:
	s_and_not1_b32 vcc_lo, exec_lo, s5
	s_cbranch_vccnz .LBB122_20
; %bb.3:
	s_mov_b32 s5, exec_lo
	v_cmpx_gt_i32_e64 s0, v0
	s_cbranch_execnz .LBB122_21
; %bb.4:
	s_or_b32 exec_lo, exec_lo, s5
	s_delay_alu instid0(SALU_CYCLE_1)
	s_mov_b32 s5, exec_lo
	v_cmpx_gt_i32_e64 s0, v0
	s_cbranch_execnz .LBB122_22
.LBB122_5:
	s_or_b32 exec_lo, exec_lo, s5
	s_delay_alu instid0(SALU_CYCLE_1)
	s_mov_b32 s5, exec_lo
	v_cmpx_gt_i32_e64 s0, v0
	s_cbranch_execnz .LBB122_23
.LBB122_6:
	s_or_b32 exec_lo, exec_lo, s5
	s_delay_alu instid0(SALU_CYCLE_1)
	s_mov_b32 s5, exec_lo
	v_cmpx_gt_i32_e64 s0, v0
	s_cbranch_execnz .LBB122_24
.LBB122_7:
	s_or_b32 exec_lo, exec_lo, s5
	s_delay_alu instid0(SALU_CYCLE_1)
	s_mov_b32 s5, exec_lo
	v_cmpx_gt_i32_e64 s0, v0
	s_cbranch_execnz .LBB122_25
.LBB122_8:
	s_or_b32 exec_lo, exec_lo, s5
	s_delay_alu instid0(SALU_CYCLE_1)
	s_mov_b32 s5, exec_lo
	v_cmpx_gt_i32_e64 s0, v0
	s_cbranch_execnz .LBB122_26
.LBB122_9:
	s_or_b32 exec_lo, exec_lo, s5
	s_delay_alu instid0(SALU_CYCLE_1)
	s_mov_b32 s5, exec_lo
	v_cmpx_gt_i32_e64 s0, v0
	s_cbranch_execnz .LBB122_27
.LBB122_10:
	s_or_b32 exec_lo, exec_lo, s5
	s_delay_alu instid0(SALU_CYCLE_1)
	s_mov_b32 s5, exec_lo
	v_cmpx_gt_i32_e64 s0, v0
	s_cbranch_execnz .LBB122_28
.LBB122_11:
	s_or_b32 exec_lo, exec_lo, s5
	s_delay_alu instid0(SALU_CYCLE_1)
	s_mov_b32 s5, exec_lo
	v_cmpx_gt_i32_e64 s0, v0
	s_cbranch_execnz .LBB122_29
.LBB122_12:
	s_or_b32 exec_lo, exec_lo, s5
	s_delay_alu instid0(SALU_CYCLE_1)
	s_mov_b32 s5, exec_lo
	v_cmpx_gt_i32_e64 s0, v0
	s_cbranch_execnz .LBB122_30
.LBB122_13:
	s_or_b32 exec_lo, exec_lo, s5
	s_delay_alu instid0(SALU_CYCLE_1)
	s_mov_b32 s5, exec_lo
	v_cmpx_gt_i32_e64 s0, v0
	s_cbranch_execnz .LBB122_31
.LBB122_14:
	s_or_b32 exec_lo, exec_lo, s5
	s_delay_alu instid0(SALU_CYCLE_1)
	s_mov_b32 s5, exec_lo
	v_cmpx_gt_i32_e64 s0, v0
	s_cbranch_execnz .LBB122_32
.LBB122_15:
	s_or_b32 exec_lo, exec_lo, s5
	s_delay_alu instid0(SALU_CYCLE_1)
	s_mov_b32 s5, exec_lo
	v_cmpx_gt_i32_e64 s0, v0
	s_cbranch_execnz .LBB122_33
.LBB122_16:
	s_or_b32 exec_lo, exec_lo, s5
	s_delay_alu instid0(SALU_CYCLE_1)
	s_mov_b32 s5, exec_lo
	v_cmpx_gt_i32_e64 s0, v0
	s_cbranch_execnz .LBB122_34
.LBB122_17:
	s_or_b32 exec_lo, exec_lo, s5
	s_delay_alu instid0(SALU_CYCLE_1)
	s_mov_b32 s5, exec_lo
	v_cmpx_gt_i32_e64 s0, v0
	s_cbranch_execnz .LBB122_35
.LBB122_18:
	s_or_b32 exec_lo, exec_lo, s5
	v_cmp_gt_i32_e32 vcc_lo, s0, v0
	s_and_saveexec_b32 s0, vcc_lo
	s_cbranch_execz .LBB122_20
.LBB122_19:
	v_dual_mov_b32 v1, s1 :: v_dual_add_nc_u32 v0, s4, v0
	global_store_b8 v0, v1, s[2:3]
.LBB122_20:
	s_nop 0
	s_sendmsg sendmsg(MSG_DEALLOC_VGPRS)
	s_endpgm
.LBB122_21:
	v_or_b32_e32 v1, 0x100, v0
	v_or_b32_e32 v2, s4, v0
	s_delay_alu instid0(VALU_DEP_2) | instskip(SKIP_2) | instid1(SALU_CYCLE_1)
	v_dual_mov_b32 v3, s1 :: v_dual_mov_b32 v0, v1
	global_store_b8 v2, v3, s[2:3]
	s_or_b32 exec_lo, exec_lo, s5
	s_mov_b32 s5, exec_lo
	v_cmpx_gt_i32_e64 s0, v0
	s_cbranch_execz .LBB122_5
.LBB122_22:
	v_dual_mov_b32 v2, s1 :: v_dual_add_nc_u32 v1, s4, v0
	v_add_nc_u32_e32 v0, 0x100, v0
	global_store_b8 v1, v2, s[2:3]
	s_or_b32 exec_lo, exec_lo, s5
	s_delay_alu instid0(SALU_CYCLE_1)
	s_mov_b32 s5, exec_lo
	v_cmpx_gt_i32_e64 s0, v0
	s_cbranch_execz .LBB122_6
.LBB122_23:
	v_dual_mov_b32 v2, s1 :: v_dual_add_nc_u32 v1, s4, v0
	v_add_nc_u32_e32 v0, 0x100, v0
	global_store_b8 v1, v2, s[2:3]
	s_or_b32 exec_lo, exec_lo, s5
	s_delay_alu instid0(SALU_CYCLE_1)
	s_mov_b32 s5, exec_lo
	v_cmpx_gt_i32_e64 s0, v0
	s_cbranch_execz .LBB122_7
.LBB122_24:
	v_dual_mov_b32 v2, s1 :: v_dual_add_nc_u32 v1, s4, v0
	v_add_nc_u32_e32 v0, 0x100, v0
	global_store_b8 v1, v2, s[2:3]
	s_or_b32 exec_lo, exec_lo, s5
	s_delay_alu instid0(SALU_CYCLE_1)
	s_mov_b32 s5, exec_lo
	v_cmpx_gt_i32_e64 s0, v0
	s_cbranch_execz .LBB122_8
.LBB122_25:
	v_dual_mov_b32 v2, s1 :: v_dual_add_nc_u32 v1, s4, v0
	v_add_nc_u32_e32 v0, 0x100, v0
	global_store_b8 v1, v2, s[2:3]
	s_or_b32 exec_lo, exec_lo, s5
	s_delay_alu instid0(SALU_CYCLE_1)
	s_mov_b32 s5, exec_lo
	v_cmpx_gt_i32_e64 s0, v0
	s_cbranch_execz .LBB122_9
.LBB122_26:
	v_dual_mov_b32 v2, s1 :: v_dual_add_nc_u32 v1, s4, v0
	v_add_nc_u32_e32 v0, 0x100, v0
	global_store_b8 v1, v2, s[2:3]
	s_or_b32 exec_lo, exec_lo, s5
	s_delay_alu instid0(SALU_CYCLE_1)
	s_mov_b32 s5, exec_lo
	v_cmpx_gt_i32_e64 s0, v0
	s_cbranch_execz .LBB122_10
.LBB122_27:
	v_dual_mov_b32 v2, s1 :: v_dual_add_nc_u32 v1, s4, v0
	v_add_nc_u32_e32 v0, 0x100, v0
	global_store_b8 v1, v2, s[2:3]
	s_or_b32 exec_lo, exec_lo, s5
	s_delay_alu instid0(SALU_CYCLE_1)
	s_mov_b32 s5, exec_lo
	v_cmpx_gt_i32_e64 s0, v0
	s_cbranch_execz .LBB122_11
.LBB122_28:
	v_dual_mov_b32 v2, s1 :: v_dual_add_nc_u32 v1, s4, v0
	v_add_nc_u32_e32 v0, 0x100, v0
	global_store_b8 v1, v2, s[2:3]
	s_or_b32 exec_lo, exec_lo, s5
	s_delay_alu instid0(SALU_CYCLE_1)
	s_mov_b32 s5, exec_lo
	v_cmpx_gt_i32_e64 s0, v0
	s_cbranch_execz .LBB122_12
.LBB122_29:
	v_dual_mov_b32 v2, s1 :: v_dual_add_nc_u32 v1, s4, v0
	v_add_nc_u32_e32 v0, 0x100, v0
	global_store_b8 v1, v2, s[2:3]
	s_or_b32 exec_lo, exec_lo, s5
	s_delay_alu instid0(SALU_CYCLE_1)
	s_mov_b32 s5, exec_lo
	v_cmpx_gt_i32_e64 s0, v0
	s_cbranch_execz .LBB122_13
.LBB122_30:
	v_dual_mov_b32 v2, s1 :: v_dual_add_nc_u32 v1, s4, v0
	v_add_nc_u32_e32 v0, 0x100, v0
	global_store_b8 v1, v2, s[2:3]
	s_or_b32 exec_lo, exec_lo, s5
	s_delay_alu instid0(SALU_CYCLE_1)
	s_mov_b32 s5, exec_lo
	v_cmpx_gt_i32_e64 s0, v0
	s_cbranch_execz .LBB122_14
.LBB122_31:
	v_dual_mov_b32 v2, s1 :: v_dual_add_nc_u32 v1, s4, v0
	v_add_nc_u32_e32 v0, 0x100, v0
	global_store_b8 v1, v2, s[2:3]
	s_or_b32 exec_lo, exec_lo, s5
	s_delay_alu instid0(SALU_CYCLE_1)
	s_mov_b32 s5, exec_lo
	v_cmpx_gt_i32_e64 s0, v0
	s_cbranch_execz .LBB122_15
.LBB122_32:
	v_dual_mov_b32 v2, s1 :: v_dual_add_nc_u32 v1, s4, v0
	v_add_nc_u32_e32 v0, 0x100, v0
	global_store_b8 v1, v2, s[2:3]
	s_or_b32 exec_lo, exec_lo, s5
	s_delay_alu instid0(SALU_CYCLE_1)
	s_mov_b32 s5, exec_lo
	v_cmpx_gt_i32_e64 s0, v0
	s_cbranch_execz .LBB122_16
.LBB122_33:
	v_dual_mov_b32 v2, s1 :: v_dual_add_nc_u32 v1, s4, v0
	v_add_nc_u32_e32 v0, 0x100, v0
	global_store_b8 v1, v2, s[2:3]
	s_or_b32 exec_lo, exec_lo, s5
	s_delay_alu instid0(SALU_CYCLE_1)
	s_mov_b32 s5, exec_lo
	v_cmpx_gt_i32_e64 s0, v0
	s_cbranch_execz .LBB122_17
.LBB122_34:
	v_dual_mov_b32 v2, s1 :: v_dual_add_nc_u32 v1, s4, v0
	v_add_nc_u32_e32 v0, 0x100, v0
	global_store_b8 v1, v2, s[2:3]
	s_or_b32 exec_lo, exec_lo, s5
	s_delay_alu instid0(SALU_CYCLE_1)
	s_mov_b32 s5, exec_lo
	v_cmpx_gt_i32_e64 s0, v0
	s_cbranch_execz .LBB122_18
.LBB122_35:
	v_dual_mov_b32 v2, s1 :: v_dual_add_nc_u32 v1, s4, v0
	v_add_nc_u32_e32 v0, 0x100, v0
	global_store_b8 v1, v2, s[2:3]
	s_or_b32 exec_lo, exec_lo, s5
	v_cmp_gt_i32_e32 vcc_lo, s0, v0
	s_and_saveexec_b32 s0, vcc_lo
	s_cbranch_execnz .LBB122_19
	s_branch .LBB122_20
	.section	.rodata,"a",@progbits
	.p2align	6, 0x0
	.amdhsa_kernel _ZN2at6native29vectorized_elementwise_kernelILi4ENS0_11FillFunctorIN3c1015Float8_e5m2fnuzEEESt5arrayIPcLm1EEEEviT0_T1_
		.amdhsa_group_segment_fixed_size 0
		.amdhsa_private_segment_fixed_size 0
		.amdhsa_kernarg_size 16
		.amdhsa_user_sgpr_count 15
		.amdhsa_user_sgpr_dispatch_ptr 0
		.amdhsa_user_sgpr_queue_ptr 0
		.amdhsa_user_sgpr_kernarg_segment_ptr 1
		.amdhsa_user_sgpr_dispatch_id 0
		.amdhsa_user_sgpr_private_segment_size 0
		.amdhsa_wavefront_size32 1
		.amdhsa_uses_dynamic_stack 0
		.amdhsa_enable_private_segment 0
		.amdhsa_system_sgpr_workgroup_id_x 1
		.amdhsa_system_sgpr_workgroup_id_y 0
		.amdhsa_system_sgpr_workgroup_id_z 0
		.amdhsa_system_sgpr_workgroup_info 0
		.amdhsa_system_vgpr_workitem_id 0
		.amdhsa_next_free_vgpr 4
		.amdhsa_next_free_sgpr 16
		.amdhsa_reserve_vcc 1
		.amdhsa_float_round_mode_32 0
		.amdhsa_float_round_mode_16_64 0
		.amdhsa_float_denorm_mode_32 3
		.amdhsa_float_denorm_mode_16_64 3
		.amdhsa_dx10_clamp 1
		.amdhsa_ieee_mode 1
		.amdhsa_fp16_overflow 0
		.amdhsa_workgroup_processor_mode 1
		.amdhsa_memory_ordered 1
		.amdhsa_forward_progress 0
		.amdhsa_shared_vgpr_count 0
		.amdhsa_exception_fp_ieee_invalid_op 0
		.amdhsa_exception_fp_denorm_src 0
		.amdhsa_exception_fp_ieee_div_zero 0
		.amdhsa_exception_fp_ieee_overflow 0
		.amdhsa_exception_fp_ieee_underflow 0
		.amdhsa_exception_fp_ieee_inexact 0
		.amdhsa_exception_int_div_zero 0
	.end_amdhsa_kernel
	.section	.text._ZN2at6native29vectorized_elementwise_kernelILi4ENS0_11FillFunctorIN3c1015Float8_e5m2fnuzEEESt5arrayIPcLm1EEEEviT0_T1_,"axG",@progbits,_ZN2at6native29vectorized_elementwise_kernelILi4ENS0_11FillFunctorIN3c1015Float8_e5m2fnuzEEESt5arrayIPcLm1EEEEviT0_T1_,comdat
.Lfunc_end122:
	.size	_ZN2at6native29vectorized_elementwise_kernelILi4ENS0_11FillFunctorIN3c1015Float8_e5m2fnuzEEESt5arrayIPcLm1EEEEviT0_T1_, .Lfunc_end122-_ZN2at6native29vectorized_elementwise_kernelILi4ENS0_11FillFunctorIN3c1015Float8_e5m2fnuzEEESt5arrayIPcLm1EEEEviT0_T1_
                                        ; -- End function
	.section	.AMDGPU.csdata,"",@progbits
; Kernel info:
; codeLenInByte = 1240
; NumSgprs: 18
; NumVgprs: 4
; ScratchSize: 0
; MemoryBound: 0
; FloatMode: 240
; IeeeMode: 1
; LDSByteSize: 0 bytes/workgroup (compile time only)
; SGPRBlocks: 2
; VGPRBlocks: 0
; NumSGPRsForWavesPerEU: 18
; NumVGPRsForWavesPerEU: 4
; Occupancy: 16
; WaveLimiterHint : 1
; COMPUTE_PGM_RSRC2:SCRATCH_EN: 0
; COMPUTE_PGM_RSRC2:USER_SGPR: 15
; COMPUTE_PGM_RSRC2:TRAP_HANDLER: 0
; COMPUTE_PGM_RSRC2:TGID_X_EN: 1
; COMPUTE_PGM_RSRC2:TGID_Y_EN: 0
; COMPUTE_PGM_RSRC2:TGID_Z_EN: 0
; COMPUTE_PGM_RSRC2:TIDIG_COMP_CNT: 0
	.section	.text._ZN2at6native29vectorized_elementwise_kernelILi2ENS0_11FillFunctorIN3c1015Float8_e5m2fnuzEEESt5arrayIPcLm1EEEEviT0_T1_,"axG",@progbits,_ZN2at6native29vectorized_elementwise_kernelILi2ENS0_11FillFunctorIN3c1015Float8_e5m2fnuzEEESt5arrayIPcLm1EEEEviT0_T1_,comdat
	.protected	_ZN2at6native29vectorized_elementwise_kernelILi2ENS0_11FillFunctorIN3c1015Float8_e5m2fnuzEEESt5arrayIPcLm1EEEEviT0_T1_ ; -- Begin function _ZN2at6native29vectorized_elementwise_kernelILi2ENS0_11FillFunctorIN3c1015Float8_e5m2fnuzEEESt5arrayIPcLm1EEEEviT0_T1_
	.globl	_ZN2at6native29vectorized_elementwise_kernelILi2ENS0_11FillFunctorIN3c1015Float8_e5m2fnuzEEESt5arrayIPcLm1EEEEviT0_T1_
	.p2align	8
	.type	_ZN2at6native29vectorized_elementwise_kernelILi2ENS0_11FillFunctorIN3c1015Float8_e5m2fnuzEEESt5arrayIPcLm1EEEEviT0_T1_,@function
_ZN2at6native29vectorized_elementwise_kernelILi2ENS0_11FillFunctorIN3c1015Float8_e5m2fnuzEEESt5arrayIPcLm1EEEEviT0_T1_: ; @_ZN2at6native29vectorized_elementwise_kernelILi2ENS0_11FillFunctorIN3c1015Float8_e5m2fnuzEEESt5arrayIPcLm1EEEEviT0_T1_
; %bb.0:
	s_load_b128 s[0:3], s[0:1], 0x0
	s_lshl_b32 s4, s15, 12
	s_mov_b32 s5, -1
	s_waitcnt lgkmcnt(0)
	s_sub_i32 s0, s0, s4
	s_delay_alu instid0(SALU_CYCLE_1)
	s_cmpk_gt_i32 s0, 0xfff
	s_cbranch_scc0 .LBB123_2
; %bb.1:
	v_and_b32_e64 v1, 0xff, s1
	v_lshlrev_b32_e32 v2, 1, v0
	s_ashr_i32 s5, s4, 31
	s_add_u32 s6, s2, s4
	s_addc_u32 s7, s3, s5
	v_mul_lo_u16 v1, 0x101, v1
	s_mov_b32 s5, 0
	s_clause 0x7
	global_store_b16 v2, v1, s[6:7]
	global_store_b16 v2, v1, s[6:7] offset:512
	global_store_b16 v2, v1, s[6:7] offset:1024
	global_store_b16 v2, v1, s[6:7] offset:1536
	global_store_b16 v2, v1, s[6:7] offset:2048
	global_store_b16 v2, v1, s[6:7] offset:2560
	global_store_b16 v2, v1, s[6:7] offset:3072
	global_store_b16 v2, v1, s[6:7] offset:3584
.LBB123_2:
	s_and_not1_b32 vcc_lo, exec_lo, s5
	s_cbranch_vccnz .LBB123_20
; %bb.3:
	s_mov_b32 s5, exec_lo
	v_cmpx_gt_i32_e64 s0, v0
	s_cbranch_execnz .LBB123_21
; %bb.4:
	s_or_b32 exec_lo, exec_lo, s5
	s_delay_alu instid0(SALU_CYCLE_1)
	s_mov_b32 s5, exec_lo
	v_cmpx_gt_i32_e64 s0, v0
	s_cbranch_execnz .LBB123_22
.LBB123_5:
	s_or_b32 exec_lo, exec_lo, s5
	s_delay_alu instid0(SALU_CYCLE_1)
	s_mov_b32 s5, exec_lo
	v_cmpx_gt_i32_e64 s0, v0
	s_cbranch_execnz .LBB123_23
.LBB123_6:
	s_or_b32 exec_lo, exec_lo, s5
	s_delay_alu instid0(SALU_CYCLE_1)
	s_mov_b32 s5, exec_lo
	v_cmpx_gt_i32_e64 s0, v0
	s_cbranch_execnz .LBB123_24
.LBB123_7:
	s_or_b32 exec_lo, exec_lo, s5
	s_delay_alu instid0(SALU_CYCLE_1)
	s_mov_b32 s5, exec_lo
	v_cmpx_gt_i32_e64 s0, v0
	s_cbranch_execnz .LBB123_25
.LBB123_8:
	s_or_b32 exec_lo, exec_lo, s5
	s_delay_alu instid0(SALU_CYCLE_1)
	s_mov_b32 s5, exec_lo
	v_cmpx_gt_i32_e64 s0, v0
	s_cbranch_execnz .LBB123_26
.LBB123_9:
	s_or_b32 exec_lo, exec_lo, s5
	s_delay_alu instid0(SALU_CYCLE_1)
	s_mov_b32 s5, exec_lo
	v_cmpx_gt_i32_e64 s0, v0
	s_cbranch_execnz .LBB123_27
.LBB123_10:
	s_or_b32 exec_lo, exec_lo, s5
	s_delay_alu instid0(SALU_CYCLE_1)
	s_mov_b32 s5, exec_lo
	v_cmpx_gt_i32_e64 s0, v0
	s_cbranch_execnz .LBB123_28
.LBB123_11:
	s_or_b32 exec_lo, exec_lo, s5
	s_delay_alu instid0(SALU_CYCLE_1)
	s_mov_b32 s5, exec_lo
	v_cmpx_gt_i32_e64 s0, v0
	s_cbranch_execnz .LBB123_29
.LBB123_12:
	s_or_b32 exec_lo, exec_lo, s5
	s_delay_alu instid0(SALU_CYCLE_1)
	s_mov_b32 s5, exec_lo
	v_cmpx_gt_i32_e64 s0, v0
	s_cbranch_execnz .LBB123_30
.LBB123_13:
	s_or_b32 exec_lo, exec_lo, s5
	s_delay_alu instid0(SALU_CYCLE_1)
	s_mov_b32 s5, exec_lo
	v_cmpx_gt_i32_e64 s0, v0
	s_cbranch_execnz .LBB123_31
.LBB123_14:
	s_or_b32 exec_lo, exec_lo, s5
	s_delay_alu instid0(SALU_CYCLE_1)
	s_mov_b32 s5, exec_lo
	v_cmpx_gt_i32_e64 s0, v0
	s_cbranch_execnz .LBB123_32
.LBB123_15:
	s_or_b32 exec_lo, exec_lo, s5
	s_delay_alu instid0(SALU_CYCLE_1)
	s_mov_b32 s5, exec_lo
	v_cmpx_gt_i32_e64 s0, v0
	s_cbranch_execnz .LBB123_33
.LBB123_16:
	s_or_b32 exec_lo, exec_lo, s5
	s_delay_alu instid0(SALU_CYCLE_1)
	s_mov_b32 s5, exec_lo
	v_cmpx_gt_i32_e64 s0, v0
	s_cbranch_execnz .LBB123_34
.LBB123_17:
	s_or_b32 exec_lo, exec_lo, s5
	s_delay_alu instid0(SALU_CYCLE_1)
	s_mov_b32 s5, exec_lo
	v_cmpx_gt_i32_e64 s0, v0
	s_cbranch_execnz .LBB123_35
.LBB123_18:
	s_or_b32 exec_lo, exec_lo, s5
	v_cmp_gt_i32_e32 vcc_lo, s0, v0
	s_and_saveexec_b32 s0, vcc_lo
	s_cbranch_execz .LBB123_20
.LBB123_19:
	v_dual_mov_b32 v1, s1 :: v_dual_add_nc_u32 v0, s4, v0
	global_store_b8 v0, v1, s[2:3]
.LBB123_20:
	s_nop 0
	s_sendmsg sendmsg(MSG_DEALLOC_VGPRS)
	s_endpgm
.LBB123_21:
	v_or_b32_e32 v1, 0x100, v0
	v_or_b32_e32 v2, s4, v0
	s_delay_alu instid0(VALU_DEP_2) | instskip(SKIP_2) | instid1(SALU_CYCLE_1)
	v_dual_mov_b32 v3, s1 :: v_dual_mov_b32 v0, v1
	global_store_b8 v2, v3, s[2:3]
	s_or_b32 exec_lo, exec_lo, s5
	s_mov_b32 s5, exec_lo
	v_cmpx_gt_i32_e64 s0, v0
	s_cbranch_execz .LBB123_5
.LBB123_22:
	v_dual_mov_b32 v2, s1 :: v_dual_add_nc_u32 v1, s4, v0
	v_add_nc_u32_e32 v0, 0x100, v0
	global_store_b8 v1, v2, s[2:3]
	s_or_b32 exec_lo, exec_lo, s5
	s_delay_alu instid0(SALU_CYCLE_1)
	s_mov_b32 s5, exec_lo
	v_cmpx_gt_i32_e64 s0, v0
	s_cbranch_execz .LBB123_6
.LBB123_23:
	v_dual_mov_b32 v2, s1 :: v_dual_add_nc_u32 v1, s4, v0
	v_add_nc_u32_e32 v0, 0x100, v0
	global_store_b8 v1, v2, s[2:3]
	s_or_b32 exec_lo, exec_lo, s5
	s_delay_alu instid0(SALU_CYCLE_1)
	s_mov_b32 s5, exec_lo
	v_cmpx_gt_i32_e64 s0, v0
	s_cbranch_execz .LBB123_7
.LBB123_24:
	v_dual_mov_b32 v2, s1 :: v_dual_add_nc_u32 v1, s4, v0
	v_add_nc_u32_e32 v0, 0x100, v0
	global_store_b8 v1, v2, s[2:3]
	s_or_b32 exec_lo, exec_lo, s5
	s_delay_alu instid0(SALU_CYCLE_1)
	s_mov_b32 s5, exec_lo
	v_cmpx_gt_i32_e64 s0, v0
	s_cbranch_execz .LBB123_8
.LBB123_25:
	v_dual_mov_b32 v2, s1 :: v_dual_add_nc_u32 v1, s4, v0
	v_add_nc_u32_e32 v0, 0x100, v0
	global_store_b8 v1, v2, s[2:3]
	s_or_b32 exec_lo, exec_lo, s5
	s_delay_alu instid0(SALU_CYCLE_1)
	s_mov_b32 s5, exec_lo
	v_cmpx_gt_i32_e64 s0, v0
	s_cbranch_execz .LBB123_9
.LBB123_26:
	v_dual_mov_b32 v2, s1 :: v_dual_add_nc_u32 v1, s4, v0
	v_add_nc_u32_e32 v0, 0x100, v0
	global_store_b8 v1, v2, s[2:3]
	s_or_b32 exec_lo, exec_lo, s5
	s_delay_alu instid0(SALU_CYCLE_1)
	s_mov_b32 s5, exec_lo
	v_cmpx_gt_i32_e64 s0, v0
	s_cbranch_execz .LBB123_10
.LBB123_27:
	v_dual_mov_b32 v2, s1 :: v_dual_add_nc_u32 v1, s4, v0
	v_add_nc_u32_e32 v0, 0x100, v0
	global_store_b8 v1, v2, s[2:3]
	s_or_b32 exec_lo, exec_lo, s5
	s_delay_alu instid0(SALU_CYCLE_1)
	s_mov_b32 s5, exec_lo
	v_cmpx_gt_i32_e64 s0, v0
	s_cbranch_execz .LBB123_11
.LBB123_28:
	v_dual_mov_b32 v2, s1 :: v_dual_add_nc_u32 v1, s4, v0
	v_add_nc_u32_e32 v0, 0x100, v0
	global_store_b8 v1, v2, s[2:3]
	s_or_b32 exec_lo, exec_lo, s5
	s_delay_alu instid0(SALU_CYCLE_1)
	s_mov_b32 s5, exec_lo
	v_cmpx_gt_i32_e64 s0, v0
	s_cbranch_execz .LBB123_12
.LBB123_29:
	v_dual_mov_b32 v2, s1 :: v_dual_add_nc_u32 v1, s4, v0
	v_add_nc_u32_e32 v0, 0x100, v0
	global_store_b8 v1, v2, s[2:3]
	s_or_b32 exec_lo, exec_lo, s5
	s_delay_alu instid0(SALU_CYCLE_1)
	s_mov_b32 s5, exec_lo
	v_cmpx_gt_i32_e64 s0, v0
	s_cbranch_execz .LBB123_13
.LBB123_30:
	v_dual_mov_b32 v2, s1 :: v_dual_add_nc_u32 v1, s4, v0
	v_add_nc_u32_e32 v0, 0x100, v0
	global_store_b8 v1, v2, s[2:3]
	s_or_b32 exec_lo, exec_lo, s5
	s_delay_alu instid0(SALU_CYCLE_1)
	s_mov_b32 s5, exec_lo
	v_cmpx_gt_i32_e64 s0, v0
	s_cbranch_execz .LBB123_14
.LBB123_31:
	v_dual_mov_b32 v2, s1 :: v_dual_add_nc_u32 v1, s4, v0
	v_add_nc_u32_e32 v0, 0x100, v0
	global_store_b8 v1, v2, s[2:3]
	s_or_b32 exec_lo, exec_lo, s5
	s_delay_alu instid0(SALU_CYCLE_1)
	s_mov_b32 s5, exec_lo
	v_cmpx_gt_i32_e64 s0, v0
	s_cbranch_execz .LBB123_15
.LBB123_32:
	v_dual_mov_b32 v2, s1 :: v_dual_add_nc_u32 v1, s4, v0
	v_add_nc_u32_e32 v0, 0x100, v0
	global_store_b8 v1, v2, s[2:3]
	s_or_b32 exec_lo, exec_lo, s5
	s_delay_alu instid0(SALU_CYCLE_1)
	s_mov_b32 s5, exec_lo
	v_cmpx_gt_i32_e64 s0, v0
	s_cbranch_execz .LBB123_16
.LBB123_33:
	v_dual_mov_b32 v2, s1 :: v_dual_add_nc_u32 v1, s4, v0
	v_add_nc_u32_e32 v0, 0x100, v0
	global_store_b8 v1, v2, s[2:3]
	s_or_b32 exec_lo, exec_lo, s5
	s_delay_alu instid0(SALU_CYCLE_1)
	s_mov_b32 s5, exec_lo
	v_cmpx_gt_i32_e64 s0, v0
	s_cbranch_execz .LBB123_17
.LBB123_34:
	v_dual_mov_b32 v2, s1 :: v_dual_add_nc_u32 v1, s4, v0
	v_add_nc_u32_e32 v0, 0x100, v0
	global_store_b8 v1, v2, s[2:3]
	s_or_b32 exec_lo, exec_lo, s5
	s_delay_alu instid0(SALU_CYCLE_1)
	s_mov_b32 s5, exec_lo
	v_cmpx_gt_i32_e64 s0, v0
	s_cbranch_execz .LBB123_18
.LBB123_35:
	v_dual_mov_b32 v2, s1 :: v_dual_add_nc_u32 v1, s4, v0
	v_add_nc_u32_e32 v0, 0x100, v0
	global_store_b8 v1, v2, s[2:3]
	s_or_b32 exec_lo, exec_lo, s5
	v_cmp_gt_i32_e32 vcc_lo, s0, v0
	s_and_saveexec_b32 s0, vcc_lo
	s_cbranch_execnz .LBB123_19
	s_branch .LBB123_20
	.section	.rodata,"a",@progbits
	.p2align	6, 0x0
	.amdhsa_kernel _ZN2at6native29vectorized_elementwise_kernelILi2ENS0_11FillFunctorIN3c1015Float8_e5m2fnuzEEESt5arrayIPcLm1EEEEviT0_T1_
		.amdhsa_group_segment_fixed_size 0
		.amdhsa_private_segment_fixed_size 0
		.amdhsa_kernarg_size 16
		.amdhsa_user_sgpr_count 15
		.amdhsa_user_sgpr_dispatch_ptr 0
		.amdhsa_user_sgpr_queue_ptr 0
		.amdhsa_user_sgpr_kernarg_segment_ptr 1
		.amdhsa_user_sgpr_dispatch_id 0
		.amdhsa_user_sgpr_private_segment_size 0
		.amdhsa_wavefront_size32 1
		.amdhsa_uses_dynamic_stack 0
		.amdhsa_enable_private_segment 0
		.amdhsa_system_sgpr_workgroup_id_x 1
		.amdhsa_system_sgpr_workgroup_id_y 0
		.amdhsa_system_sgpr_workgroup_id_z 0
		.amdhsa_system_sgpr_workgroup_info 0
		.amdhsa_system_vgpr_workitem_id 0
		.amdhsa_next_free_vgpr 4
		.amdhsa_next_free_sgpr 16
		.amdhsa_reserve_vcc 1
		.amdhsa_float_round_mode_32 0
		.amdhsa_float_round_mode_16_64 0
		.amdhsa_float_denorm_mode_32 3
		.amdhsa_float_denorm_mode_16_64 3
		.amdhsa_dx10_clamp 1
		.amdhsa_ieee_mode 1
		.amdhsa_fp16_overflow 0
		.amdhsa_workgroup_processor_mode 1
		.amdhsa_memory_ordered 1
		.amdhsa_forward_progress 0
		.amdhsa_shared_vgpr_count 0
		.amdhsa_exception_fp_ieee_invalid_op 0
		.amdhsa_exception_fp_denorm_src 0
		.amdhsa_exception_fp_ieee_div_zero 0
		.amdhsa_exception_fp_ieee_overflow 0
		.amdhsa_exception_fp_ieee_underflow 0
		.amdhsa_exception_fp_ieee_inexact 0
		.amdhsa_exception_int_div_zero 0
	.end_amdhsa_kernel
	.section	.text._ZN2at6native29vectorized_elementwise_kernelILi2ENS0_11FillFunctorIN3c1015Float8_e5m2fnuzEEESt5arrayIPcLm1EEEEviT0_T1_,"axG",@progbits,_ZN2at6native29vectorized_elementwise_kernelILi2ENS0_11FillFunctorIN3c1015Float8_e5m2fnuzEEESt5arrayIPcLm1EEEEviT0_T1_,comdat
.Lfunc_end123:
	.size	_ZN2at6native29vectorized_elementwise_kernelILi2ENS0_11FillFunctorIN3c1015Float8_e5m2fnuzEEESt5arrayIPcLm1EEEEviT0_T1_, .Lfunc_end123-_ZN2at6native29vectorized_elementwise_kernelILi2ENS0_11FillFunctorIN3c1015Float8_e5m2fnuzEEESt5arrayIPcLm1EEEEviT0_T1_
                                        ; -- End function
	.section	.AMDGPU.csdata,"",@progbits
; Kernel info:
; codeLenInByte = 1272
; NumSgprs: 18
; NumVgprs: 4
; ScratchSize: 0
; MemoryBound: 0
; FloatMode: 240
; IeeeMode: 1
; LDSByteSize: 0 bytes/workgroup (compile time only)
; SGPRBlocks: 2
; VGPRBlocks: 0
; NumSGPRsForWavesPerEU: 18
; NumVGPRsForWavesPerEU: 4
; Occupancy: 16
; WaveLimiterHint : 1
; COMPUTE_PGM_RSRC2:SCRATCH_EN: 0
; COMPUTE_PGM_RSRC2:USER_SGPR: 15
; COMPUTE_PGM_RSRC2:TRAP_HANDLER: 0
; COMPUTE_PGM_RSRC2:TGID_X_EN: 1
; COMPUTE_PGM_RSRC2:TGID_Y_EN: 0
; COMPUTE_PGM_RSRC2:TGID_Z_EN: 0
; COMPUTE_PGM_RSRC2:TIDIG_COMP_CNT: 0
	.section	.text._ZN2at6native27unrolled_elementwise_kernelINS0_11FillFunctorIN3c1015Float8_e5m2fnuzEEESt5arrayIPcLm1EELi4E23TrivialOffsetCalculatorILi0EjES9_ILi1EjENS0_6memory15LoadWithoutCastENSC_16StoreWithoutCastEEEviT_T0_T2_T3_T4_T5_,"axG",@progbits,_ZN2at6native27unrolled_elementwise_kernelINS0_11FillFunctorIN3c1015Float8_e5m2fnuzEEESt5arrayIPcLm1EELi4E23TrivialOffsetCalculatorILi0EjES9_ILi1EjENS0_6memory15LoadWithoutCastENSC_16StoreWithoutCastEEEviT_T0_T2_T3_T4_T5_,comdat
	.protected	_ZN2at6native27unrolled_elementwise_kernelINS0_11FillFunctorIN3c1015Float8_e5m2fnuzEEESt5arrayIPcLm1EELi4E23TrivialOffsetCalculatorILi0EjES9_ILi1EjENS0_6memory15LoadWithoutCastENSC_16StoreWithoutCastEEEviT_T0_T2_T3_T4_T5_ ; -- Begin function _ZN2at6native27unrolled_elementwise_kernelINS0_11FillFunctorIN3c1015Float8_e5m2fnuzEEESt5arrayIPcLm1EELi4E23TrivialOffsetCalculatorILi0EjES9_ILi1EjENS0_6memory15LoadWithoutCastENSC_16StoreWithoutCastEEEviT_T0_T2_T3_T4_T5_
	.globl	_ZN2at6native27unrolled_elementwise_kernelINS0_11FillFunctorIN3c1015Float8_e5m2fnuzEEESt5arrayIPcLm1EELi4E23TrivialOffsetCalculatorILi0EjES9_ILi1EjENS0_6memory15LoadWithoutCastENSC_16StoreWithoutCastEEEviT_T0_T2_T3_T4_T5_
	.p2align	8
	.type	_ZN2at6native27unrolled_elementwise_kernelINS0_11FillFunctorIN3c1015Float8_e5m2fnuzEEESt5arrayIPcLm1EELi4E23TrivialOffsetCalculatorILi0EjES9_ILi1EjENS0_6memory15LoadWithoutCastENSC_16StoreWithoutCastEEEviT_T0_T2_T3_T4_T5_,@function
_ZN2at6native27unrolled_elementwise_kernelINS0_11FillFunctorIN3c1015Float8_e5m2fnuzEEESt5arrayIPcLm1EELi4E23TrivialOffsetCalculatorILi0EjES9_ILi1EjENS0_6memory15LoadWithoutCastENSC_16StoreWithoutCastEEEviT_T0_T2_T3_T4_T5_: ; @_ZN2at6native27unrolled_elementwise_kernelINS0_11FillFunctorIN3c1015Float8_e5m2fnuzEEESt5arrayIPcLm1EELi4E23TrivialOffsetCalculatorILi0EjES9_ILi1EjENS0_6memory15LoadWithoutCastENSC_16StoreWithoutCastEEEviT_T0_T2_T3_T4_T5_
; %bb.0:
	s_load_b128 s[0:3], s[0:1], 0x0
	s_lshl_b32 s4, s15, 10
	s_mov_b32 s5, exec_lo
	s_waitcnt lgkmcnt(0)
	s_sub_i32 s0, s0, s4
	s_delay_alu instid0(SALU_CYCLE_1)
	v_cmpx_gt_i32_e64 s0, v0
	s_cbranch_execnz .LBB124_5
; %bb.1:
	s_or_b32 exec_lo, exec_lo, s5
	s_delay_alu instid0(SALU_CYCLE_1)
	s_mov_b32 s5, exec_lo
	v_cmpx_gt_i32_e64 s0, v0
	s_cbranch_execnz .LBB124_6
.LBB124_2:
	s_or_b32 exec_lo, exec_lo, s5
	s_delay_alu instid0(SALU_CYCLE_1)
	s_mov_b32 s5, exec_lo
	v_cmpx_gt_i32_e64 s0, v0
	s_cbranch_execnz .LBB124_7
.LBB124_3:
	s_or_b32 exec_lo, exec_lo, s5
	v_cmp_gt_i32_e32 vcc_lo, s0, v0
	s_and_saveexec_b32 s0, vcc_lo
	s_cbranch_execnz .LBB124_8
.LBB124_4:
	s_nop 0
	s_sendmsg sendmsg(MSG_DEALLOC_VGPRS)
	s_endpgm
.LBB124_5:
	v_or_b32_e32 v1, s4, v0
	v_mov_b32_e32 v2, s1
	v_or_b32_e32 v0, 0x100, v0
	global_store_b8 v1, v2, s[2:3]
	s_or_b32 exec_lo, exec_lo, s5
	s_delay_alu instid0(SALU_CYCLE_1)
	s_mov_b32 s5, exec_lo
	v_cmpx_gt_i32_e64 s0, v0
	s_cbranch_execz .LBB124_2
.LBB124_6:
	v_add_nc_u32_e32 v1, 0x100, v0
	v_dual_mov_b32 v3, s1 :: v_dual_add_nc_u32 v2, s4, v0
	s_delay_alu instid0(VALU_DEP_2) | instskip(SKIP_2) | instid1(SALU_CYCLE_1)
	v_mov_b32_e32 v0, v1
	global_store_b8 v2, v3, s[2:3]
	s_or_b32 exec_lo, exec_lo, s5
	s_mov_b32 s5, exec_lo
	v_cmpx_gt_i32_e64 s0, v0
	s_cbranch_execz .LBB124_3
.LBB124_7:
	v_add_nc_u32_e32 v1, 0x100, v0
	v_dual_mov_b32 v3, s1 :: v_dual_add_nc_u32 v2, s4, v0
	s_delay_alu instid0(VALU_DEP_2)
	v_mov_b32_e32 v0, v1
	global_store_b8 v2, v3, s[2:3]
	s_or_b32 exec_lo, exec_lo, s5
	v_cmp_gt_i32_e32 vcc_lo, s0, v0
	s_and_saveexec_b32 s0, vcc_lo
	s_cbranch_execz .LBB124_4
.LBB124_8:
	v_dual_mov_b32 v1, s1 :: v_dual_add_nc_u32 v0, s4, v0
	global_store_b8 v0, v1, s[2:3]
	s_nop 0
	s_sendmsg sendmsg(MSG_DEALLOC_VGPRS)
	s_endpgm
	.section	.rodata,"a",@progbits
	.p2align	6, 0x0
	.amdhsa_kernel _ZN2at6native27unrolled_elementwise_kernelINS0_11FillFunctorIN3c1015Float8_e5m2fnuzEEESt5arrayIPcLm1EELi4E23TrivialOffsetCalculatorILi0EjES9_ILi1EjENS0_6memory15LoadWithoutCastENSC_16StoreWithoutCastEEEviT_T0_T2_T3_T4_T5_
		.amdhsa_group_segment_fixed_size 0
		.amdhsa_private_segment_fixed_size 0
		.amdhsa_kernarg_size 20
		.amdhsa_user_sgpr_count 15
		.amdhsa_user_sgpr_dispatch_ptr 0
		.amdhsa_user_sgpr_queue_ptr 0
		.amdhsa_user_sgpr_kernarg_segment_ptr 1
		.amdhsa_user_sgpr_dispatch_id 0
		.amdhsa_user_sgpr_private_segment_size 0
		.amdhsa_wavefront_size32 1
		.amdhsa_uses_dynamic_stack 0
		.amdhsa_enable_private_segment 0
		.amdhsa_system_sgpr_workgroup_id_x 1
		.amdhsa_system_sgpr_workgroup_id_y 0
		.amdhsa_system_sgpr_workgroup_id_z 0
		.amdhsa_system_sgpr_workgroup_info 0
		.amdhsa_system_vgpr_workitem_id 0
		.amdhsa_next_free_vgpr 4
		.amdhsa_next_free_sgpr 16
		.amdhsa_reserve_vcc 1
		.amdhsa_float_round_mode_32 0
		.amdhsa_float_round_mode_16_64 0
		.amdhsa_float_denorm_mode_32 3
		.amdhsa_float_denorm_mode_16_64 3
		.amdhsa_dx10_clamp 1
		.amdhsa_ieee_mode 1
		.amdhsa_fp16_overflow 0
		.amdhsa_workgroup_processor_mode 1
		.amdhsa_memory_ordered 1
		.amdhsa_forward_progress 0
		.amdhsa_shared_vgpr_count 0
		.amdhsa_exception_fp_ieee_invalid_op 0
		.amdhsa_exception_fp_denorm_src 0
		.amdhsa_exception_fp_ieee_div_zero 0
		.amdhsa_exception_fp_ieee_overflow 0
		.amdhsa_exception_fp_ieee_underflow 0
		.amdhsa_exception_fp_ieee_inexact 0
		.amdhsa_exception_int_div_zero 0
	.end_amdhsa_kernel
	.section	.text._ZN2at6native27unrolled_elementwise_kernelINS0_11FillFunctorIN3c1015Float8_e5m2fnuzEEESt5arrayIPcLm1EELi4E23TrivialOffsetCalculatorILi0EjES9_ILi1EjENS0_6memory15LoadWithoutCastENSC_16StoreWithoutCastEEEviT_T0_T2_T3_T4_T5_,"axG",@progbits,_ZN2at6native27unrolled_elementwise_kernelINS0_11FillFunctorIN3c1015Float8_e5m2fnuzEEESt5arrayIPcLm1EELi4E23TrivialOffsetCalculatorILi0EjES9_ILi1EjENS0_6memory15LoadWithoutCastENSC_16StoreWithoutCastEEEviT_T0_T2_T3_T4_T5_,comdat
.Lfunc_end124:
	.size	_ZN2at6native27unrolled_elementwise_kernelINS0_11FillFunctorIN3c1015Float8_e5m2fnuzEEESt5arrayIPcLm1EELi4E23TrivialOffsetCalculatorILi0EjES9_ILi1EjENS0_6memory15LoadWithoutCastENSC_16StoreWithoutCastEEEviT_T0_T2_T3_T4_T5_, .Lfunc_end124-_ZN2at6native27unrolled_elementwise_kernelINS0_11FillFunctorIN3c1015Float8_e5m2fnuzEEESt5arrayIPcLm1EELi4E23TrivialOffsetCalculatorILi0EjES9_ILi1EjENS0_6memory15LoadWithoutCastENSC_16StoreWithoutCastEEEviT_T0_T2_T3_T4_T5_
                                        ; -- End function
	.section	.AMDGPU.csdata,"",@progbits
; Kernel info:
; codeLenInByte = 292
; NumSgprs: 18
; NumVgprs: 4
; ScratchSize: 0
; MemoryBound: 0
; FloatMode: 240
; IeeeMode: 1
; LDSByteSize: 0 bytes/workgroup (compile time only)
; SGPRBlocks: 2
; VGPRBlocks: 0
; NumSGPRsForWavesPerEU: 18
; NumVGPRsForWavesPerEU: 4
; Occupancy: 16
; WaveLimiterHint : 0
; COMPUTE_PGM_RSRC2:SCRATCH_EN: 0
; COMPUTE_PGM_RSRC2:USER_SGPR: 15
; COMPUTE_PGM_RSRC2:TRAP_HANDLER: 0
; COMPUTE_PGM_RSRC2:TGID_X_EN: 1
; COMPUTE_PGM_RSRC2:TGID_Y_EN: 0
; COMPUTE_PGM_RSRC2:TGID_Z_EN: 0
; COMPUTE_PGM_RSRC2:TIDIG_COMP_CNT: 0
	.section	.text._ZN2at6native32elementwise_kernel_manual_unrollILi128ELi8EZNS0_22gpu_kernel_impl_nocastINS0_11FillFunctorIN3c1015Float8_e5m2fnuzEEEEEvRNS_18TensorIteratorBaseERKT_EUlibE_EEviT1_,"axG",@progbits,_ZN2at6native32elementwise_kernel_manual_unrollILi128ELi8EZNS0_22gpu_kernel_impl_nocastINS0_11FillFunctorIN3c1015Float8_e5m2fnuzEEEEEvRNS_18TensorIteratorBaseERKT_EUlibE_EEviT1_,comdat
	.protected	_ZN2at6native32elementwise_kernel_manual_unrollILi128ELi8EZNS0_22gpu_kernel_impl_nocastINS0_11FillFunctorIN3c1015Float8_e5m2fnuzEEEEEvRNS_18TensorIteratorBaseERKT_EUlibE_EEviT1_ ; -- Begin function _ZN2at6native32elementwise_kernel_manual_unrollILi128ELi8EZNS0_22gpu_kernel_impl_nocastINS0_11FillFunctorIN3c1015Float8_e5m2fnuzEEEEEvRNS_18TensorIteratorBaseERKT_EUlibE_EEviT1_
	.globl	_ZN2at6native32elementwise_kernel_manual_unrollILi128ELi8EZNS0_22gpu_kernel_impl_nocastINS0_11FillFunctorIN3c1015Float8_e5m2fnuzEEEEEvRNS_18TensorIteratorBaseERKT_EUlibE_EEviT1_
	.p2align	8
	.type	_ZN2at6native32elementwise_kernel_manual_unrollILi128ELi8EZNS0_22gpu_kernel_impl_nocastINS0_11FillFunctorIN3c1015Float8_e5m2fnuzEEEEEvRNS_18TensorIteratorBaseERKT_EUlibE_EEviT1_,@function
_ZN2at6native32elementwise_kernel_manual_unrollILi128ELi8EZNS0_22gpu_kernel_impl_nocastINS0_11FillFunctorIN3c1015Float8_e5m2fnuzEEEEEvRNS_18TensorIteratorBaseERKT_EUlibE_EEviT1_: ; @_ZN2at6native32elementwise_kernel_manual_unrollILi128ELi8EZNS0_22gpu_kernel_impl_nocastINS0_11FillFunctorIN3c1015Float8_e5m2fnuzEEEEEvRNS_18TensorIteratorBaseERKT_EUlibE_EEviT1_
; %bb.0:
	s_clause 0x1
	s_load_b32 s18, s[0:1], 0x8
	s_load_b32 s24, s[0:1], 0x0
	v_lshl_or_b32 v6, s15, 10, v0
	s_or_b32 s0, s0, 8
	s_mov_b32 s2, exec_lo
	s_delay_alu instid0(VALU_DEP_1) | instskip(SKIP_2) | instid1(SALU_CYCLE_1)
	v_or_b32_e32 v8, 0x380, v6
	s_waitcnt lgkmcnt(0)
	s_add_i32 s19, s18, -1
	s_cmp_gt_u32 s19, 1
	s_cselect_b32 s20, -1, 0
	v_cmpx_le_i32_e64 s24, v8
	s_xor_b32 s21, exec_lo, s2
	s_cbranch_execz .LBB125_7
; %bb.1:
	s_clause 0x4
	s_load_b128 s[4:7], s[0:1], 0x4
	s_load_b64 s[10:11], s[0:1], 0x14
	s_load_b64 s[8:9], s[0:1], 0xc4
	;; [unrolled: 1-line block ×3, first 2 shown]
	s_load_b32 s22, s[0:1], 0x110
	s_cmp_lg_u32 s18, 0
	s_mov_b32 s27, exec_lo
	s_cselect_b32 s26, -1, 0
	s_add_u32 s12, s0, 0xc4
	s_addc_u32 s13, s1, 0
	s_min_u32 s25, s19, 15
	s_cmp_gt_u32 s18, 1
	s_cselect_b32 s23, -1, 0
	v_cmpx_gt_i32_e64 s24, v6
	s_cbranch_execz .LBB125_14
; %bb.2:
	s_and_not1_b32 vcc_lo, exec_lo, s20
	s_cbranch_vccnz .LBB125_21
; %bb.3:
	v_mov_b32_e32 v0, 0
	s_and_not1_b32 vcc_lo, exec_lo, s26
	s_cbranch_vccnz .LBB125_125
; %bb.4:
	s_add_i32 s29, s25, 1
	s_cmp_eq_u32 s19, 2
	s_mov_b32 s28, 0
	s_cbranch_scc1 .LBB125_121
; %bb.5:
	v_dual_mov_b32 v0, 0 :: v_dual_mov_b32 v1, v6
	s_and_b32 s28, s29, 28
	s_mov_b32 s30, 0
	s_mov_b64 s[14:15], s[0:1]
	s_mov_b64 s[16:17], s[12:13]
.LBB125_6:                              ; =>This Inner Loop Header: Depth=1
	s_clause 0x1
	s_load_b256 s[36:43], s[14:15], 0x4
	s_load_b128 s[44:47], s[14:15], 0x24
	s_load_b128 s[48:51], s[16:17], 0x0
	s_add_u32 s14, s14, 48
	s_addc_u32 s15, s15, 0
	s_add_i32 s30, s30, 4
	s_add_u32 s16, s16, 16
	s_addc_u32 s17, s17, 0
	s_cmp_lg_u32 s28, s30
	s_waitcnt lgkmcnt(0)
	v_mul_hi_u32 v2, s37, v1
	s_delay_alu instid0(VALU_DEP_1) | instskip(NEXT) | instid1(VALU_DEP_1)
	v_add_nc_u32_e32 v2, v1, v2
	v_lshrrev_b32_e32 v2, s38, v2
	s_delay_alu instid0(VALU_DEP_1) | instskip(SKIP_1) | instid1(VALU_DEP_2)
	v_mul_hi_u32 v3, s40, v2
	v_mul_lo_u32 v7, v2, s36
	v_add_nc_u32_e32 v3, v2, v3
	s_delay_alu instid0(VALU_DEP_2) | instskip(NEXT) | instid1(VALU_DEP_2)
	v_sub_nc_u32_e32 v7, v1, v7
	v_lshrrev_b32_e32 v3, s41, v3
	s_delay_alu instid0(VALU_DEP_2) | instskip(NEXT) | instid1(VALU_DEP_2)
	v_mul_lo_u32 v7, v7, s48
	v_mul_hi_u32 v4, s43, v3
	v_mul_lo_u32 v8, v3, s39
	s_delay_alu instid0(VALU_DEP_2) | instskip(NEXT) | instid1(VALU_DEP_2)
	v_add_nc_u32_e32 v4, v3, v4
	v_sub_nc_u32_e32 v2, v2, v8
	s_delay_alu instid0(VALU_DEP_2) | instskip(NEXT) | instid1(VALU_DEP_2)
	v_lshrrev_b32_e32 v4, s44, v4
	v_mul_lo_u32 v2, v2, s49
	s_delay_alu instid0(VALU_DEP_2) | instskip(NEXT) | instid1(VALU_DEP_2)
	v_mul_hi_u32 v5, s46, v4
	v_add3_u32 v0, v7, v0, v2
	s_delay_alu instid0(VALU_DEP_2) | instskip(NEXT) | instid1(VALU_DEP_1)
	v_add_nc_u32_e32 v5, v4, v5
	v_lshrrev_b32_e32 v1, s47, v5
	v_mul_lo_u32 v5, v4, s42
	s_delay_alu instid0(VALU_DEP_2) | instskip(NEXT) | instid1(VALU_DEP_2)
	v_mul_lo_u32 v9, v1, s45
	v_sub_nc_u32_e32 v3, v3, v5
	s_delay_alu instid0(VALU_DEP_2) | instskip(NEXT) | instid1(VALU_DEP_2)
	v_sub_nc_u32_e32 v4, v4, v9
	v_mul_lo_u32 v3, v3, s50
	s_delay_alu instid0(VALU_DEP_2) | instskip(NEXT) | instid1(VALU_DEP_1)
	v_mul_lo_u32 v4, v4, s51
	v_add3_u32 v0, v3, v0, v4
	s_cbranch_scc1 .LBB125_6
	s_branch .LBB125_122
.LBB125_7:
	s_and_not1_saveexec_b32 s2, s21
	s_cbranch_execz .LBB125_206
.LBB125_8:
	v_cndmask_b32_e64 v7, 0, 1, s20
	s_and_not1_b32 vcc_lo, exec_lo, s20
	s_cbranch_vccnz .LBB125_20
; %bb.9:
	v_mov_b32_e32 v0, 0
	s_cmp_eq_u32 s18, 0
	s_mov_b32 s6, 0
	s_cbranch_scc1 .LBB125_26
; %bb.10:
	s_min_u32 s7, s19, 15
	v_mov_b32_e32 v0, 0
	s_add_i32 s7, s7, 1
	s_cmp_eq_u32 s19, 2
	s_mov_b32 s8, 0
	s_cbranch_scc1 .LBB125_23
; %bb.11:
	v_dual_mov_b32 v0, 0 :: v_dual_mov_b32 v1, v6
	s_add_u32 s2, s0, 0xc4
	s_addc_u32 s3, s1, 0
	s_and_b32 s8, s7, 28
	s_mov_b32 s9, 0
	s_mov_b64 s[4:5], s[0:1]
.LBB125_12:                             ; =>This Inner Loop Header: Depth=1
	s_clause 0x1
	s_load_b256 s[20:27], s[4:5], 0x4
	s_load_b128 s[12:15], s[4:5], 0x24
	s_load_b128 s[28:31], s[2:3], 0x0
	s_add_u32 s4, s4, 48
	s_addc_u32 s5, s5, 0
	s_add_i32 s9, s9, 4
	s_add_u32 s2, s2, 16
	s_addc_u32 s3, s3, 0
	s_cmp_lg_u32 s8, s9
	s_waitcnt lgkmcnt(0)
	v_mul_hi_u32 v2, s21, v1
	s_delay_alu instid0(VALU_DEP_1) | instskip(NEXT) | instid1(VALU_DEP_1)
	v_add_nc_u32_e32 v2, v1, v2
	v_lshrrev_b32_e32 v2, s22, v2
	s_delay_alu instid0(VALU_DEP_1) | instskip(SKIP_1) | instid1(VALU_DEP_2)
	v_mul_hi_u32 v3, s24, v2
	v_mul_lo_u32 v9, v2, s20
	v_add_nc_u32_e32 v3, v2, v3
	s_delay_alu instid0(VALU_DEP_2) | instskip(NEXT) | instid1(VALU_DEP_2)
	v_sub_nc_u32_e32 v9, v1, v9
	v_lshrrev_b32_e32 v3, s25, v3
	s_delay_alu instid0(VALU_DEP_2) | instskip(NEXT) | instid1(VALU_DEP_2)
	v_mul_lo_u32 v9, v9, s28
	v_mul_hi_u32 v4, s27, v3
	v_mul_lo_u32 v10, v3, s23
	s_delay_alu instid0(VALU_DEP_2) | instskip(NEXT) | instid1(VALU_DEP_2)
	v_add_nc_u32_e32 v4, v3, v4
	v_sub_nc_u32_e32 v2, v2, v10
	s_delay_alu instid0(VALU_DEP_2) | instskip(NEXT) | instid1(VALU_DEP_2)
	v_lshrrev_b32_e32 v4, s12, v4
	v_mul_lo_u32 v2, v2, s29
	s_delay_alu instid0(VALU_DEP_2) | instskip(NEXT) | instid1(VALU_DEP_2)
	v_mul_hi_u32 v5, s14, v4
	v_add3_u32 v0, v9, v0, v2
	s_delay_alu instid0(VALU_DEP_2) | instskip(NEXT) | instid1(VALU_DEP_1)
	v_add_nc_u32_e32 v5, v4, v5
	v_lshrrev_b32_e32 v1, s15, v5
	v_mul_lo_u32 v5, v4, s26
	s_delay_alu instid0(VALU_DEP_2) | instskip(NEXT) | instid1(VALU_DEP_2)
	v_mul_lo_u32 v11, v1, s13
	v_sub_nc_u32_e32 v3, v3, v5
	s_delay_alu instid0(VALU_DEP_2) | instskip(NEXT) | instid1(VALU_DEP_2)
	v_sub_nc_u32_e32 v4, v4, v11
	v_mul_lo_u32 v3, v3, s30
	s_delay_alu instid0(VALU_DEP_2) | instskip(NEXT) | instid1(VALU_DEP_1)
	v_mul_lo_u32 v4, v4, s31
	v_add3_u32 v0, v3, v0, v4
	s_cbranch_scc1 .LBB125_12
; %bb.13:
	s_and_b32 s7, s7, 3
	s_delay_alu instid0(SALU_CYCLE_1)
	s_cmp_eq_u32 s7, 0
	s_cbranch_scc0 .LBB125_24
	s_branch .LBB125_26
.LBB125_14:
	s_or_b32 exec_lo, exec_lo, s27
	s_delay_alu instid0(SALU_CYCLE_1)
	s_mov_b32 s27, exec_lo
	v_cmpx_gt_i32_e64 s24, v6
	s_cbranch_execz .LBB125_129
.LBB125_15:
	s_and_not1_b32 vcc_lo, exec_lo, s20
	s_cbranch_vccnz .LBB125_22
; %bb.16:
	v_mov_b32_e32 v0, 0
	s_and_not1_b32 vcc_lo, exec_lo, s26
	s_cbranch_vccnz .LBB125_140
; %bb.17:
	s_add_i32 s29, s25, 1
	s_cmp_eq_u32 s19, 2
	s_mov_b32 s28, 0
	s_cbranch_scc1 .LBB125_136
; %bb.18:
	v_dual_mov_b32 v0, 0 :: v_dual_mov_b32 v1, v6
	s_and_b32 s28, s29, 28
	s_mov_b32 s30, 0
	s_mov_b64 s[14:15], s[0:1]
	s_mov_b64 s[16:17], s[12:13]
.LBB125_19:                             ; =>This Inner Loop Header: Depth=1
	s_clause 0x1
	s_load_b256 s[36:43], s[14:15], 0x4
	s_load_b128 s[44:47], s[14:15], 0x24
	s_load_b128 s[48:51], s[16:17], 0x0
	s_add_u32 s14, s14, 48
	s_addc_u32 s15, s15, 0
	s_add_i32 s30, s30, 4
	s_add_u32 s16, s16, 16
	s_addc_u32 s17, s17, 0
	s_cmp_eq_u32 s28, s30
	s_waitcnt lgkmcnt(0)
	v_mul_hi_u32 v2, s37, v1
	s_delay_alu instid0(VALU_DEP_1) | instskip(NEXT) | instid1(VALU_DEP_1)
	v_add_nc_u32_e32 v2, v1, v2
	v_lshrrev_b32_e32 v2, s38, v2
	s_delay_alu instid0(VALU_DEP_1) | instskip(SKIP_1) | instid1(VALU_DEP_2)
	v_mul_hi_u32 v3, s40, v2
	v_mul_lo_u32 v7, v2, s36
	v_add_nc_u32_e32 v3, v2, v3
	s_delay_alu instid0(VALU_DEP_2) | instskip(NEXT) | instid1(VALU_DEP_2)
	v_sub_nc_u32_e32 v7, v1, v7
	v_lshrrev_b32_e32 v3, s41, v3
	s_delay_alu instid0(VALU_DEP_2) | instskip(NEXT) | instid1(VALU_DEP_2)
	v_mul_lo_u32 v7, v7, s48
	v_mul_hi_u32 v4, s43, v3
	v_mul_lo_u32 v8, v3, s39
	s_delay_alu instid0(VALU_DEP_2) | instskip(NEXT) | instid1(VALU_DEP_2)
	v_add_nc_u32_e32 v4, v3, v4
	v_sub_nc_u32_e32 v2, v2, v8
	s_delay_alu instid0(VALU_DEP_2) | instskip(NEXT) | instid1(VALU_DEP_2)
	v_lshrrev_b32_e32 v4, s44, v4
	v_mul_lo_u32 v2, v2, s49
	s_delay_alu instid0(VALU_DEP_2) | instskip(NEXT) | instid1(VALU_DEP_2)
	v_mul_hi_u32 v5, s46, v4
	v_add3_u32 v0, v7, v0, v2
	s_delay_alu instid0(VALU_DEP_2) | instskip(NEXT) | instid1(VALU_DEP_1)
	v_add_nc_u32_e32 v5, v4, v5
	v_lshrrev_b32_e32 v1, s47, v5
	v_mul_lo_u32 v5, v4, s42
	s_delay_alu instid0(VALU_DEP_2) | instskip(NEXT) | instid1(VALU_DEP_2)
	v_mul_lo_u32 v9, v1, s45
	v_sub_nc_u32_e32 v3, v3, v5
	s_delay_alu instid0(VALU_DEP_2) | instskip(NEXT) | instid1(VALU_DEP_2)
	v_sub_nc_u32_e32 v4, v4, v9
	v_mul_lo_u32 v3, v3, s50
	s_delay_alu instid0(VALU_DEP_2) | instskip(NEXT) | instid1(VALU_DEP_1)
	v_mul_lo_u32 v4, v4, s51
	v_add3_u32 v0, v3, v0, v4
	s_cbranch_scc0 .LBB125_19
	s_branch .LBB125_137
.LBB125_20:
	s_mov_b32 s6, -1
                                        ; implicit-def: $vgpr0
	s_branch .LBB125_26
.LBB125_21:
                                        ; implicit-def: $vgpr0
	s_branch .LBB125_126
.LBB125_22:
                                        ; implicit-def: $vgpr0
	s_branch .LBB125_141
.LBB125_23:
	v_mov_b32_e32 v1, v6
	s_and_b32 s7, s7, 3
	s_delay_alu instid0(SALU_CYCLE_1)
	s_cmp_eq_u32 s7, 0
	s_cbranch_scc1 .LBB125_26
.LBB125_24:
	s_lshl_b32 s2, s8, 2
	s_mul_i32 s4, s8, 12
	s_add_u32 s2, s2, s0
	s_addc_u32 s3, 0, s1
	s_add_u32 s2, s2, 0xc4
	s_addc_u32 s3, s3, 0
	;; [unrolled: 2-line block ×3, first 2 shown]
	.p2align	6
.LBB125_25:                             ; =>This Inner Loop Header: Depth=1
	s_clause 0x1
	s_load_b64 s[8:9], s[4:5], 0x4
	s_load_b32 s10, s[4:5], 0xc
	s_add_u32 s4, s4, 12
	s_addc_u32 s5, s5, 0
	s_waitcnt lgkmcnt(0)
	v_mul_hi_u32 v2, s9, v1
	s_load_b32 s9, s[2:3], 0x0
	s_add_u32 s2, s2, 4
	s_addc_u32 s3, s3, 0
	s_add_i32 s7, s7, -1
	s_delay_alu instid0(SALU_CYCLE_1) | instskip(NEXT) | instid1(VALU_DEP_1)
	s_cmp_lg_u32 s7, 0
	v_add_nc_u32_e32 v2, v1, v2
	s_delay_alu instid0(VALU_DEP_1) | instskip(NEXT) | instid1(VALU_DEP_1)
	v_lshrrev_b32_e32 v4, s10, v2
	v_mul_lo_u32 v2, v4, s8
	s_delay_alu instid0(VALU_DEP_1) | instskip(SKIP_1) | instid1(VALU_DEP_1)
	v_sub_nc_u32_e32 v1, v1, v2
	s_waitcnt lgkmcnt(0)
	v_mad_u64_u32 v[2:3], null, v1, s9, v[0:1]
	s_delay_alu instid0(VALU_DEP_1)
	v_dual_mov_b32 v1, v4 :: v_dual_mov_b32 v0, v2
	s_cbranch_scc1 .LBB125_25
.LBB125_26:
	s_and_not1_b32 vcc_lo, exec_lo, s6
	s_cbranch_vccnz .LBB125_29
; %bb.27:
	s_clause 0x1
	s_load_b128 s[4:7], s[0:1], 0x4
	s_load_b32 s2, s[0:1], 0xc4
	s_cmp_lt_u32 s18, 2
	s_waitcnt lgkmcnt(0)
	v_mul_hi_u32 v0, s5, v6
	s_delay_alu instid0(VALU_DEP_1) | instskip(NEXT) | instid1(VALU_DEP_1)
	v_add_nc_u32_e32 v0, v6, v0
	v_lshrrev_b32_e32 v1, s6, v0
	s_delay_alu instid0(VALU_DEP_1) | instskip(NEXT) | instid1(VALU_DEP_1)
	v_mul_lo_u32 v0, v1, s4
	v_sub_nc_u32_e32 v0, v6, v0
	s_delay_alu instid0(VALU_DEP_1)
	v_mul_lo_u32 v0, v0, s2
	s_cbranch_scc1 .LBB125_29
; %bb.28:
	s_clause 0x1
	s_load_b128 s[4:7], s[0:1], 0x10
	s_load_b32 s2, s[0:1], 0xc8
	s_waitcnt lgkmcnt(0)
	v_mul_hi_u32 v2, s5, v1
	s_delay_alu instid0(VALU_DEP_1) | instskip(NEXT) | instid1(VALU_DEP_1)
	v_add_nc_u32_e32 v2, v1, v2
	v_lshrrev_b32_e32 v2, s6, v2
	s_delay_alu instid0(VALU_DEP_1) | instskip(NEXT) | instid1(VALU_DEP_1)
	v_mul_lo_u32 v2, v2, s4
	v_sub_nc_u32_e32 v3, v1, v2
	s_delay_alu instid0(VALU_DEP_1) | instskip(NEXT) | instid1(VALU_DEP_1)
	v_mad_u64_u32 v[1:2], null, v3, s2, v[0:1]
	v_mov_b32_e32 v0, v1
.LBB125_29:
	v_cmp_ne_u32_e32 vcc_lo, 1, v7
	v_add_nc_u32_e32 v2, 0x80, v6
	s_cbranch_vccnz .LBB125_35
; %bb.30:
	v_mov_b32_e32 v1, 0
	s_cmp_eq_u32 s18, 0
	s_mov_b32 s6, 0
	s_cbranch_scc1 .LBB125_39
; %bb.31:
	s_min_u32 s7, s19, 15
	v_mov_b32_e32 v1, 0
	s_add_i32 s7, s7, 1
	s_cmp_eq_u32 s19, 2
	s_mov_b32 s8, 0
	s_cbranch_scc1 .LBB125_36
; %bb.32:
	v_mov_b32_e32 v1, 0
	v_mov_b32_e32 v3, v2
	s_add_u32 s2, s0, 0xc4
	s_addc_u32 s3, s1, 0
	s_and_b32 s8, s7, 28
	s_mov_b32 s9, 0
	s_mov_b64 s[4:5], s[0:1]
.LBB125_33:                             ; =>This Inner Loop Header: Depth=1
	s_clause 0x1
	s_load_b256 s[20:27], s[4:5], 0x4
	s_load_b128 s[12:15], s[4:5], 0x24
	s_load_b128 s[28:31], s[2:3], 0x0
	s_add_u32 s4, s4, 48
	s_addc_u32 s5, s5, 0
	s_add_i32 s9, s9, 4
	s_add_u32 s2, s2, 16
	s_addc_u32 s3, s3, 0
	s_cmp_lg_u32 s8, s9
	s_waitcnt lgkmcnt(0)
	v_mul_hi_u32 v4, s21, v3
	s_delay_alu instid0(VALU_DEP_1) | instskip(NEXT) | instid1(VALU_DEP_1)
	v_add_nc_u32_e32 v4, v3, v4
	v_lshrrev_b32_e32 v4, s22, v4
	s_delay_alu instid0(VALU_DEP_1) | instskip(SKIP_1) | instid1(VALU_DEP_2)
	v_mul_hi_u32 v5, s24, v4
	v_mul_lo_u32 v11, v4, s20
	v_add_nc_u32_e32 v5, v4, v5
	s_delay_alu instid0(VALU_DEP_2) | instskip(NEXT) | instid1(VALU_DEP_2)
	v_sub_nc_u32_e32 v11, v3, v11
	v_lshrrev_b32_e32 v5, s25, v5
	s_delay_alu instid0(VALU_DEP_2) | instskip(NEXT) | instid1(VALU_DEP_2)
	v_mul_lo_u32 v11, v11, s28
	v_mul_hi_u32 v9, s27, v5
	v_mul_lo_u32 v12, v5, s23
	s_delay_alu instid0(VALU_DEP_2) | instskip(NEXT) | instid1(VALU_DEP_2)
	v_add_nc_u32_e32 v9, v5, v9
	v_sub_nc_u32_e32 v4, v4, v12
	s_delay_alu instid0(VALU_DEP_2) | instskip(NEXT) | instid1(VALU_DEP_2)
	v_lshrrev_b32_e32 v9, s12, v9
	v_mul_lo_u32 v4, v4, s29
	s_delay_alu instid0(VALU_DEP_2) | instskip(NEXT) | instid1(VALU_DEP_2)
	v_mul_hi_u32 v10, s14, v9
	v_add3_u32 v1, v11, v1, v4
	s_delay_alu instid0(VALU_DEP_2) | instskip(NEXT) | instid1(VALU_DEP_1)
	v_add_nc_u32_e32 v10, v9, v10
	v_lshrrev_b32_e32 v3, s15, v10
	v_mul_lo_u32 v10, v9, s26
	s_delay_alu instid0(VALU_DEP_2) | instskip(NEXT) | instid1(VALU_DEP_2)
	v_mul_lo_u32 v13, v3, s13
	v_sub_nc_u32_e32 v5, v5, v10
	s_delay_alu instid0(VALU_DEP_2) | instskip(NEXT) | instid1(VALU_DEP_2)
	v_sub_nc_u32_e32 v9, v9, v13
	v_mul_lo_u32 v5, v5, s30
	s_delay_alu instid0(VALU_DEP_2) | instskip(NEXT) | instid1(VALU_DEP_1)
	v_mul_lo_u32 v9, v9, s31
	v_add3_u32 v1, v5, v1, v9
	s_cbranch_scc1 .LBB125_33
; %bb.34:
	s_and_b32 s7, s7, 3
	s_delay_alu instid0(SALU_CYCLE_1)
	s_cmp_eq_u32 s7, 0
	s_cbranch_scc0 .LBB125_37
	s_branch .LBB125_39
.LBB125_35:
	s_mov_b32 s6, -1
                                        ; implicit-def: $vgpr1
	s_branch .LBB125_39
.LBB125_36:
	v_mov_b32_e32 v3, v2
	s_and_b32 s7, s7, 3
	s_delay_alu instid0(SALU_CYCLE_1)
	s_cmp_eq_u32 s7, 0
	s_cbranch_scc1 .LBB125_39
.LBB125_37:
	s_lshl_b32 s2, s8, 2
	s_mul_i32 s4, s8, 12
	s_add_u32 s2, s2, s0
	s_addc_u32 s3, 0, s1
	s_add_u32 s2, s2, 0xc4
	s_addc_u32 s3, s3, 0
	s_add_u32 s4, s0, s4
	s_addc_u32 s5, 0, s1
	.p2align	6
.LBB125_38:                             ; =>This Inner Loop Header: Depth=1
	s_clause 0x1
	s_load_b64 s[8:9], s[4:5], 0x4
	s_load_b32 s10, s[4:5], 0xc
	s_add_u32 s4, s4, 12
	s_addc_u32 s5, s5, 0
	s_waitcnt lgkmcnt(0)
	v_mul_hi_u32 v4, s9, v3
	s_load_b32 s9, s[2:3], 0x0
	s_add_u32 s2, s2, 4
	s_addc_u32 s3, s3, 0
	s_add_i32 s7, s7, -1
	s_delay_alu instid0(SALU_CYCLE_1) | instskip(NEXT) | instid1(VALU_DEP_1)
	s_cmp_lg_u32 s7, 0
	v_add_nc_u32_e32 v4, v3, v4
	s_delay_alu instid0(VALU_DEP_1) | instskip(NEXT) | instid1(VALU_DEP_1)
	v_lshrrev_b32_e32 v9, s10, v4
	v_mul_lo_u32 v4, v9, s8
	s_delay_alu instid0(VALU_DEP_1) | instskip(SKIP_1) | instid1(VALU_DEP_1)
	v_sub_nc_u32_e32 v3, v3, v4
	s_waitcnt lgkmcnt(0)
	v_mad_u64_u32 v[4:5], null, v3, s9, v[1:2]
	v_mov_b32_e32 v3, v9
	s_delay_alu instid0(VALU_DEP_2)
	v_mov_b32_e32 v1, v4
	s_cbranch_scc1 .LBB125_38
.LBB125_39:
	s_and_not1_b32 vcc_lo, exec_lo, s6
	s_cbranch_vccnz .LBB125_42
; %bb.40:
	s_clause 0x1
	s_load_b128 s[4:7], s[0:1], 0x4
	s_load_b32 s2, s[0:1], 0xc4
	s_cmp_lt_u32 s18, 2
	s_waitcnt lgkmcnt(0)
	v_mul_hi_u32 v1, s5, v2
	s_delay_alu instid0(VALU_DEP_1) | instskip(NEXT) | instid1(VALU_DEP_1)
	v_add_nc_u32_e32 v1, v2, v1
	v_lshrrev_b32_e32 v3, s6, v1
	s_delay_alu instid0(VALU_DEP_1) | instskip(NEXT) | instid1(VALU_DEP_1)
	v_mul_lo_u32 v1, v3, s4
	v_sub_nc_u32_e32 v1, v2, v1
	s_delay_alu instid0(VALU_DEP_1)
	v_mul_lo_u32 v1, v1, s2
	s_cbranch_scc1 .LBB125_42
; %bb.41:
	s_clause 0x1
	s_load_b128 s[4:7], s[0:1], 0x10
	s_load_b32 s2, s[0:1], 0xc8
	s_waitcnt lgkmcnt(0)
	v_mul_hi_u32 v2, s5, v3
	s_delay_alu instid0(VALU_DEP_1) | instskip(NEXT) | instid1(VALU_DEP_1)
	v_add_nc_u32_e32 v2, v3, v2
	v_lshrrev_b32_e32 v2, s6, v2
	s_delay_alu instid0(VALU_DEP_1) | instskip(NEXT) | instid1(VALU_DEP_1)
	v_mul_lo_u32 v2, v2, s4
	v_sub_nc_u32_e32 v4, v3, v2
	s_delay_alu instid0(VALU_DEP_1) | instskip(NEXT) | instid1(VALU_DEP_1)
	v_mad_u64_u32 v[2:3], null, v4, s2, v[1:2]
	v_mov_b32_e32 v1, v2
.LBB125_42:
	v_cmp_ne_u32_e32 vcc_lo, 1, v7
	v_add_nc_u32_e32 v3, 0x100, v6
	s_cbranch_vccnz .LBB125_48
; %bb.43:
	v_mov_b32_e32 v2, 0
	s_cmp_eq_u32 s18, 0
	s_mov_b32 s6, 0
	s_cbranch_scc1 .LBB125_52
; %bb.44:
	s_min_u32 s7, s19, 15
	v_mov_b32_e32 v2, 0
	s_add_i32 s7, s7, 1
	s_cmp_eq_u32 s19, 2
	s_mov_b32 s8, 0
	s_cbranch_scc1 .LBB125_49
; %bb.45:
	v_mov_b32_e32 v2, 0
	v_mov_b32_e32 v4, v3
	s_add_u32 s2, s0, 0xc4
	s_addc_u32 s3, s1, 0
	s_and_b32 s8, s7, 28
	s_mov_b32 s9, 0
	s_mov_b64 s[4:5], s[0:1]
.LBB125_46:                             ; =>This Inner Loop Header: Depth=1
	s_clause 0x1
	s_load_b256 s[20:27], s[4:5], 0x4
	s_load_b128 s[12:15], s[4:5], 0x24
	s_load_b128 s[28:31], s[2:3], 0x0
	s_add_u32 s4, s4, 48
	s_addc_u32 s5, s5, 0
	s_add_i32 s9, s9, 4
	s_add_u32 s2, s2, 16
	s_addc_u32 s3, s3, 0
	s_cmp_lg_u32 s8, s9
	s_waitcnt lgkmcnt(0)
	v_mul_hi_u32 v5, s21, v4
	s_delay_alu instid0(VALU_DEP_1) | instskip(NEXT) | instid1(VALU_DEP_1)
	v_add_nc_u32_e32 v5, v4, v5
	v_lshrrev_b32_e32 v5, s22, v5
	s_delay_alu instid0(VALU_DEP_1) | instskip(SKIP_1) | instid1(VALU_DEP_2)
	v_mul_hi_u32 v9, s24, v5
	v_mul_lo_u32 v12, v5, s20
	v_add_nc_u32_e32 v9, v5, v9
	s_delay_alu instid0(VALU_DEP_2) | instskip(NEXT) | instid1(VALU_DEP_2)
	v_sub_nc_u32_e32 v12, v4, v12
	v_lshrrev_b32_e32 v9, s25, v9
	s_delay_alu instid0(VALU_DEP_2) | instskip(NEXT) | instid1(VALU_DEP_2)
	v_mul_lo_u32 v12, v12, s28
	v_mul_hi_u32 v10, s27, v9
	v_mul_lo_u32 v13, v9, s23
	s_delay_alu instid0(VALU_DEP_2) | instskip(NEXT) | instid1(VALU_DEP_2)
	v_add_nc_u32_e32 v10, v9, v10
	v_sub_nc_u32_e32 v5, v5, v13
	s_delay_alu instid0(VALU_DEP_2) | instskip(NEXT) | instid1(VALU_DEP_2)
	v_lshrrev_b32_e32 v10, s12, v10
	v_mul_lo_u32 v5, v5, s29
	s_delay_alu instid0(VALU_DEP_2) | instskip(NEXT) | instid1(VALU_DEP_2)
	v_mul_hi_u32 v11, s14, v10
	v_add3_u32 v2, v12, v2, v5
	s_delay_alu instid0(VALU_DEP_2) | instskip(NEXT) | instid1(VALU_DEP_1)
	v_add_nc_u32_e32 v11, v10, v11
	v_lshrrev_b32_e32 v4, s15, v11
	v_mul_lo_u32 v11, v10, s26
	s_delay_alu instid0(VALU_DEP_2) | instskip(NEXT) | instid1(VALU_DEP_2)
	v_mul_lo_u32 v14, v4, s13
	v_sub_nc_u32_e32 v9, v9, v11
	s_delay_alu instid0(VALU_DEP_2) | instskip(NEXT) | instid1(VALU_DEP_2)
	v_sub_nc_u32_e32 v10, v10, v14
	v_mul_lo_u32 v9, v9, s30
	s_delay_alu instid0(VALU_DEP_2) | instskip(NEXT) | instid1(VALU_DEP_1)
	v_mul_lo_u32 v10, v10, s31
	v_add3_u32 v2, v9, v2, v10
	s_cbranch_scc1 .LBB125_46
; %bb.47:
	s_and_b32 s7, s7, 3
	s_delay_alu instid0(SALU_CYCLE_1)
	s_cmp_eq_u32 s7, 0
	s_cbranch_scc0 .LBB125_50
	s_branch .LBB125_52
.LBB125_48:
	s_mov_b32 s6, -1
                                        ; implicit-def: $vgpr2
	s_branch .LBB125_52
.LBB125_49:
	v_mov_b32_e32 v4, v3
	s_and_b32 s7, s7, 3
	s_delay_alu instid0(SALU_CYCLE_1)
	s_cmp_eq_u32 s7, 0
	s_cbranch_scc1 .LBB125_52
.LBB125_50:
	s_lshl_b32 s2, s8, 2
	s_mul_i32 s4, s8, 12
	s_add_u32 s2, s2, s0
	s_addc_u32 s3, 0, s1
	s_add_u32 s2, s2, 0xc4
	s_addc_u32 s3, s3, 0
	;; [unrolled: 2-line block ×3, first 2 shown]
	.p2align	6
.LBB125_51:                             ; =>This Inner Loop Header: Depth=1
	s_clause 0x1
	s_load_b64 s[8:9], s[4:5], 0x4
	s_load_b32 s10, s[4:5], 0xc
	s_add_u32 s4, s4, 12
	s_addc_u32 s5, s5, 0
	s_waitcnt lgkmcnt(0)
	v_mul_hi_u32 v5, s9, v4
	s_load_b32 s9, s[2:3], 0x0
	s_add_u32 s2, s2, 4
	s_addc_u32 s3, s3, 0
	s_add_i32 s7, s7, -1
	s_delay_alu instid0(SALU_CYCLE_1) | instskip(NEXT) | instid1(VALU_DEP_1)
	s_cmp_lg_u32 s7, 0
	v_add_nc_u32_e32 v5, v4, v5
	s_delay_alu instid0(VALU_DEP_1) | instskip(NEXT) | instid1(VALU_DEP_1)
	v_lshrrev_b32_e32 v5, s10, v5
	v_mul_lo_u32 v9, v5, s8
	s_delay_alu instid0(VALU_DEP_1) | instskip(SKIP_1) | instid1(VALU_DEP_1)
	v_sub_nc_u32_e32 v4, v4, v9
	s_waitcnt lgkmcnt(0)
	v_mad_u64_u32 v[9:10], null, v4, s9, v[2:3]
	v_mov_b32_e32 v4, v5
	s_delay_alu instid0(VALU_DEP_2)
	v_mov_b32_e32 v2, v9
	s_cbranch_scc1 .LBB125_51
.LBB125_52:
	s_and_not1_b32 vcc_lo, exec_lo, s6
	s_cbranch_vccnz .LBB125_55
; %bb.53:
	s_clause 0x1
	s_load_b128 s[4:7], s[0:1], 0x4
	s_load_b32 s2, s[0:1], 0xc4
	s_cmp_lt_u32 s18, 2
	s_waitcnt lgkmcnt(0)
	v_mul_hi_u32 v2, s5, v3
	s_delay_alu instid0(VALU_DEP_1) | instskip(NEXT) | instid1(VALU_DEP_1)
	v_add_nc_u32_e32 v2, v3, v2
	v_lshrrev_b32_e32 v4, s6, v2
	s_delay_alu instid0(VALU_DEP_1) | instskip(NEXT) | instid1(VALU_DEP_1)
	v_mul_lo_u32 v2, v4, s4
	v_sub_nc_u32_e32 v2, v3, v2
	s_delay_alu instid0(VALU_DEP_1)
	v_mul_lo_u32 v2, v2, s2
	s_cbranch_scc1 .LBB125_55
; %bb.54:
	s_clause 0x1
	s_load_b128 s[4:7], s[0:1], 0x10
	s_load_b32 s2, s[0:1], 0xc8
	s_waitcnt lgkmcnt(0)
	v_mul_hi_u32 v3, s5, v4
	s_delay_alu instid0(VALU_DEP_1) | instskip(NEXT) | instid1(VALU_DEP_1)
	v_add_nc_u32_e32 v3, v4, v3
	v_lshrrev_b32_e32 v3, s6, v3
	s_delay_alu instid0(VALU_DEP_1) | instskip(NEXT) | instid1(VALU_DEP_1)
	v_mul_lo_u32 v3, v3, s4
	v_sub_nc_u32_e32 v5, v4, v3
	s_delay_alu instid0(VALU_DEP_1) | instskip(NEXT) | instid1(VALU_DEP_1)
	v_mad_u64_u32 v[3:4], null, v5, s2, v[2:3]
	v_mov_b32_e32 v2, v3
.LBB125_55:
	v_cmp_ne_u32_e32 vcc_lo, 1, v7
	v_add_nc_u32_e32 v4, 0x180, v6
	s_cbranch_vccnz .LBB125_61
; %bb.56:
	v_mov_b32_e32 v3, 0
	s_cmp_eq_u32 s18, 0
	s_mov_b32 s6, 0
	s_cbranch_scc1 .LBB125_65
; %bb.57:
	s_min_u32 s7, s19, 15
	v_mov_b32_e32 v3, 0
	s_add_i32 s7, s7, 1
	s_cmp_eq_u32 s19, 2
	s_mov_b32 s8, 0
	s_cbranch_scc1 .LBB125_62
; %bb.58:
	v_mov_b32_e32 v3, 0
	v_mov_b32_e32 v5, v4
	s_add_u32 s2, s0, 0xc4
	s_addc_u32 s3, s1, 0
	s_and_b32 s8, s7, 28
	s_mov_b32 s9, 0
	s_mov_b64 s[4:5], s[0:1]
.LBB125_59:                             ; =>This Inner Loop Header: Depth=1
	s_clause 0x1
	s_load_b256 s[20:27], s[4:5], 0x4
	s_load_b128 s[12:15], s[4:5], 0x24
	s_load_b128 s[28:31], s[2:3], 0x0
	s_add_u32 s4, s4, 48
	s_addc_u32 s5, s5, 0
	s_add_i32 s9, s9, 4
	s_add_u32 s2, s2, 16
	s_addc_u32 s3, s3, 0
	s_cmp_lg_u32 s8, s9
	s_waitcnt lgkmcnt(0)
	v_mul_hi_u32 v9, s21, v5
	s_delay_alu instid0(VALU_DEP_1) | instskip(NEXT) | instid1(VALU_DEP_1)
	v_add_nc_u32_e32 v9, v5, v9
	v_lshrrev_b32_e32 v9, s22, v9
	s_delay_alu instid0(VALU_DEP_1) | instskip(SKIP_1) | instid1(VALU_DEP_2)
	v_mul_hi_u32 v10, s24, v9
	v_mul_lo_u32 v13, v9, s20
	v_add_nc_u32_e32 v10, v9, v10
	s_delay_alu instid0(VALU_DEP_2) | instskip(NEXT) | instid1(VALU_DEP_2)
	v_sub_nc_u32_e32 v13, v5, v13
	v_lshrrev_b32_e32 v10, s25, v10
	s_delay_alu instid0(VALU_DEP_2) | instskip(NEXT) | instid1(VALU_DEP_2)
	v_mul_lo_u32 v13, v13, s28
	v_mul_hi_u32 v11, s27, v10
	v_mul_lo_u32 v14, v10, s23
	s_delay_alu instid0(VALU_DEP_2) | instskip(NEXT) | instid1(VALU_DEP_2)
	v_add_nc_u32_e32 v11, v10, v11
	v_sub_nc_u32_e32 v9, v9, v14
	s_delay_alu instid0(VALU_DEP_2) | instskip(NEXT) | instid1(VALU_DEP_2)
	v_lshrrev_b32_e32 v11, s12, v11
	v_mul_lo_u32 v9, v9, s29
	s_delay_alu instid0(VALU_DEP_2) | instskip(NEXT) | instid1(VALU_DEP_2)
	v_mul_hi_u32 v12, s14, v11
	v_add3_u32 v3, v13, v3, v9
	s_delay_alu instid0(VALU_DEP_2) | instskip(NEXT) | instid1(VALU_DEP_1)
	v_add_nc_u32_e32 v12, v11, v12
	v_lshrrev_b32_e32 v5, s15, v12
	v_mul_lo_u32 v12, v11, s26
	s_delay_alu instid0(VALU_DEP_2) | instskip(NEXT) | instid1(VALU_DEP_2)
	v_mul_lo_u32 v15, v5, s13
	v_sub_nc_u32_e32 v10, v10, v12
	s_delay_alu instid0(VALU_DEP_2) | instskip(NEXT) | instid1(VALU_DEP_2)
	v_sub_nc_u32_e32 v11, v11, v15
	v_mul_lo_u32 v10, v10, s30
	s_delay_alu instid0(VALU_DEP_2) | instskip(NEXT) | instid1(VALU_DEP_1)
	v_mul_lo_u32 v11, v11, s31
	v_add3_u32 v3, v10, v3, v11
	s_cbranch_scc1 .LBB125_59
; %bb.60:
	s_and_b32 s7, s7, 3
	s_delay_alu instid0(SALU_CYCLE_1)
	s_cmp_eq_u32 s7, 0
	s_cbranch_scc0 .LBB125_63
	s_branch .LBB125_65
.LBB125_61:
	s_mov_b32 s6, -1
                                        ; implicit-def: $vgpr3
	s_branch .LBB125_65
.LBB125_62:
	v_mov_b32_e32 v5, v4
	s_and_b32 s7, s7, 3
	s_delay_alu instid0(SALU_CYCLE_1)
	s_cmp_eq_u32 s7, 0
	s_cbranch_scc1 .LBB125_65
.LBB125_63:
	s_lshl_b32 s2, s8, 2
	s_mul_i32 s4, s8, 12
	s_add_u32 s2, s2, s0
	s_addc_u32 s3, 0, s1
	s_add_u32 s2, s2, 0xc4
	s_addc_u32 s3, s3, 0
	;; [unrolled: 2-line block ×3, first 2 shown]
	.p2align	6
.LBB125_64:                             ; =>This Inner Loop Header: Depth=1
	s_clause 0x1
	s_load_b64 s[8:9], s[4:5], 0x4
	s_load_b32 s10, s[4:5], 0xc
	s_add_u32 s4, s4, 12
	s_addc_u32 s5, s5, 0
	s_waitcnt lgkmcnt(0)
	v_mul_hi_u32 v9, s9, v5
	s_load_b32 s9, s[2:3], 0x0
	s_add_u32 s2, s2, 4
	s_addc_u32 s3, s3, 0
	s_add_i32 s7, s7, -1
	s_delay_alu instid0(SALU_CYCLE_1) | instskip(NEXT) | instid1(VALU_DEP_1)
	s_cmp_lg_u32 s7, 0
	v_add_nc_u32_e32 v9, v5, v9
	s_delay_alu instid0(VALU_DEP_1) | instskip(NEXT) | instid1(VALU_DEP_1)
	v_lshrrev_b32_e32 v11, s10, v9
	v_mul_lo_u32 v9, v11, s8
	s_delay_alu instid0(VALU_DEP_1) | instskip(SKIP_1) | instid1(VALU_DEP_1)
	v_sub_nc_u32_e32 v5, v5, v9
	s_waitcnt lgkmcnt(0)
	v_mad_u64_u32 v[9:10], null, v5, s9, v[3:4]
	v_mov_b32_e32 v5, v11
	s_delay_alu instid0(VALU_DEP_2)
	v_mov_b32_e32 v3, v9
	s_cbranch_scc1 .LBB125_64
.LBB125_65:
	s_and_not1_b32 vcc_lo, exec_lo, s6
	s_cbranch_vccnz .LBB125_68
; %bb.66:
	s_clause 0x1
	s_load_b128 s[4:7], s[0:1], 0x4
	s_load_b32 s2, s[0:1], 0xc4
	s_cmp_lt_u32 s18, 2
	s_waitcnt lgkmcnt(0)
	v_mul_hi_u32 v3, s5, v4
	s_delay_alu instid0(VALU_DEP_1) | instskip(NEXT) | instid1(VALU_DEP_1)
	v_add_nc_u32_e32 v3, v4, v3
	v_lshrrev_b32_e32 v5, s6, v3
	s_delay_alu instid0(VALU_DEP_1) | instskip(NEXT) | instid1(VALU_DEP_1)
	v_mul_lo_u32 v3, v5, s4
	v_sub_nc_u32_e32 v3, v4, v3
	s_delay_alu instid0(VALU_DEP_1)
	v_mul_lo_u32 v3, v3, s2
	s_cbranch_scc1 .LBB125_68
; %bb.67:
	s_clause 0x1
	s_load_b128 s[4:7], s[0:1], 0x10
	s_load_b32 s2, s[0:1], 0xc8
	s_waitcnt lgkmcnt(0)
	v_mul_hi_u32 v4, s5, v5
	s_delay_alu instid0(VALU_DEP_1) | instskip(NEXT) | instid1(VALU_DEP_1)
	v_add_nc_u32_e32 v4, v5, v4
	v_lshrrev_b32_e32 v4, s6, v4
	s_delay_alu instid0(VALU_DEP_1) | instskip(NEXT) | instid1(VALU_DEP_1)
	v_mul_lo_u32 v4, v4, s4
	v_sub_nc_u32_e32 v9, v5, v4
	s_delay_alu instid0(VALU_DEP_1) | instskip(NEXT) | instid1(VALU_DEP_1)
	v_mad_u64_u32 v[4:5], null, v9, s2, v[3:4]
	v_mov_b32_e32 v3, v4
.LBB125_68:
	v_cmp_ne_u32_e32 vcc_lo, 1, v7
	v_add_nc_u32_e32 v5, 0x200, v6
	s_cbranch_vccnz .LBB125_74
; %bb.69:
	v_mov_b32_e32 v4, 0
	s_cmp_eq_u32 s18, 0
	s_mov_b32 s6, 0
	s_cbranch_scc1 .LBB125_78
; %bb.70:
	s_min_u32 s7, s19, 15
	v_mov_b32_e32 v4, 0
	s_add_i32 s7, s7, 1
	s_cmp_eq_u32 s19, 2
	s_mov_b32 s8, 0
	s_cbranch_scc1 .LBB125_75
; %bb.71:
	v_dual_mov_b32 v4, 0 :: v_dual_mov_b32 v9, v5
	s_add_u32 s2, s0, 0xc4
	s_addc_u32 s3, s1, 0
	s_and_b32 s8, s7, 28
	s_mov_b32 s9, 0
	s_mov_b64 s[4:5], s[0:1]
.LBB125_72:                             ; =>This Inner Loop Header: Depth=1
	s_clause 0x1
	s_load_b256 s[20:27], s[4:5], 0x4
	s_load_b128 s[12:15], s[4:5], 0x24
	s_load_b128 s[28:31], s[2:3], 0x0
	s_add_u32 s4, s4, 48
	s_addc_u32 s5, s5, 0
	s_add_i32 s9, s9, 4
	s_add_u32 s2, s2, 16
	s_addc_u32 s3, s3, 0
	s_cmp_lg_u32 s8, s9
	s_waitcnt lgkmcnt(0)
	v_mul_hi_u32 v10, s21, v9
	s_delay_alu instid0(VALU_DEP_1) | instskip(NEXT) | instid1(VALU_DEP_1)
	v_add_nc_u32_e32 v10, v9, v10
	v_lshrrev_b32_e32 v10, s22, v10
	s_delay_alu instid0(VALU_DEP_1) | instskip(SKIP_1) | instid1(VALU_DEP_2)
	v_mul_hi_u32 v11, s24, v10
	v_mul_lo_u32 v14, v10, s20
	v_add_nc_u32_e32 v11, v10, v11
	s_delay_alu instid0(VALU_DEP_2) | instskip(NEXT) | instid1(VALU_DEP_2)
	v_sub_nc_u32_e32 v14, v9, v14
	v_lshrrev_b32_e32 v11, s25, v11
	s_delay_alu instid0(VALU_DEP_2) | instskip(NEXT) | instid1(VALU_DEP_2)
	v_mul_lo_u32 v14, v14, s28
	v_mul_hi_u32 v12, s27, v11
	v_mul_lo_u32 v15, v11, s23
	s_delay_alu instid0(VALU_DEP_2) | instskip(NEXT) | instid1(VALU_DEP_2)
	v_add_nc_u32_e32 v12, v11, v12
	v_sub_nc_u32_e32 v10, v10, v15
	s_delay_alu instid0(VALU_DEP_2) | instskip(NEXT) | instid1(VALU_DEP_2)
	v_lshrrev_b32_e32 v12, s12, v12
	v_mul_lo_u32 v10, v10, s29
	s_delay_alu instid0(VALU_DEP_2) | instskip(NEXT) | instid1(VALU_DEP_2)
	v_mul_hi_u32 v13, s14, v12
	v_add3_u32 v4, v14, v4, v10
	s_delay_alu instid0(VALU_DEP_2) | instskip(NEXT) | instid1(VALU_DEP_1)
	v_add_nc_u32_e32 v13, v12, v13
	v_lshrrev_b32_e32 v9, s15, v13
	v_mul_lo_u32 v13, v12, s26
	s_delay_alu instid0(VALU_DEP_2) | instskip(NEXT) | instid1(VALU_DEP_2)
	v_mul_lo_u32 v16, v9, s13
	v_sub_nc_u32_e32 v11, v11, v13
	s_delay_alu instid0(VALU_DEP_2) | instskip(NEXT) | instid1(VALU_DEP_2)
	v_sub_nc_u32_e32 v12, v12, v16
	v_mul_lo_u32 v11, v11, s30
	s_delay_alu instid0(VALU_DEP_2) | instskip(NEXT) | instid1(VALU_DEP_1)
	v_mul_lo_u32 v12, v12, s31
	v_add3_u32 v4, v11, v4, v12
	s_cbranch_scc1 .LBB125_72
; %bb.73:
	s_and_b32 s7, s7, 3
	s_delay_alu instid0(SALU_CYCLE_1)
	s_cmp_eq_u32 s7, 0
	s_cbranch_scc0 .LBB125_76
	s_branch .LBB125_78
.LBB125_74:
	s_mov_b32 s6, -1
                                        ; implicit-def: $vgpr4
	s_branch .LBB125_78
.LBB125_75:
	v_mov_b32_e32 v9, v5
	s_and_b32 s7, s7, 3
	s_delay_alu instid0(SALU_CYCLE_1)
	s_cmp_eq_u32 s7, 0
	s_cbranch_scc1 .LBB125_78
.LBB125_76:
	s_lshl_b32 s2, s8, 2
	s_mul_i32 s4, s8, 12
	s_add_u32 s2, s2, s0
	s_addc_u32 s3, 0, s1
	s_add_u32 s2, s2, 0xc4
	s_addc_u32 s3, s3, 0
	;; [unrolled: 2-line block ×3, first 2 shown]
	.p2align	6
.LBB125_77:                             ; =>This Inner Loop Header: Depth=1
	s_clause 0x1
	s_load_b64 s[8:9], s[4:5], 0x4
	s_load_b32 s10, s[4:5], 0xc
	s_add_u32 s4, s4, 12
	s_addc_u32 s5, s5, 0
	s_waitcnt lgkmcnt(0)
	v_mul_hi_u32 v10, s9, v9
	s_load_b32 s9, s[2:3], 0x0
	s_add_u32 s2, s2, 4
	s_addc_u32 s3, s3, 0
	s_add_i32 s7, s7, -1
	s_delay_alu instid0(SALU_CYCLE_1) | instskip(NEXT) | instid1(VALU_DEP_1)
	s_cmp_lg_u32 s7, 0
	v_add_nc_u32_e32 v10, v9, v10
	s_delay_alu instid0(VALU_DEP_1) | instskip(NEXT) | instid1(VALU_DEP_1)
	v_lshrrev_b32_e32 v12, s10, v10
	v_mul_lo_u32 v10, v12, s8
	s_delay_alu instid0(VALU_DEP_1) | instskip(SKIP_1) | instid1(VALU_DEP_1)
	v_sub_nc_u32_e32 v9, v9, v10
	s_waitcnt lgkmcnt(0)
	v_mad_u64_u32 v[10:11], null, v9, s9, v[4:5]
	s_delay_alu instid0(VALU_DEP_1)
	v_dual_mov_b32 v9, v12 :: v_dual_mov_b32 v4, v10
	s_cbranch_scc1 .LBB125_77
.LBB125_78:
	s_and_not1_b32 vcc_lo, exec_lo, s6
	s_cbranch_vccnz .LBB125_81
; %bb.79:
	s_clause 0x1
	s_load_b128 s[4:7], s[0:1], 0x4
	s_load_b32 s2, s[0:1], 0xc4
	s_cmp_lt_u32 s18, 2
	s_waitcnt lgkmcnt(0)
	v_mul_hi_u32 v4, s5, v5
	s_delay_alu instid0(VALU_DEP_1) | instskip(NEXT) | instid1(VALU_DEP_1)
	v_add_nc_u32_e32 v4, v5, v4
	v_lshrrev_b32_e32 v9, s6, v4
	s_delay_alu instid0(VALU_DEP_1) | instskip(NEXT) | instid1(VALU_DEP_1)
	v_mul_lo_u32 v4, v9, s4
	v_sub_nc_u32_e32 v4, v5, v4
	s_delay_alu instid0(VALU_DEP_1)
	v_mul_lo_u32 v4, v4, s2
	s_cbranch_scc1 .LBB125_81
; %bb.80:
	s_clause 0x1
	s_load_b128 s[4:7], s[0:1], 0x10
	s_load_b32 s2, s[0:1], 0xc8
	s_waitcnt lgkmcnt(0)
	v_mul_hi_u32 v5, s5, v9
	s_delay_alu instid0(VALU_DEP_1) | instskip(NEXT) | instid1(VALU_DEP_1)
	v_add_nc_u32_e32 v5, v9, v5
	v_lshrrev_b32_e32 v5, s6, v5
	s_delay_alu instid0(VALU_DEP_1) | instskip(NEXT) | instid1(VALU_DEP_1)
	v_mul_lo_u32 v5, v5, s4
	v_sub_nc_u32_e32 v5, v9, v5
	s_delay_alu instid0(VALU_DEP_1) | instskip(NEXT) | instid1(VALU_DEP_1)
	v_mad_u64_u32 v[9:10], null, v5, s2, v[4:5]
	v_mov_b32_e32 v4, v9
.LBB125_81:
	v_cmp_ne_u32_e32 vcc_lo, 1, v7
	v_add_nc_u32_e32 v9, 0x280, v6
	s_cbranch_vccnz .LBB125_87
; %bb.82:
	v_mov_b32_e32 v5, 0
	s_cmp_eq_u32 s18, 0
	s_mov_b32 s6, 0
	s_cbranch_scc1 .LBB125_91
; %bb.83:
	s_min_u32 s7, s19, 15
	v_mov_b32_e32 v5, 0
	s_add_i32 s7, s7, 1
	s_cmp_eq_u32 s19, 2
	s_mov_b32 s8, 0
	s_cbranch_scc1 .LBB125_88
; %bb.84:
	v_dual_mov_b32 v5, 0 :: v_dual_mov_b32 v10, v9
	s_add_u32 s2, s0, 0xc4
	s_addc_u32 s3, s1, 0
	s_and_b32 s8, s7, 28
	s_mov_b32 s9, 0
	s_mov_b64 s[4:5], s[0:1]
.LBB125_85:                             ; =>This Inner Loop Header: Depth=1
	s_clause 0x1
	s_load_b256 s[20:27], s[4:5], 0x4
	s_load_b128 s[12:15], s[4:5], 0x24
	s_load_b128 s[28:31], s[2:3], 0x0
	s_add_u32 s4, s4, 48
	s_addc_u32 s5, s5, 0
	s_add_i32 s9, s9, 4
	s_add_u32 s2, s2, 16
	s_addc_u32 s3, s3, 0
	s_cmp_lg_u32 s8, s9
	s_waitcnt lgkmcnt(0)
	v_mul_hi_u32 v11, s21, v10
	s_delay_alu instid0(VALU_DEP_1) | instskip(NEXT) | instid1(VALU_DEP_1)
	v_add_nc_u32_e32 v11, v10, v11
	v_lshrrev_b32_e32 v11, s22, v11
	s_delay_alu instid0(VALU_DEP_1) | instskip(SKIP_1) | instid1(VALU_DEP_2)
	v_mul_hi_u32 v12, s24, v11
	v_mul_lo_u32 v15, v11, s20
	v_add_nc_u32_e32 v12, v11, v12
	s_delay_alu instid0(VALU_DEP_2) | instskip(NEXT) | instid1(VALU_DEP_2)
	v_sub_nc_u32_e32 v15, v10, v15
	v_lshrrev_b32_e32 v12, s25, v12
	s_delay_alu instid0(VALU_DEP_2) | instskip(NEXT) | instid1(VALU_DEP_2)
	v_mul_lo_u32 v15, v15, s28
	v_mul_hi_u32 v13, s27, v12
	v_mul_lo_u32 v16, v12, s23
	s_delay_alu instid0(VALU_DEP_2) | instskip(NEXT) | instid1(VALU_DEP_2)
	v_add_nc_u32_e32 v13, v12, v13
	v_sub_nc_u32_e32 v11, v11, v16
	s_delay_alu instid0(VALU_DEP_2) | instskip(NEXT) | instid1(VALU_DEP_2)
	v_lshrrev_b32_e32 v13, s12, v13
	v_mul_lo_u32 v11, v11, s29
	s_delay_alu instid0(VALU_DEP_2) | instskip(NEXT) | instid1(VALU_DEP_2)
	v_mul_hi_u32 v14, s14, v13
	v_add3_u32 v5, v15, v5, v11
	s_delay_alu instid0(VALU_DEP_2) | instskip(NEXT) | instid1(VALU_DEP_1)
	v_add_nc_u32_e32 v14, v13, v14
	v_lshrrev_b32_e32 v10, s15, v14
	v_mul_lo_u32 v14, v13, s26
	s_delay_alu instid0(VALU_DEP_2) | instskip(NEXT) | instid1(VALU_DEP_2)
	v_mul_lo_u32 v17, v10, s13
	v_sub_nc_u32_e32 v12, v12, v14
	s_delay_alu instid0(VALU_DEP_2) | instskip(NEXT) | instid1(VALU_DEP_2)
	v_sub_nc_u32_e32 v13, v13, v17
	v_mul_lo_u32 v12, v12, s30
	s_delay_alu instid0(VALU_DEP_2) | instskip(NEXT) | instid1(VALU_DEP_1)
	v_mul_lo_u32 v13, v13, s31
	v_add3_u32 v5, v12, v5, v13
	s_cbranch_scc1 .LBB125_85
; %bb.86:
	s_and_b32 s7, s7, 3
	s_delay_alu instid0(SALU_CYCLE_1)
	s_cmp_eq_u32 s7, 0
	s_cbranch_scc0 .LBB125_89
	s_branch .LBB125_91
.LBB125_87:
	s_mov_b32 s6, -1
                                        ; implicit-def: $vgpr5
	s_branch .LBB125_91
.LBB125_88:
	v_mov_b32_e32 v10, v9
	s_and_b32 s7, s7, 3
	s_delay_alu instid0(SALU_CYCLE_1)
	s_cmp_eq_u32 s7, 0
	s_cbranch_scc1 .LBB125_91
.LBB125_89:
	s_lshl_b32 s2, s8, 2
	s_mul_i32 s4, s8, 12
	s_add_u32 s2, s2, s0
	s_addc_u32 s3, 0, s1
	s_add_u32 s2, s2, 0xc4
	s_addc_u32 s3, s3, 0
	;; [unrolled: 2-line block ×3, first 2 shown]
	.p2align	6
.LBB125_90:                             ; =>This Inner Loop Header: Depth=1
	s_clause 0x1
	s_load_b64 s[8:9], s[4:5], 0x4
	s_load_b32 s10, s[4:5], 0xc
	s_add_u32 s4, s4, 12
	s_addc_u32 s5, s5, 0
	s_waitcnt lgkmcnt(0)
	v_mul_hi_u32 v11, s9, v10
	s_load_b32 s9, s[2:3], 0x0
	s_add_u32 s2, s2, 4
	s_addc_u32 s3, s3, 0
	s_add_i32 s7, s7, -1
	s_delay_alu instid0(SALU_CYCLE_1) | instskip(NEXT) | instid1(VALU_DEP_1)
	s_cmp_lg_u32 s7, 0
	v_add_nc_u32_e32 v11, v10, v11
	s_delay_alu instid0(VALU_DEP_1) | instskip(NEXT) | instid1(VALU_DEP_1)
	v_lshrrev_b32_e32 v13, s10, v11
	v_mul_lo_u32 v11, v13, s8
	s_delay_alu instid0(VALU_DEP_1) | instskip(SKIP_1) | instid1(VALU_DEP_1)
	v_sub_nc_u32_e32 v10, v10, v11
	s_waitcnt lgkmcnt(0)
	v_mad_u64_u32 v[11:12], null, v10, s9, v[5:6]
	s_delay_alu instid0(VALU_DEP_1)
	v_dual_mov_b32 v10, v13 :: v_dual_mov_b32 v5, v11
	s_cbranch_scc1 .LBB125_90
.LBB125_91:
	s_and_not1_b32 vcc_lo, exec_lo, s6
	s_cbranch_vccnz .LBB125_94
; %bb.92:
	s_clause 0x1
	s_load_b128 s[4:7], s[0:1], 0x4
	s_load_b32 s2, s[0:1], 0xc4
	s_cmp_lt_u32 s18, 2
	s_waitcnt lgkmcnt(0)
	v_mul_hi_u32 v5, s5, v9
	s_delay_alu instid0(VALU_DEP_1) | instskip(NEXT) | instid1(VALU_DEP_1)
	v_add_nc_u32_e32 v5, v9, v5
	v_lshrrev_b32_e32 v10, s6, v5
	s_delay_alu instid0(VALU_DEP_1) | instskip(NEXT) | instid1(VALU_DEP_1)
	v_mul_lo_u32 v5, v10, s4
	v_sub_nc_u32_e32 v5, v9, v5
	s_delay_alu instid0(VALU_DEP_1)
	v_mul_lo_u32 v5, v5, s2
	s_cbranch_scc1 .LBB125_94
; %bb.93:
	s_clause 0x1
	s_load_b128 s[4:7], s[0:1], 0x10
	s_load_b32 s2, s[0:1], 0xc8
	s_waitcnt lgkmcnt(0)
	v_mul_hi_u32 v9, s5, v10
	s_delay_alu instid0(VALU_DEP_1) | instskip(NEXT) | instid1(VALU_DEP_1)
	v_add_nc_u32_e32 v9, v10, v9
	v_lshrrev_b32_e32 v9, s6, v9
	s_delay_alu instid0(VALU_DEP_1) | instskip(NEXT) | instid1(VALU_DEP_1)
	v_mul_lo_u32 v9, v9, s4
	v_sub_nc_u32_e32 v11, v10, v9
	s_delay_alu instid0(VALU_DEP_1) | instskip(NEXT) | instid1(VALU_DEP_1)
	v_mad_u64_u32 v[9:10], null, v11, s2, v[5:6]
	v_mov_b32_e32 v5, v9
.LBB125_94:
	v_cmp_ne_u32_e32 vcc_lo, 1, v7
	v_add_nc_u32_e32 v9, 0x300, v6
	s_cbranch_vccnz .LBB125_100
; %bb.95:
	v_mov_b32_e32 v6, 0
	s_cmp_eq_u32 s18, 0
	s_mov_b32 s6, 0
	s_cbranch_scc1 .LBB125_104
; %bb.96:
	s_min_u32 s7, s19, 15
	v_mov_b32_e32 v6, 0
	s_add_i32 s7, s7, 1
	s_cmp_eq_u32 s19, 2
	s_mov_b32 s8, 0
	s_cbranch_scc1 .LBB125_101
; %bb.97:
	v_mov_b32_e32 v6, 0
	v_mov_b32_e32 v10, v9
	s_add_u32 s2, s0, 0xc4
	s_addc_u32 s3, s1, 0
	s_and_b32 s8, s7, 28
	s_mov_b32 s9, 0
	s_mov_b64 s[4:5], s[0:1]
.LBB125_98:                             ; =>This Inner Loop Header: Depth=1
	s_clause 0x1
	s_load_b256 s[20:27], s[4:5], 0x4
	s_load_b128 s[12:15], s[4:5], 0x24
	s_load_b128 s[28:31], s[2:3], 0x0
	s_add_u32 s4, s4, 48
	s_addc_u32 s5, s5, 0
	s_add_i32 s9, s9, 4
	s_add_u32 s2, s2, 16
	s_addc_u32 s3, s3, 0
	s_cmp_lg_u32 s8, s9
	s_waitcnt lgkmcnt(0)
	v_mul_hi_u32 v11, s21, v10
	s_delay_alu instid0(VALU_DEP_1) | instskip(NEXT) | instid1(VALU_DEP_1)
	v_add_nc_u32_e32 v11, v10, v11
	v_lshrrev_b32_e32 v11, s22, v11
	s_delay_alu instid0(VALU_DEP_1) | instskip(SKIP_1) | instid1(VALU_DEP_2)
	v_mul_hi_u32 v12, s24, v11
	v_mul_lo_u32 v15, v11, s20
	v_add_nc_u32_e32 v12, v11, v12
	s_delay_alu instid0(VALU_DEP_2) | instskip(NEXT) | instid1(VALU_DEP_2)
	v_sub_nc_u32_e32 v15, v10, v15
	v_lshrrev_b32_e32 v12, s25, v12
	s_delay_alu instid0(VALU_DEP_2) | instskip(NEXT) | instid1(VALU_DEP_2)
	v_mul_lo_u32 v15, v15, s28
	v_mul_hi_u32 v13, s27, v12
	v_mul_lo_u32 v16, v12, s23
	s_delay_alu instid0(VALU_DEP_2) | instskip(NEXT) | instid1(VALU_DEP_2)
	v_add_nc_u32_e32 v13, v12, v13
	v_sub_nc_u32_e32 v11, v11, v16
	s_delay_alu instid0(VALU_DEP_2) | instskip(NEXT) | instid1(VALU_DEP_2)
	v_lshrrev_b32_e32 v13, s12, v13
	v_mul_lo_u32 v11, v11, s29
	s_delay_alu instid0(VALU_DEP_2) | instskip(NEXT) | instid1(VALU_DEP_2)
	v_mul_hi_u32 v14, s14, v13
	v_add3_u32 v6, v15, v6, v11
	s_delay_alu instid0(VALU_DEP_2) | instskip(NEXT) | instid1(VALU_DEP_1)
	v_add_nc_u32_e32 v14, v13, v14
	v_lshrrev_b32_e32 v10, s15, v14
	v_mul_lo_u32 v14, v13, s26
	s_delay_alu instid0(VALU_DEP_2) | instskip(NEXT) | instid1(VALU_DEP_2)
	v_mul_lo_u32 v17, v10, s13
	v_sub_nc_u32_e32 v12, v12, v14
	s_delay_alu instid0(VALU_DEP_2) | instskip(NEXT) | instid1(VALU_DEP_2)
	v_sub_nc_u32_e32 v13, v13, v17
	v_mul_lo_u32 v12, v12, s30
	s_delay_alu instid0(VALU_DEP_2) | instskip(NEXT) | instid1(VALU_DEP_1)
	v_mul_lo_u32 v13, v13, s31
	v_add3_u32 v6, v12, v6, v13
	s_cbranch_scc1 .LBB125_98
; %bb.99:
	s_and_b32 s7, s7, 3
	s_delay_alu instid0(SALU_CYCLE_1)
	s_cmp_eq_u32 s7, 0
	s_cbranch_scc0 .LBB125_102
	s_branch .LBB125_104
.LBB125_100:
	s_mov_b32 s6, -1
                                        ; implicit-def: $vgpr6
	s_branch .LBB125_104
.LBB125_101:
	v_mov_b32_e32 v10, v9
	s_and_b32 s7, s7, 3
	s_delay_alu instid0(SALU_CYCLE_1)
	s_cmp_eq_u32 s7, 0
	s_cbranch_scc1 .LBB125_104
.LBB125_102:
	s_lshl_b32 s2, s8, 2
	s_mul_i32 s4, s8, 12
	s_add_u32 s2, s2, s0
	s_addc_u32 s3, 0, s1
	s_add_u32 s2, s2, 0xc4
	s_addc_u32 s3, s3, 0
	;; [unrolled: 2-line block ×3, first 2 shown]
	.p2align	6
.LBB125_103:                            ; =>This Inner Loop Header: Depth=1
	s_clause 0x1
	s_load_b64 s[8:9], s[4:5], 0x4
	s_load_b32 s10, s[4:5], 0xc
	s_add_u32 s4, s4, 12
	s_addc_u32 s5, s5, 0
	s_waitcnt lgkmcnt(0)
	v_mul_hi_u32 v11, s9, v10
	s_load_b32 s9, s[2:3], 0x0
	s_add_u32 s2, s2, 4
	s_addc_u32 s3, s3, 0
	s_add_i32 s7, s7, -1
	s_delay_alu instid0(SALU_CYCLE_1) | instskip(NEXT) | instid1(VALU_DEP_1)
	s_cmp_lg_u32 s7, 0
	v_add_nc_u32_e32 v11, v10, v11
	s_delay_alu instid0(VALU_DEP_1) | instskip(NEXT) | instid1(VALU_DEP_1)
	v_lshrrev_b32_e32 v13, s10, v11
	v_mul_lo_u32 v11, v13, s8
	s_delay_alu instid0(VALU_DEP_1) | instskip(SKIP_1) | instid1(VALU_DEP_1)
	v_sub_nc_u32_e32 v10, v10, v11
	s_waitcnt lgkmcnt(0)
	v_mad_u64_u32 v[11:12], null, v10, s9, v[6:7]
	v_mov_b32_e32 v10, v13
	s_delay_alu instid0(VALU_DEP_2)
	v_mov_b32_e32 v6, v11
	s_cbranch_scc1 .LBB125_103
.LBB125_104:
	s_and_not1_b32 vcc_lo, exec_lo, s6
	s_cbranch_vccnz .LBB125_107
; %bb.105:
	s_clause 0x1
	s_load_b128 s[4:7], s[0:1], 0x4
	s_load_b32 s2, s[0:1], 0xc4
	s_cmp_lt_u32 s18, 2
	s_waitcnt lgkmcnt(0)
	v_mul_hi_u32 v6, s5, v9
	s_delay_alu instid0(VALU_DEP_1) | instskip(NEXT) | instid1(VALU_DEP_1)
	v_add_nc_u32_e32 v6, v9, v6
	v_lshrrev_b32_e32 v10, s6, v6
	s_delay_alu instid0(VALU_DEP_1) | instskip(NEXT) | instid1(VALU_DEP_1)
	v_mul_lo_u32 v6, v10, s4
	v_sub_nc_u32_e32 v6, v9, v6
	s_delay_alu instid0(VALU_DEP_1)
	v_mul_lo_u32 v6, v6, s2
	s_cbranch_scc1 .LBB125_107
; %bb.106:
	s_clause 0x1
	s_load_b128 s[4:7], s[0:1], 0x10
	s_load_b32 s2, s[0:1], 0xc8
	s_waitcnt lgkmcnt(0)
	v_mul_hi_u32 v9, s5, v10
	s_delay_alu instid0(VALU_DEP_1) | instskip(NEXT) | instid1(VALU_DEP_1)
	v_add_nc_u32_e32 v9, v10, v9
	v_lshrrev_b32_e32 v9, s6, v9
	s_delay_alu instid0(VALU_DEP_1) | instskip(NEXT) | instid1(VALU_DEP_1)
	v_mul_lo_u32 v9, v9, s4
	v_sub_nc_u32_e32 v11, v10, v9
	s_delay_alu instid0(VALU_DEP_1) | instskip(NEXT) | instid1(VALU_DEP_1)
	v_mad_u64_u32 v[9:10], null, v11, s2, v[6:7]
	v_mov_b32_e32 v6, v9
.LBB125_107:
	v_cmp_ne_u32_e32 vcc_lo, 1, v7
	s_cbranch_vccnz .LBB125_113
; %bb.108:
	v_mov_b32_e32 v7, 0
	s_cmp_eq_u32 s18, 0
	s_mov_b32 s6, 0
	s_cbranch_scc1 .LBB125_117
; %bb.109:
	s_min_u32 s7, s19, 15
	v_mov_b32_e32 v7, 0
	s_add_i32 s7, s7, 1
	s_cmp_eq_u32 s19, 2
	s_mov_b32 s8, 0
	s_cbranch_scc1 .LBB125_114
; %bb.110:
	v_mov_b32_e32 v7, 0
	v_mov_b32_e32 v9, v8
	s_add_u32 s2, s0, 0xc4
	s_addc_u32 s3, s1, 0
	s_and_b32 s8, s7, 28
	s_mov_b32 s9, 0
	s_mov_b64 s[4:5], s[0:1]
.LBB125_111:                            ; =>This Inner Loop Header: Depth=1
	s_clause 0x1
	s_load_b256 s[20:27], s[4:5], 0x4
	s_load_b128 s[12:15], s[4:5], 0x24
	s_load_b128 s[28:31], s[2:3], 0x0
	s_add_u32 s4, s4, 48
	s_addc_u32 s5, s5, 0
	s_add_i32 s9, s9, 4
	s_add_u32 s2, s2, 16
	s_addc_u32 s3, s3, 0
	s_cmp_lg_u32 s8, s9
	s_waitcnt lgkmcnt(0)
	v_mul_hi_u32 v10, s21, v9
	s_delay_alu instid0(VALU_DEP_1) | instskip(NEXT) | instid1(VALU_DEP_1)
	v_add_nc_u32_e32 v10, v9, v10
	v_lshrrev_b32_e32 v10, s22, v10
	s_delay_alu instid0(VALU_DEP_1) | instskip(SKIP_1) | instid1(VALU_DEP_2)
	v_mul_hi_u32 v11, s24, v10
	v_mul_lo_u32 v14, v10, s20
	v_add_nc_u32_e32 v11, v10, v11
	s_delay_alu instid0(VALU_DEP_2) | instskip(NEXT) | instid1(VALU_DEP_2)
	v_sub_nc_u32_e32 v14, v9, v14
	v_lshrrev_b32_e32 v11, s25, v11
	s_delay_alu instid0(VALU_DEP_2) | instskip(NEXT) | instid1(VALU_DEP_2)
	v_mul_lo_u32 v14, v14, s28
	v_mul_hi_u32 v12, s27, v11
	v_mul_lo_u32 v15, v11, s23
	s_delay_alu instid0(VALU_DEP_2) | instskip(NEXT) | instid1(VALU_DEP_2)
	v_add_nc_u32_e32 v12, v11, v12
	v_sub_nc_u32_e32 v10, v10, v15
	s_delay_alu instid0(VALU_DEP_2) | instskip(NEXT) | instid1(VALU_DEP_2)
	v_lshrrev_b32_e32 v12, s12, v12
	v_mul_lo_u32 v10, v10, s29
	s_delay_alu instid0(VALU_DEP_2) | instskip(NEXT) | instid1(VALU_DEP_2)
	v_mul_hi_u32 v13, s14, v12
	v_add3_u32 v7, v14, v7, v10
	s_delay_alu instid0(VALU_DEP_2) | instskip(NEXT) | instid1(VALU_DEP_1)
	v_add_nc_u32_e32 v13, v12, v13
	v_lshrrev_b32_e32 v9, s15, v13
	v_mul_lo_u32 v13, v12, s26
	s_delay_alu instid0(VALU_DEP_2) | instskip(NEXT) | instid1(VALU_DEP_2)
	v_mul_lo_u32 v16, v9, s13
	v_sub_nc_u32_e32 v11, v11, v13
	s_delay_alu instid0(VALU_DEP_2) | instskip(NEXT) | instid1(VALU_DEP_2)
	v_sub_nc_u32_e32 v12, v12, v16
	v_mul_lo_u32 v11, v11, s30
	s_delay_alu instid0(VALU_DEP_2) | instskip(NEXT) | instid1(VALU_DEP_1)
	v_mul_lo_u32 v12, v12, s31
	v_add3_u32 v7, v11, v7, v12
	s_cbranch_scc1 .LBB125_111
; %bb.112:
	s_and_b32 s7, s7, 3
	s_delay_alu instid0(SALU_CYCLE_1)
	s_cmp_eq_u32 s7, 0
	s_cbranch_scc0 .LBB125_115
	s_branch .LBB125_117
.LBB125_113:
	s_mov_b32 s6, -1
                                        ; implicit-def: $vgpr7
	s_branch .LBB125_117
.LBB125_114:
	v_mov_b32_e32 v9, v8
	s_and_b32 s7, s7, 3
	s_delay_alu instid0(SALU_CYCLE_1)
	s_cmp_eq_u32 s7, 0
	s_cbranch_scc1 .LBB125_117
.LBB125_115:
	s_lshl_b32 s2, s8, 2
	s_mul_i32 s4, s8, 12
	s_add_u32 s2, s2, s0
	s_addc_u32 s3, 0, s1
	s_add_u32 s2, s2, 0xc4
	s_addc_u32 s3, s3, 0
	;; [unrolled: 2-line block ×3, first 2 shown]
	.p2align	6
.LBB125_116:                            ; =>This Inner Loop Header: Depth=1
	s_clause 0x1
	s_load_b64 s[8:9], s[4:5], 0x4
	s_load_b32 s10, s[4:5], 0xc
	s_add_u32 s4, s4, 12
	s_addc_u32 s5, s5, 0
	s_waitcnt lgkmcnt(0)
	v_mul_hi_u32 v10, s9, v9
	s_load_b32 s9, s[2:3], 0x0
	s_add_u32 s2, s2, 4
	s_addc_u32 s3, s3, 0
	s_add_i32 s7, s7, -1
	s_delay_alu instid0(SALU_CYCLE_1) | instskip(NEXT) | instid1(VALU_DEP_1)
	s_cmp_lg_u32 s7, 0
	v_add_nc_u32_e32 v10, v9, v10
	s_delay_alu instid0(VALU_DEP_1) | instskip(NEXT) | instid1(VALU_DEP_1)
	v_lshrrev_b32_e32 v12, s10, v10
	v_mul_lo_u32 v10, v12, s8
	s_delay_alu instid0(VALU_DEP_1) | instskip(SKIP_1) | instid1(VALU_DEP_1)
	v_sub_nc_u32_e32 v9, v9, v10
	s_waitcnt lgkmcnt(0)
	v_mad_u64_u32 v[10:11], null, v9, s9, v[7:8]
	v_mov_b32_e32 v9, v12
	s_delay_alu instid0(VALU_DEP_2)
	v_mov_b32_e32 v7, v10
	s_cbranch_scc1 .LBB125_116
.LBB125_117:
	s_and_not1_b32 vcc_lo, exec_lo, s6
	s_cbranch_vccnz .LBB125_120
; %bb.118:
	s_clause 0x1
	s_load_b128 s[4:7], s[0:1], 0x4
	s_load_b32 s2, s[0:1], 0xc4
	s_cmp_lt_u32 s18, 2
	s_waitcnt lgkmcnt(0)
	v_mul_hi_u32 v7, s5, v8
	s_delay_alu instid0(VALU_DEP_1) | instskip(NEXT) | instid1(VALU_DEP_1)
	v_add_nc_u32_e32 v7, v8, v7
	v_lshrrev_b32_e32 v9, s6, v7
	s_delay_alu instid0(VALU_DEP_1) | instskip(NEXT) | instid1(VALU_DEP_1)
	v_mul_lo_u32 v7, v9, s4
	v_sub_nc_u32_e32 v7, v8, v7
	s_delay_alu instid0(VALU_DEP_1)
	v_mul_lo_u32 v7, v7, s2
	s_cbranch_scc1 .LBB125_120
; %bb.119:
	s_clause 0x1
	s_load_b128 s[4:7], s[0:1], 0x10
	s_load_b32 s2, s[0:1], 0xc8
	s_waitcnt lgkmcnt(0)
	v_mul_hi_u32 v8, s5, v9
	s_delay_alu instid0(VALU_DEP_1) | instskip(NEXT) | instid1(VALU_DEP_1)
	v_add_nc_u32_e32 v8, v9, v8
	v_lshrrev_b32_e32 v8, s6, v8
	s_delay_alu instid0(VALU_DEP_1) | instskip(NEXT) | instid1(VALU_DEP_1)
	v_mul_lo_u32 v8, v8, s4
	v_sub_nc_u32_e32 v10, v9, v8
	s_delay_alu instid0(VALU_DEP_1) | instskip(NEXT) | instid1(VALU_DEP_1)
	v_mad_u64_u32 v[8:9], null, v10, s2, v[7:8]
	v_mov_b32_e32 v7, v8
.LBB125_120:
	s_clause 0x1
	s_load_b32 s2, s[0:1], 0x110
	s_load_b64 s[0:1], s[0:1], 0x108
	s_waitcnt lgkmcnt(0)
	v_mov_b32_e32 v8, s2
	s_clause 0x7
	global_store_b8 v0, v8, s[0:1]
	global_store_b8 v1, v8, s[0:1]
	;; [unrolled: 1-line block ×8, first 2 shown]
	s_nop 0
	s_sendmsg sendmsg(MSG_DEALLOC_VGPRS)
	s_endpgm
.LBB125_121:
	v_mov_b32_e32 v1, v6
.LBB125_122:
	s_and_b32 s29, s29, 3
	s_delay_alu instid0(SALU_CYCLE_1)
	s_cmp_eq_u32 s29, 0
	s_cbranch_scc1 .LBB125_125
; %bb.123:
	s_lshl_b32 s14, s28, 2
	s_mul_i32 s16, s28, 12
	s_add_u32 s14, s14, s0
	s_addc_u32 s15, s1, 0
	s_add_u32 s14, s14, 0xc4
	s_addc_u32 s15, s15, 0
	;; [unrolled: 2-line block ×3, first 2 shown]
	.p2align	6
.LBB125_124:                            ; =>This Inner Loop Header: Depth=1
	s_clause 0x1
	s_load_b64 s[30:31], s[16:17], 0x4
	s_load_b32 s28, s[16:17], 0xc
	s_add_u32 s16, s16, 12
	s_addc_u32 s17, s17, 0
	s_waitcnt lgkmcnt(0)
	v_mul_hi_u32 v2, s31, v1
	s_load_b32 s31, s[14:15], 0x0
	s_add_u32 s14, s14, 4
	s_addc_u32 s15, s15, 0
	s_add_i32 s29, s29, -1
	s_delay_alu instid0(SALU_CYCLE_1) | instskip(NEXT) | instid1(VALU_DEP_1)
	s_cmp_lg_u32 s29, 0
	v_add_nc_u32_e32 v2, v1, v2
	s_delay_alu instid0(VALU_DEP_1) | instskip(NEXT) | instid1(VALU_DEP_1)
	v_lshrrev_b32_e32 v4, s28, v2
	v_mul_lo_u32 v2, v4, s30
	s_delay_alu instid0(VALU_DEP_1) | instskip(SKIP_1) | instid1(VALU_DEP_1)
	v_sub_nc_u32_e32 v1, v1, v2
	s_waitcnt lgkmcnt(0)
	v_mad_u64_u32 v[2:3], null, v1, s31, v[0:1]
	s_delay_alu instid0(VALU_DEP_1)
	v_dual_mov_b32 v1, v4 :: v_dual_mov_b32 v0, v2
	s_cbranch_scc1 .LBB125_124
.LBB125_125:
	s_cbranch_execnz .LBB125_128
.LBB125_126:
	s_waitcnt lgkmcnt(0)
	v_mul_hi_u32 v0, s5, v6
	s_and_not1_b32 vcc_lo, exec_lo, s23
	s_delay_alu instid0(VALU_DEP_1) | instskip(NEXT) | instid1(VALU_DEP_1)
	v_add_nc_u32_e32 v0, v6, v0
	v_lshrrev_b32_e32 v1, s6, v0
	s_delay_alu instid0(VALU_DEP_1) | instskip(NEXT) | instid1(VALU_DEP_1)
	v_mul_lo_u32 v0, v1, s4
	v_sub_nc_u32_e32 v0, v6, v0
	s_delay_alu instid0(VALU_DEP_1)
	v_mul_lo_u32 v0, v0, s8
	s_cbranch_vccnz .LBB125_128
; %bb.127:
	v_mul_hi_u32 v2, s10, v1
	s_delay_alu instid0(VALU_DEP_1) | instskip(NEXT) | instid1(VALU_DEP_1)
	v_add_nc_u32_e32 v2, v1, v2
	v_lshrrev_b32_e32 v2, s11, v2
	s_delay_alu instid0(VALU_DEP_1) | instskip(NEXT) | instid1(VALU_DEP_1)
	v_mul_lo_u32 v2, v2, s7
	v_sub_nc_u32_e32 v3, v1, v2
	s_delay_alu instid0(VALU_DEP_1) | instskip(NEXT) | instid1(VALU_DEP_1)
	v_mad_u64_u32 v[1:2], null, v3, s9, v[0:1]
	v_mov_b32_e32 v0, v1
.LBB125_128:
	s_waitcnt lgkmcnt(0)
	v_dual_mov_b32 v1, s22 :: v_dual_add_nc_u32 v6, 0x80, v6
	global_store_b8 v0, v1, s[2:3]
	s_or_b32 exec_lo, exec_lo, s27
	s_delay_alu instid0(SALU_CYCLE_1)
	s_mov_b32 s27, exec_lo
	v_cmpx_gt_i32_e64 s24, v6
	s_cbranch_execnz .LBB125_15
.LBB125_129:
	s_or_b32 exec_lo, exec_lo, s27
	s_delay_alu instid0(SALU_CYCLE_1)
	s_mov_b32 s27, exec_lo
	v_cmpx_gt_i32_e64 s24, v6
	s_cbranch_execz .LBB125_144
.LBB125_130:
	s_and_not1_b32 vcc_lo, exec_lo, s20
	s_cbranch_vccnz .LBB125_135
; %bb.131:
	v_mov_b32_e32 v0, 0
	s_and_not1_b32 vcc_lo, exec_lo, s26
	s_cbranch_vccnz .LBB125_155
; %bb.132:
	s_add_i32 s29, s25, 1
	s_cmp_eq_u32 s19, 2
	s_mov_b32 s28, 0
	s_cbranch_scc1 .LBB125_151
; %bb.133:
	v_dual_mov_b32 v0, 0 :: v_dual_mov_b32 v1, v6
	s_and_b32 s28, s29, 28
	s_mov_b32 s30, 0
	s_mov_b64 s[14:15], s[0:1]
	s_mov_b64 s[16:17], s[12:13]
.LBB125_134:                            ; =>This Inner Loop Header: Depth=1
	s_clause 0x1
	s_load_b256 s[36:43], s[14:15], 0x4
	s_load_b128 s[44:47], s[14:15], 0x24
	s_load_b128 s[48:51], s[16:17], 0x0
	s_add_u32 s14, s14, 48
	s_addc_u32 s15, s15, 0
	s_add_i32 s30, s30, 4
	s_add_u32 s16, s16, 16
	s_addc_u32 s17, s17, 0
	s_cmp_eq_u32 s28, s30
	s_waitcnt lgkmcnt(0)
	v_mul_hi_u32 v2, s37, v1
	s_delay_alu instid0(VALU_DEP_1) | instskip(NEXT) | instid1(VALU_DEP_1)
	v_add_nc_u32_e32 v2, v1, v2
	v_lshrrev_b32_e32 v2, s38, v2
	s_delay_alu instid0(VALU_DEP_1) | instskip(SKIP_1) | instid1(VALU_DEP_2)
	v_mul_hi_u32 v3, s40, v2
	v_mul_lo_u32 v7, v2, s36
	v_add_nc_u32_e32 v3, v2, v3
	s_delay_alu instid0(VALU_DEP_2) | instskip(NEXT) | instid1(VALU_DEP_2)
	v_sub_nc_u32_e32 v7, v1, v7
	v_lshrrev_b32_e32 v3, s41, v3
	s_delay_alu instid0(VALU_DEP_2) | instskip(NEXT) | instid1(VALU_DEP_2)
	v_mul_lo_u32 v7, v7, s48
	v_mul_hi_u32 v4, s43, v3
	v_mul_lo_u32 v8, v3, s39
	s_delay_alu instid0(VALU_DEP_2) | instskip(NEXT) | instid1(VALU_DEP_2)
	v_add_nc_u32_e32 v4, v3, v4
	v_sub_nc_u32_e32 v2, v2, v8
	s_delay_alu instid0(VALU_DEP_2) | instskip(NEXT) | instid1(VALU_DEP_2)
	v_lshrrev_b32_e32 v4, s44, v4
	v_mul_lo_u32 v2, v2, s49
	s_delay_alu instid0(VALU_DEP_2) | instskip(NEXT) | instid1(VALU_DEP_2)
	v_mul_hi_u32 v5, s46, v4
	v_add3_u32 v0, v7, v0, v2
	s_delay_alu instid0(VALU_DEP_2) | instskip(NEXT) | instid1(VALU_DEP_1)
	v_add_nc_u32_e32 v5, v4, v5
	v_lshrrev_b32_e32 v1, s47, v5
	v_mul_lo_u32 v5, v4, s42
	s_delay_alu instid0(VALU_DEP_2) | instskip(NEXT) | instid1(VALU_DEP_2)
	v_mul_lo_u32 v9, v1, s45
	v_sub_nc_u32_e32 v3, v3, v5
	s_delay_alu instid0(VALU_DEP_2) | instskip(NEXT) | instid1(VALU_DEP_2)
	v_sub_nc_u32_e32 v4, v4, v9
	v_mul_lo_u32 v3, v3, s50
	s_delay_alu instid0(VALU_DEP_2) | instskip(NEXT) | instid1(VALU_DEP_1)
	v_mul_lo_u32 v4, v4, s51
	v_add3_u32 v0, v3, v0, v4
	s_cbranch_scc0 .LBB125_134
	s_branch .LBB125_152
.LBB125_135:
                                        ; implicit-def: $vgpr0
	s_branch .LBB125_156
.LBB125_136:
	v_mov_b32_e32 v1, v6
.LBB125_137:
	s_and_b32 s29, s29, 3
	s_delay_alu instid0(SALU_CYCLE_1)
	s_cmp_eq_u32 s29, 0
	s_cbranch_scc1 .LBB125_140
; %bb.138:
	s_lshl_b32 s14, s28, 2
	s_mul_i32 s16, s28, 12
	s_add_u32 s14, s14, s0
	s_addc_u32 s15, s1, 0
	s_add_u32 s14, s14, 0xc4
	s_addc_u32 s15, s15, 0
	;; [unrolled: 2-line block ×3, first 2 shown]
	.p2align	6
.LBB125_139:                            ; =>This Inner Loop Header: Depth=1
	s_clause 0x1
	s_load_b64 s[30:31], s[16:17], 0x4
	s_load_b32 s28, s[16:17], 0xc
	s_add_u32 s16, s16, 12
	s_addc_u32 s17, s17, 0
	s_waitcnt lgkmcnt(0)
	v_mul_hi_u32 v2, s31, v1
	s_load_b32 s31, s[14:15], 0x0
	s_add_u32 s14, s14, 4
	s_addc_u32 s15, s15, 0
	s_add_i32 s29, s29, -1
	s_delay_alu instid0(SALU_CYCLE_1) | instskip(NEXT) | instid1(VALU_DEP_1)
	s_cmp_lg_u32 s29, 0
	v_add_nc_u32_e32 v2, v1, v2
	s_delay_alu instid0(VALU_DEP_1) | instskip(NEXT) | instid1(VALU_DEP_1)
	v_lshrrev_b32_e32 v4, s28, v2
	v_mul_lo_u32 v2, v4, s30
	s_delay_alu instid0(VALU_DEP_1) | instskip(SKIP_1) | instid1(VALU_DEP_1)
	v_sub_nc_u32_e32 v1, v1, v2
	s_waitcnt lgkmcnt(0)
	v_mad_u64_u32 v[2:3], null, v1, s31, v[0:1]
	s_delay_alu instid0(VALU_DEP_1)
	v_dual_mov_b32 v1, v4 :: v_dual_mov_b32 v0, v2
	s_cbranch_scc1 .LBB125_139
.LBB125_140:
	s_cbranch_execnz .LBB125_143
.LBB125_141:
	s_waitcnt lgkmcnt(0)
	v_mul_hi_u32 v0, s5, v6
	s_and_not1_b32 vcc_lo, exec_lo, s23
	s_delay_alu instid0(VALU_DEP_1) | instskip(NEXT) | instid1(VALU_DEP_1)
	v_add_nc_u32_e32 v0, v6, v0
	v_lshrrev_b32_e32 v1, s6, v0
	s_delay_alu instid0(VALU_DEP_1) | instskip(NEXT) | instid1(VALU_DEP_1)
	v_mul_lo_u32 v0, v1, s4
	v_sub_nc_u32_e32 v0, v6, v0
	s_delay_alu instid0(VALU_DEP_1)
	v_mul_lo_u32 v0, v0, s8
	s_cbranch_vccnz .LBB125_143
; %bb.142:
	v_mul_hi_u32 v2, s10, v1
	s_delay_alu instid0(VALU_DEP_1) | instskip(NEXT) | instid1(VALU_DEP_1)
	v_add_nc_u32_e32 v2, v1, v2
	v_lshrrev_b32_e32 v2, s11, v2
	s_delay_alu instid0(VALU_DEP_1) | instskip(NEXT) | instid1(VALU_DEP_1)
	v_mul_lo_u32 v2, v2, s7
	v_sub_nc_u32_e32 v3, v1, v2
	s_delay_alu instid0(VALU_DEP_1) | instskip(NEXT) | instid1(VALU_DEP_1)
	v_mad_u64_u32 v[1:2], null, v3, s9, v[0:1]
	v_mov_b32_e32 v0, v1
.LBB125_143:
	s_waitcnt lgkmcnt(0)
	v_dual_mov_b32 v1, s22 :: v_dual_add_nc_u32 v6, 0x80, v6
	global_store_b8 v0, v1, s[2:3]
	s_or_b32 exec_lo, exec_lo, s27
	s_delay_alu instid0(SALU_CYCLE_1)
	s_mov_b32 s27, exec_lo
	v_cmpx_gt_i32_e64 s24, v6
	s_cbranch_execnz .LBB125_130
.LBB125_144:
	s_or_b32 exec_lo, exec_lo, s27
	s_delay_alu instid0(SALU_CYCLE_1)
	s_mov_b32 s27, exec_lo
	v_cmpx_gt_i32_e64 s24, v6
	s_cbranch_execz .LBB125_159
.LBB125_145:
	s_and_not1_b32 vcc_lo, exec_lo, s20
	s_cbranch_vccnz .LBB125_150
; %bb.146:
	v_mov_b32_e32 v0, 0
	s_and_not1_b32 vcc_lo, exec_lo, s26
	s_cbranch_vccnz .LBB125_170
; %bb.147:
	s_add_i32 s29, s25, 1
	s_cmp_eq_u32 s19, 2
	s_mov_b32 s28, 0
	s_cbranch_scc1 .LBB125_166
; %bb.148:
	v_dual_mov_b32 v0, 0 :: v_dual_mov_b32 v1, v6
	s_and_b32 s28, s29, 28
	s_mov_b32 s30, 0
	s_mov_b64 s[14:15], s[0:1]
	s_mov_b64 s[16:17], s[12:13]
.LBB125_149:                            ; =>This Inner Loop Header: Depth=1
	s_clause 0x1
	s_load_b256 s[36:43], s[14:15], 0x4
	s_load_b128 s[44:47], s[14:15], 0x24
	s_load_b128 s[48:51], s[16:17], 0x0
	s_add_u32 s14, s14, 48
	s_addc_u32 s15, s15, 0
	s_add_i32 s30, s30, 4
	s_add_u32 s16, s16, 16
	s_addc_u32 s17, s17, 0
	s_cmp_eq_u32 s28, s30
	s_waitcnt lgkmcnt(0)
	v_mul_hi_u32 v2, s37, v1
	s_delay_alu instid0(VALU_DEP_1) | instskip(NEXT) | instid1(VALU_DEP_1)
	v_add_nc_u32_e32 v2, v1, v2
	v_lshrrev_b32_e32 v2, s38, v2
	s_delay_alu instid0(VALU_DEP_1) | instskip(SKIP_1) | instid1(VALU_DEP_2)
	v_mul_hi_u32 v3, s40, v2
	v_mul_lo_u32 v7, v2, s36
	v_add_nc_u32_e32 v3, v2, v3
	s_delay_alu instid0(VALU_DEP_2) | instskip(NEXT) | instid1(VALU_DEP_2)
	v_sub_nc_u32_e32 v7, v1, v7
	v_lshrrev_b32_e32 v3, s41, v3
	s_delay_alu instid0(VALU_DEP_2) | instskip(NEXT) | instid1(VALU_DEP_2)
	v_mul_lo_u32 v7, v7, s48
	v_mul_hi_u32 v4, s43, v3
	v_mul_lo_u32 v8, v3, s39
	s_delay_alu instid0(VALU_DEP_2) | instskip(NEXT) | instid1(VALU_DEP_2)
	v_add_nc_u32_e32 v4, v3, v4
	v_sub_nc_u32_e32 v2, v2, v8
	s_delay_alu instid0(VALU_DEP_2) | instskip(NEXT) | instid1(VALU_DEP_2)
	v_lshrrev_b32_e32 v4, s44, v4
	v_mul_lo_u32 v2, v2, s49
	s_delay_alu instid0(VALU_DEP_2) | instskip(NEXT) | instid1(VALU_DEP_2)
	v_mul_hi_u32 v5, s46, v4
	v_add3_u32 v0, v7, v0, v2
	s_delay_alu instid0(VALU_DEP_2) | instskip(NEXT) | instid1(VALU_DEP_1)
	v_add_nc_u32_e32 v5, v4, v5
	v_lshrrev_b32_e32 v1, s47, v5
	v_mul_lo_u32 v5, v4, s42
	s_delay_alu instid0(VALU_DEP_2) | instskip(NEXT) | instid1(VALU_DEP_2)
	v_mul_lo_u32 v9, v1, s45
	v_sub_nc_u32_e32 v3, v3, v5
	s_delay_alu instid0(VALU_DEP_2) | instskip(NEXT) | instid1(VALU_DEP_2)
	v_sub_nc_u32_e32 v4, v4, v9
	v_mul_lo_u32 v3, v3, s50
	s_delay_alu instid0(VALU_DEP_2) | instskip(NEXT) | instid1(VALU_DEP_1)
	v_mul_lo_u32 v4, v4, s51
	v_add3_u32 v0, v3, v0, v4
	s_cbranch_scc0 .LBB125_149
	s_branch .LBB125_167
.LBB125_150:
                                        ; implicit-def: $vgpr0
	s_branch .LBB125_171
.LBB125_151:
	v_mov_b32_e32 v1, v6
.LBB125_152:
	s_and_b32 s29, s29, 3
	s_delay_alu instid0(SALU_CYCLE_1)
	s_cmp_eq_u32 s29, 0
	s_cbranch_scc1 .LBB125_155
; %bb.153:
	s_lshl_b32 s14, s28, 2
	s_mul_i32 s16, s28, 12
	s_add_u32 s14, s14, s0
	s_addc_u32 s15, s1, 0
	s_add_u32 s14, s14, 0xc4
	s_addc_u32 s15, s15, 0
	;; [unrolled: 2-line block ×3, first 2 shown]
	.p2align	6
.LBB125_154:                            ; =>This Inner Loop Header: Depth=1
	s_clause 0x1
	s_load_b64 s[30:31], s[16:17], 0x4
	s_load_b32 s28, s[16:17], 0xc
	s_add_u32 s16, s16, 12
	s_addc_u32 s17, s17, 0
	s_waitcnt lgkmcnt(0)
	v_mul_hi_u32 v2, s31, v1
	s_load_b32 s31, s[14:15], 0x0
	s_add_u32 s14, s14, 4
	s_addc_u32 s15, s15, 0
	s_add_i32 s29, s29, -1
	s_delay_alu instid0(SALU_CYCLE_1) | instskip(NEXT) | instid1(VALU_DEP_1)
	s_cmp_lg_u32 s29, 0
	v_add_nc_u32_e32 v2, v1, v2
	s_delay_alu instid0(VALU_DEP_1) | instskip(NEXT) | instid1(VALU_DEP_1)
	v_lshrrev_b32_e32 v4, s28, v2
	v_mul_lo_u32 v2, v4, s30
	s_delay_alu instid0(VALU_DEP_1) | instskip(SKIP_1) | instid1(VALU_DEP_1)
	v_sub_nc_u32_e32 v1, v1, v2
	s_waitcnt lgkmcnt(0)
	v_mad_u64_u32 v[2:3], null, v1, s31, v[0:1]
	s_delay_alu instid0(VALU_DEP_1)
	v_dual_mov_b32 v1, v4 :: v_dual_mov_b32 v0, v2
	s_cbranch_scc1 .LBB125_154
.LBB125_155:
	s_cbranch_execnz .LBB125_158
.LBB125_156:
	s_waitcnt lgkmcnt(0)
	v_mul_hi_u32 v0, s5, v6
	s_and_not1_b32 vcc_lo, exec_lo, s23
	s_delay_alu instid0(VALU_DEP_1) | instskip(NEXT) | instid1(VALU_DEP_1)
	v_add_nc_u32_e32 v0, v6, v0
	v_lshrrev_b32_e32 v1, s6, v0
	s_delay_alu instid0(VALU_DEP_1) | instskip(NEXT) | instid1(VALU_DEP_1)
	v_mul_lo_u32 v0, v1, s4
	v_sub_nc_u32_e32 v0, v6, v0
	s_delay_alu instid0(VALU_DEP_1)
	v_mul_lo_u32 v0, v0, s8
	s_cbranch_vccnz .LBB125_158
; %bb.157:
	v_mul_hi_u32 v2, s10, v1
	s_delay_alu instid0(VALU_DEP_1) | instskip(NEXT) | instid1(VALU_DEP_1)
	v_add_nc_u32_e32 v2, v1, v2
	v_lshrrev_b32_e32 v2, s11, v2
	s_delay_alu instid0(VALU_DEP_1) | instskip(NEXT) | instid1(VALU_DEP_1)
	v_mul_lo_u32 v2, v2, s7
	v_sub_nc_u32_e32 v3, v1, v2
	s_delay_alu instid0(VALU_DEP_1) | instskip(NEXT) | instid1(VALU_DEP_1)
	v_mad_u64_u32 v[1:2], null, v3, s9, v[0:1]
	v_mov_b32_e32 v0, v1
.LBB125_158:
	s_waitcnt lgkmcnt(0)
	v_dual_mov_b32 v1, s22 :: v_dual_add_nc_u32 v6, 0x80, v6
	global_store_b8 v0, v1, s[2:3]
	s_or_b32 exec_lo, exec_lo, s27
	s_delay_alu instid0(SALU_CYCLE_1)
	s_mov_b32 s27, exec_lo
	v_cmpx_gt_i32_e64 s24, v6
	s_cbranch_execnz .LBB125_145
.LBB125_159:
	s_or_b32 exec_lo, exec_lo, s27
	s_delay_alu instid0(SALU_CYCLE_1)
	s_mov_b32 s27, exec_lo
	v_cmpx_gt_i32_e64 s24, v6
	s_cbranch_execz .LBB125_174
.LBB125_160:
	s_and_not1_b32 vcc_lo, exec_lo, s20
	s_cbranch_vccnz .LBB125_165
; %bb.161:
	v_mov_b32_e32 v0, 0
	s_and_not1_b32 vcc_lo, exec_lo, s26
	s_cbranch_vccnz .LBB125_185
; %bb.162:
	s_add_i32 s29, s25, 1
	s_cmp_eq_u32 s19, 2
	s_mov_b32 s28, 0
	s_cbranch_scc1 .LBB125_181
; %bb.163:
	v_dual_mov_b32 v0, 0 :: v_dual_mov_b32 v1, v6
	s_and_b32 s28, s29, 28
	s_mov_b32 s30, 0
	s_mov_b64 s[14:15], s[0:1]
	s_mov_b64 s[16:17], s[12:13]
.LBB125_164:                            ; =>This Inner Loop Header: Depth=1
	s_clause 0x1
	s_load_b256 s[36:43], s[14:15], 0x4
	s_load_b128 s[44:47], s[14:15], 0x24
	s_load_b128 s[48:51], s[16:17], 0x0
	s_add_u32 s14, s14, 48
	s_addc_u32 s15, s15, 0
	s_add_i32 s30, s30, 4
	s_add_u32 s16, s16, 16
	s_addc_u32 s17, s17, 0
	s_cmp_eq_u32 s28, s30
	s_waitcnt lgkmcnt(0)
	v_mul_hi_u32 v2, s37, v1
	s_delay_alu instid0(VALU_DEP_1) | instskip(NEXT) | instid1(VALU_DEP_1)
	v_add_nc_u32_e32 v2, v1, v2
	v_lshrrev_b32_e32 v2, s38, v2
	s_delay_alu instid0(VALU_DEP_1) | instskip(SKIP_1) | instid1(VALU_DEP_2)
	v_mul_hi_u32 v3, s40, v2
	v_mul_lo_u32 v7, v2, s36
	v_add_nc_u32_e32 v3, v2, v3
	s_delay_alu instid0(VALU_DEP_2) | instskip(NEXT) | instid1(VALU_DEP_2)
	v_sub_nc_u32_e32 v7, v1, v7
	v_lshrrev_b32_e32 v3, s41, v3
	s_delay_alu instid0(VALU_DEP_2) | instskip(NEXT) | instid1(VALU_DEP_2)
	v_mul_lo_u32 v7, v7, s48
	v_mul_hi_u32 v4, s43, v3
	v_mul_lo_u32 v8, v3, s39
	s_delay_alu instid0(VALU_DEP_2) | instskip(NEXT) | instid1(VALU_DEP_2)
	v_add_nc_u32_e32 v4, v3, v4
	v_sub_nc_u32_e32 v2, v2, v8
	s_delay_alu instid0(VALU_DEP_2) | instskip(NEXT) | instid1(VALU_DEP_2)
	v_lshrrev_b32_e32 v4, s44, v4
	v_mul_lo_u32 v2, v2, s49
	s_delay_alu instid0(VALU_DEP_2) | instskip(NEXT) | instid1(VALU_DEP_2)
	v_mul_hi_u32 v5, s46, v4
	v_add3_u32 v0, v7, v0, v2
	s_delay_alu instid0(VALU_DEP_2) | instskip(NEXT) | instid1(VALU_DEP_1)
	v_add_nc_u32_e32 v5, v4, v5
	v_lshrrev_b32_e32 v1, s47, v5
	v_mul_lo_u32 v5, v4, s42
	s_delay_alu instid0(VALU_DEP_2) | instskip(NEXT) | instid1(VALU_DEP_2)
	v_mul_lo_u32 v9, v1, s45
	v_sub_nc_u32_e32 v3, v3, v5
	s_delay_alu instid0(VALU_DEP_2) | instskip(NEXT) | instid1(VALU_DEP_2)
	v_sub_nc_u32_e32 v4, v4, v9
	v_mul_lo_u32 v3, v3, s50
	s_delay_alu instid0(VALU_DEP_2) | instskip(NEXT) | instid1(VALU_DEP_1)
	v_mul_lo_u32 v4, v4, s51
	v_add3_u32 v0, v3, v0, v4
	s_cbranch_scc0 .LBB125_164
	s_branch .LBB125_182
.LBB125_165:
                                        ; implicit-def: $vgpr0
	s_branch .LBB125_186
.LBB125_166:
	v_mov_b32_e32 v1, v6
.LBB125_167:
	s_and_b32 s29, s29, 3
	s_delay_alu instid0(SALU_CYCLE_1)
	s_cmp_eq_u32 s29, 0
	s_cbranch_scc1 .LBB125_170
; %bb.168:
	s_lshl_b32 s14, s28, 2
	s_mul_i32 s16, s28, 12
	s_add_u32 s14, s14, s0
	s_addc_u32 s15, s1, 0
	s_add_u32 s14, s14, 0xc4
	s_addc_u32 s15, s15, 0
	;; [unrolled: 2-line block ×3, first 2 shown]
	.p2align	6
.LBB125_169:                            ; =>This Inner Loop Header: Depth=1
	s_clause 0x1
	s_load_b64 s[30:31], s[16:17], 0x4
	s_load_b32 s28, s[16:17], 0xc
	s_add_u32 s16, s16, 12
	s_addc_u32 s17, s17, 0
	s_waitcnt lgkmcnt(0)
	v_mul_hi_u32 v2, s31, v1
	s_load_b32 s31, s[14:15], 0x0
	s_add_u32 s14, s14, 4
	s_addc_u32 s15, s15, 0
	s_add_i32 s29, s29, -1
	s_delay_alu instid0(SALU_CYCLE_1) | instskip(NEXT) | instid1(VALU_DEP_1)
	s_cmp_lg_u32 s29, 0
	v_add_nc_u32_e32 v2, v1, v2
	s_delay_alu instid0(VALU_DEP_1) | instskip(NEXT) | instid1(VALU_DEP_1)
	v_lshrrev_b32_e32 v4, s28, v2
	v_mul_lo_u32 v2, v4, s30
	s_delay_alu instid0(VALU_DEP_1) | instskip(SKIP_1) | instid1(VALU_DEP_1)
	v_sub_nc_u32_e32 v1, v1, v2
	s_waitcnt lgkmcnt(0)
	v_mad_u64_u32 v[2:3], null, v1, s31, v[0:1]
	s_delay_alu instid0(VALU_DEP_1)
	v_dual_mov_b32 v1, v4 :: v_dual_mov_b32 v0, v2
	s_cbranch_scc1 .LBB125_169
.LBB125_170:
	s_cbranch_execnz .LBB125_173
.LBB125_171:
	s_waitcnt lgkmcnt(0)
	v_mul_hi_u32 v0, s5, v6
	s_and_not1_b32 vcc_lo, exec_lo, s23
	s_delay_alu instid0(VALU_DEP_1) | instskip(NEXT) | instid1(VALU_DEP_1)
	v_add_nc_u32_e32 v0, v6, v0
	v_lshrrev_b32_e32 v1, s6, v0
	s_delay_alu instid0(VALU_DEP_1) | instskip(NEXT) | instid1(VALU_DEP_1)
	v_mul_lo_u32 v0, v1, s4
	v_sub_nc_u32_e32 v0, v6, v0
	s_delay_alu instid0(VALU_DEP_1)
	v_mul_lo_u32 v0, v0, s8
	s_cbranch_vccnz .LBB125_173
; %bb.172:
	v_mul_hi_u32 v2, s10, v1
	s_delay_alu instid0(VALU_DEP_1) | instskip(NEXT) | instid1(VALU_DEP_1)
	v_add_nc_u32_e32 v2, v1, v2
	v_lshrrev_b32_e32 v2, s11, v2
	s_delay_alu instid0(VALU_DEP_1) | instskip(NEXT) | instid1(VALU_DEP_1)
	v_mul_lo_u32 v2, v2, s7
	v_sub_nc_u32_e32 v3, v1, v2
	s_delay_alu instid0(VALU_DEP_1) | instskip(NEXT) | instid1(VALU_DEP_1)
	v_mad_u64_u32 v[1:2], null, v3, s9, v[0:1]
	v_mov_b32_e32 v0, v1
.LBB125_173:
	s_waitcnt lgkmcnt(0)
	v_dual_mov_b32 v1, s22 :: v_dual_add_nc_u32 v6, 0x80, v6
	global_store_b8 v0, v1, s[2:3]
	s_or_b32 exec_lo, exec_lo, s27
	s_delay_alu instid0(SALU_CYCLE_1)
	s_mov_b32 s27, exec_lo
	v_cmpx_gt_i32_e64 s24, v6
	s_cbranch_execnz .LBB125_160
.LBB125_174:
	s_or_b32 exec_lo, exec_lo, s27
	s_delay_alu instid0(SALU_CYCLE_1)
	s_mov_b32 s27, exec_lo
	v_cmpx_gt_i32_e64 s24, v6
	s_cbranch_execz .LBB125_189
.LBB125_175:
	s_and_not1_b32 vcc_lo, exec_lo, s20
	s_cbranch_vccnz .LBB125_180
; %bb.176:
	v_mov_b32_e32 v0, 0
	s_and_not1_b32 vcc_lo, exec_lo, s26
	s_cbranch_vccnz .LBB125_200
; %bb.177:
	s_add_i32 s29, s25, 1
	s_cmp_eq_u32 s19, 2
	s_mov_b32 s28, 0
	s_cbranch_scc1 .LBB125_196
; %bb.178:
	v_dual_mov_b32 v0, 0 :: v_dual_mov_b32 v1, v6
	s_and_b32 s28, s29, 28
	s_mov_b32 s30, 0
	s_mov_b64 s[14:15], s[0:1]
	s_mov_b64 s[16:17], s[12:13]
.LBB125_179:                            ; =>This Inner Loop Header: Depth=1
	s_clause 0x1
	s_load_b256 s[36:43], s[14:15], 0x4
	s_load_b128 s[44:47], s[14:15], 0x24
	s_load_b128 s[48:51], s[16:17], 0x0
	s_add_u32 s14, s14, 48
	s_addc_u32 s15, s15, 0
	s_add_i32 s30, s30, 4
	s_add_u32 s16, s16, 16
	s_addc_u32 s17, s17, 0
	s_cmp_eq_u32 s28, s30
	s_waitcnt lgkmcnt(0)
	v_mul_hi_u32 v2, s37, v1
	s_delay_alu instid0(VALU_DEP_1) | instskip(NEXT) | instid1(VALU_DEP_1)
	v_add_nc_u32_e32 v2, v1, v2
	v_lshrrev_b32_e32 v2, s38, v2
	s_delay_alu instid0(VALU_DEP_1) | instskip(SKIP_1) | instid1(VALU_DEP_2)
	v_mul_hi_u32 v3, s40, v2
	v_mul_lo_u32 v7, v2, s36
	v_add_nc_u32_e32 v3, v2, v3
	s_delay_alu instid0(VALU_DEP_2) | instskip(NEXT) | instid1(VALU_DEP_2)
	v_sub_nc_u32_e32 v7, v1, v7
	v_lshrrev_b32_e32 v3, s41, v3
	s_delay_alu instid0(VALU_DEP_2) | instskip(NEXT) | instid1(VALU_DEP_2)
	v_mul_lo_u32 v7, v7, s48
	v_mul_hi_u32 v4, s43, v3
	v_mul_lo_u32 v8, v3, s39
	s_delay_alu instid0(VALU_DEP_2) | instskip(NEXT) | instid1(VALU_DEP_2)
	v_add_nc_u32_e32 v4, v3, v4
	v_sub_nc_u32_e32 v2, v2, v8
	s_delay_alu instid0(VALU_DEP_2) | instskip(NEXT) | instid1(VALU_DEP_2)
	v_lshrrev_b32_e32 v4, s44, v4
	v_mul_lo_u32 v2, v2, s49
	s_delay_alu instid0(VALU_DEP_2) | instskip(NEXT) | instid1(VALU_DEP_2)
	v_mul_hi_u32 v5, s46, v4
	v_add3_u32 v0, v7, v0, v2
	s_delay_alu instid0(VALU_DEP_2) | instskip(NEXT) | instid1(VALU_DEP_1)
	v_add_nc_u32_e32 v5, v4, v5
	v_lshrrev_b32_e32 v1, s47, v5
	v_mul_lo_u32 v5, v4, s42
	s_delay_alu instid0(VALU_DEP_2) | instskip(NEXT) | instid1(VALU_DEP_2)
	v_mul_lo_u32 v9, v1, s45
	v_sub_nc_u32_e32 v3, v3, v5
	s_delay_alu instid0(VALU_DEP_2) | instskip(NEXT) | instid1(VALU_DEP_2)
	v_sub_nc_u32_e32 v4, v4, v9
	v_mul_lo_u32 v3, v3, s50
	s_delay_alu instid0(VALU_DEP_2) | instskip(NEXT) | instid1(VALU_DEP_1)
	v_mul_lo_u32 v4, v4, s51
	v_add3_u32 v0, v3, v0, v4
	s_cbranch_scc0 .LBB125_179
	s_branch .LBB125_197
.LBB125_180:
                                        ; implicit-def: $vgpr0
	s_branch .LBB125_201
.LBB125_181:
	v_mov_b32_e32 v1, v6
.LBB125_182:
	s_and_b32 s29, s29, 3
	s_delay_alu instid0(SALU_CYCLE_1)
	s_cmp_eq_u32 s29, 0
	s_cbranch_scc1 .LBB125_185
; %bb.183:
	s_lshl_b32 s14, s28, 2
	s_mul_i32 s16, s28, 12
	s_add_u32 s14, s14, s0
	s_addc_u32 s15, s1, 0
	s_add_u32 s14, s14, 0xc4
	s_addc_u32 s15, s15, 0
	;; [unrolled: 2-line block ×3, first 2 shown]
	.p2align	6
.LBB125_184:                            ; =>This Inner Loop Header: Depth=1
	s_clause 0x1
	s_load_b64 s[30:31], s[16:17], 0x4
	s_load_b32 s28, s[16:17], 0xc
	s_add_u32 s16, s16, 12
	s_addc_u32 s17, s17, 0
	s_waitcnt lgkmcnt(0)
	v_mul_hi_u32 v2, s31, v1
	s_load_b32 s31, s[14:15], 0x0
	s_add_u32 s14, s14, 4
	s_addc_u32 s15, s15, 0
	s_add_i32 s29, s29, -1
	s_delay_alu instid0(SALU_CYCLE_1) | instskip(NEXT) | instid1(VALU_DEP_1)
	s_cmp_lg_u32 s29, 0
	v_add_nc_u32_e32 v2, v1, v2
	s_delay_alu instid0(VALU_DEP_1) | instskip(NEXT) | instid1(VALU_DEP_1)
	v_lshrrev_b32_e32 v4, s28, v2
	v_mul_lo_u32 v2, v4, s30
	s_delay_alu instid0(VALU_DEP_1) | instskip(SKIP_1) | instid1(VALU_DEP_1)
	v_sub_nc_u32_e32 v1, v1, v2
	s_waitcnt lgkmcnt(0)
	v_mad_u64_u32 v[2:3], null, v1, s31, v[0:1]
	s_delay_alu instid0(VALU_DEP_1)
	v_dual_mov_b32 v1, v4 :: v_dual_mov_b32 v0, v2
	s_cbranch_scc1 .LBB125_184
.LBB125_185:
	s_cbranch_execnz .LBB125_188
.LBB125_186:
	s_waitcnt lgkmcnt(0)
	v_mul_hi_u32 v0, s5, v6
	s_and_not1_b32 vcc_lo, exec_lo, s23
	s_delay_alu instid0(VALU_DEP_1) | instskip(NEXT) | instid1(VALU_DEP_1)
	v_add_nc_u32_e32 v0, v6, v0
	v_lshrrev_b32_e32 v1, s6, v0
	s_delay_alu instid0(VALU_DEP_1) | instskip(NEXT) | instid1(VALU_DEP_1)
	v_mul_lo_u32 v0, v1, s4
	v_sub_nc_u32_e32 v0, v6, v0
	s_delay_alu instid0(VALU_DEP_1)
	v_mul_lo_u32 v0, v0, s8
	s_cbranch_vccnz .LBB125_188
; %bb.187:
	v_mul_hi_u32 v2, s10, v1
	s_delay_alu instid0(VALU_DEP_1) | instskip(NEXT) | instid1(VALU_DEP_1)
	v_add_nc_u32_e32 v2, v1, v2
	v_lshrrev_b32_e32 v2, s11, v2
	s_delay_alu instid0(VALU_DEP_1) | instskip(NEXT) | instid1(VALU_DEP_1)
	v_mul_lo_u32 v2, v2, s7
	v_sub_nc_u32_e32 v3, v1, v2
	s_delay_alu instid0(VALU_DEP_1) | instskip(NEXT) | instid1(VALU_DEP_1)
	v_mad_u64_u32 v[1:2], null, v3, s9, v[0:1]
	v_mov_b32_e32 v0, v1
.LBB125_188:
	s_waitcnt lgkmcnt(0)
	v_dual_mov_b32 v1, s22 :: v_dual_add_nc_u32 v6, 0x80, v6
	global_store_b8 v0, v1, s[2:3]
	s_or_b32 exec_lo, exec_lo, s27
	s_delay_alu instid0(SALU_CYCLE_1)
	s_mov_b32 s27, exec_lo
	v_cmpx_gt_i32_e64 s24, v6
	s_cbranch_execnz .LBB125_175
.LBB125_189:
	s_or_b32 exec_lo, exec_lo, s27
	s_delay_alu instid0(SALU_CYCLE_1)
	s_mov_b32 s27, exec_lo
	v_cmpx_gt_i32_e64 s24, v6
	s_cbranch_execz .LBB125_204
.LBB125_190:
	s_and_not1_b32 vcc_lo, exec_lo, s20
	s_cbranch_vccnz .LBB125_195
; %bb.191:
	v_mov_b32_e32 v0, 0
	s_and_not1_b32 vcc_lo, exec_lo, s26
	s_cbranch_vccnz .LBB125_211
; %bb.192:
	s_add_i32 s29, s25, 1
	s_cmp_eq_u32 s19, 2
	s_mov_b32 s28, 0
	s_cbranch_scc1 .LBB125_207
; %bb.193:
	v_dual_mov_b32 v0, 0 :: v_dual_mov_b32 v1, v6
	s_and_b32 s28, s29, 28
	s_mov_b32 s30, 0
	s_mov_b64 s[14:15], s[0:1]
	s_mov_b64 s[16:17], s[12:13]
.LBB125_194:                            ; =>This Inner Loop Header: Depth=1
	s_clause 0x1
	s_load_b256 s[36:43], s[14:15], 0x4
	s_load_b128 s[44:47], s[14:15], 0x24
	s_load_b128 s[48:51], s[16:17], 0x0
	s_add_u32 s14, s14, 48
	s_addc_u32 s15, s15, 0
	s_add_i32 s30, s30, 4
	s_add_u32 s16, s16, 16
	s_addc_u32 s17, s17, 0
	s_cmp_eq_u32 s28, s30
	s_waitcnt lgkmcnt(0)
	v_mul_hi_u32 v2, s37, v1
	s_delay_alu instid0(VALU_DEP_1) | instskip(NEXT) | instid1(VALU_DEP_1)
	v_add_nc_u32_e32 v2, v1, v2
	v_lshrrev_b32_e32 v2, s38, v2
	s_delay_alu instid0(VALU_DEP_1) | instskip(SKIP_1) | instid1(VALU_DEP_2)
	v_mul_hi_u32 v3, s40, v2
	v_mul_lo_u32 v7, v2, s36
	v_add_nc_u32_e32 v3, v2, v3
	s_delay_alu instid0(VALU_DEP_2) | instskip(NEXT) | instid1(VALU_DEP_2)
	v_sub_nc_u32_e32 v7, v1, v7
	v_lshrrev_b32_e32 v3, s41, v3
	s_delay_alu instid0(VALU_DEP_2) | instskip(NEXT) | instid1(VALU_DEP_2)
	v_mul_lo_u32 v7, v7, s48
	v_mul_hi_u32 v4, s43, v3
	v_mul_lo_u32 v8, v3, s39
	s_delay_alu instid0(VALU_DEP_2) | instskip(NEXT) | instid1(VALU_DEP_2)
	v_add_nc_u32_e32 v4, v3, v4
	v_sub_nc_u32_e32 v2, v2, v8
	s_delay_alu instid0(VALU_DEP_2) | instskip(NEXT) | instid1(VALU_DEP_2)
	v_lshrrev_b32_e32 v4, s44, v4
	v_mul_lo_u32 v2, v2, s49
	s_delay_alu instid0(VALU_DEP_2) | instskip(NEXT) | instid1(VALU_DEP_2)
	v_mul_hi_u32 v5, s46, v4
	v_add3_u32 v0, v7, v0, v2
	s_delay_alu instid0(VALU_DEP_2) | instskip(NEXT) | instid1(VALU_DEP_1)
	v_add_nc_u32_e32 v5, v4, v5
	v_lshrrev_b32_e32 v1, s47, v5
	v_mul_lo_u32 v5, v4, s42
	s_delay_alu instid0(VALU_DEP_2) | instskip(NEXT) | instid1(VALU_DEP_2)
	v_mul_lo_u32 v9, v1, s45
	v_sub_nc_u32_e32 v3, v3, v5
	s_delay_alu instid0(VALU_DEP_2) | instskip(NEXT) | instid1(VALU_DEP_2)
	v_sub_nc_u32_e32 v4, v4, v9
	v_mul_lo_u32 v3, v3, s50
	s_delay_alu instid0(VALU_DEP_2) | instskip(NEXT) | instid1(VALU_DEP_1)
	v_mul_lo_u32 v4, v4, s51
	v_add3_u32 v0, v3, v0, v4
	s_cbranch_scc0 .LBB125_194
	s_branch .LBB125_208
.LBB125_195:
                                        ; implicit-def: $vgpr0
	s_branch .LBB125_212
.LBB125_196:
	v_mov_b32_e32 v1, v6
.LBB125_197:
	s_and_b32 s29, s29, 3
	s_delay_alu instid0(SALU_CYCLE_1)
	s_cmp_eq_u32 s29, 0
	s_cbranch_scc1 .LBB125_200
; %bb.198:
	s_lshl_b32 s14, s28, 2
	s_mul_i32 s16, s28, 12
	s_add_u32 s14, s14, s0
	s_addc_u32 s15, s1, 0
	s_add_u32 s14, s14, 0xc4
	s_addc_u32 s15, s15, 0
	;; [unrolled: 2-line block ×3, first 2 shown]
	.p2align	6
.LBB125_199:                            ; =>This Inner Loop Header: Depth=1
	s_clause 0x1
	s_load_b64 s[30:31], s[16:17], 0x4
	s_load_b32 s28, s[16:17], 0xc
	s_add_u32 s16, s16, 12
	s_addc_u32 s17, s17, 0
	s_waitcnt lgkmcnt(0)
	v_mul_hi_u32 v2, s31, v1
	s_load_b32 s31, s[14:15], 0x0
	s_add_u32 s14, s14, 4
	s_addc_u32 s15, s15, 0
	s_add_i32 s29, s29, -1
	s_delay_alu instid0(SALU_CYCLE_1) | instskip(NEXT) | instid1(VALU_DEP_1)
	s_cmp_lg_u32 s29, 0
	v_add_nc_u32_e32 v2, v1, v2
	s_delay_alu instid0(VALU_DEP_1) | instskip(NEXT) | instid1(VALU_DEP_1)
	v_lshrrev_b32_e32 v4, s28, v2
	v_mul_lo_u32 v2, v4, s30
	s_delay_alu instid0(VALU_DEP_1) | instskip(SKIP_1) | instid1(VALU_DEP_1)
	v_sub_nc_u32_e32 v1, v1, v2
	s_waitcnt lgkmcnt(0)
	v_mad_u64_u32 v[2:3], null, v1, s31, v[0:1]
	s_delay_alu instid0(VALU_DEP_1)
	v_dual_mov_b32 v1, v4 :: v_dual_mov_b32 v0, v2
	s_cbranch_scc1 .LBB125_199
.LBB125_200:
	s_cbranch_execnz .LBB125_203
.LBB125_201:
	s_waitcnt lgkmcnt(0)
	v_mul_hi_u32 v0, s5, v6
	s_and_not1_b32 vcc_lo, exec_lo, s23
	s_delay_alu instid0(VALU_DEP_1) | instskip(NEXT) | instid1(VALU_DEP_1)
	v_add_nc_u32_e32 v0, v6, v0
	v_lshrrev_b32_e32 v1, s6, v0
	s_delay_alu instid0(VALU_DEP_1) | instskip(NEXT) | instid1(VALU_DEP_1)
	v_mul_lo_u32 v0, v1, s4
	v_sub_nc_u32_e32 v0, v6, v0
	s_delay_alu instid0(VALU_DEP_1)
	v_mul_lo_u32 v0, v0, s8
	s_cbranch_vccnz .LBB125_203
; %bb.202:
	v_mul_hi_u32 v2, s10, v1
	s_delay_alu instid0(VALU_DEP_1) | instskip(NEXT) | instid1(VALU_DEP_1)
	v_add_nc_u32_e32 v2, v1, v2
	v_lshrrev_b32_e32 v2, s11, v2
	s_delay_alu instid0(VALU_DEP_1) | instskip(NEXT) | instid1(VALU_DEP_1)
	v_mul_lo_u32 v2, v2, s7
	v_sub_nc_u32_e32 v3, v1, v2
	s_delay_alu instid0(VALU_DEP_1) | instskip(NEXT) | instid1(VALU_DEP_1)
	v_mad_u64_u32 v[1:2], null, v3, s9, v[0:1]
	v_mov_b32_e32 v0, v1
.LBB125_203:
	s_waitcnt lgkmcnt(0)
	v_dual_mov_b32 v1, s22 :: v_dual_add_nc_u32 v6, 0x80, v6
	global_store_b8 v0, v1, s[2:3]
	s_or_b32 exec_lo, exec_lo, s27
	s_delay_alu instid0(SALU_CYCLE_1)
	s_mov_b32 s27, exec_lo
	v_cmpx_gt_i32_e64 s24, v6
	s_cbranch_execnz .LBB125_190
.LBB125_204:
	s_or_b32 exec_lo, exec_lo, s27
	s_delay_alu instid0(SALU_CYCLE_1)
	s_mov_b32 s16, exec_lo
	v_cmpx_gt_i32_e64 s24, v6
	s_cbranch_execnz .LBB125_215
.LBB125_205:
	s_or_b32 exec_lo, exec_lo, s16
                                        ; implicit-def: $vgpr8
                                        ; implicit-def: $vgpr6
	s_waitcnt lgkmcnt(0)
	s_and_not1_saveexec_b32 s2, s21
	s_cbranch_execnz .LBB125_8
.LBB125_206:
	s_nop 0
	s_sendmsg sendmsg(MSG_DEALLOC_VGPRS)
	s_endpgm
.LBB125_207:
	v_mov_b32_e32 v1, v6
.LBB125_208:
	s_and_b32 s29, s29, 3
	s_delay_alu instid0(SALU_CYCLE_1)
	s_cmp_eq_u32 s29, 0
	s_cbranch_scc1 .LBB125_211
; %bb.209:
	s_lshl_b32 s14, s28, 2
	s_mul_i32 s16, s28, 12
	s_add_u32 s14, s14, s0
	s_addc_u32 s15, s1, 0
	s_add_u32 s14, s14, 0xc4
	s_addc_u32 s15, s15, 0
	;; [unrolled: 2-line block ×3, first 2 shown]
	.p2align	6
.LBB125_210:                            ; =>This Inner Loop Header: Depth=1
	s_clause 0x1
	s_load_b64 s[30:31], s[16:17], 0x4
	s_load_b32 s28, s[16:17], 0xc
	s_add_u32 s16, s16, 12
	s_addc_u32 s17, s17, 0
	s_waitcnt lgkmcnt(0)
	v_mul_hi_u32 v2, s31, v1
	s_load_b32 s31, s[14:15], 0x0
	s_add_u32 s14, s14, 4
	s_addc_u32 s15, s15, 0
	s_add_i32 s29, s29, -1
	s_delay_alu instid0(SALU_CYCLE_1) | instskip(NEXT) | instid1(VALU_DEP_1)
	s_cmp_lg_u32 s29, 0
	v_add_nc_u32_e32 v2, v1, v2
	s_delay_alu instid0(VALU_DEP_1) | instskip(NEXT) | instid1(VALU_DEP_1)
	v_lshrrev_b32_e32 v4, s28, v2
	v_mul_lo_u32 v2, v4, s30
	s_delay_alu instid0(VALU_DEP_1) | instskip(SKIP_1) | instid1(VALU_DEP_1)
	v_sub_nc_u32_e32 v1, v1, v2
	s_waitcnt lgkmcnt(0)
	v_mad_u64_u32 v[2:3], null, v1, s31, v[0:1]
	s_delay_alu instid0(VALU_DEP_1)
	v_dual_mov_b32 v1, v4 :: v_dual_mov_b32 v0, v2
	s_cbranch_scc1 .LBB125_210
.LBB125_211:
	s_cbranch_execnz .LBB125_214
.LBB125_212:
	s_waitcnt lgkmcnt(0)
	v_mul_hi_u32 v0, s5, v6
	s_and_not1_b32 vcc_lo, exec_lo, s23
	s_delay_alu instid0(VALU_DEP_1) | instskip(NEXT) | instid1(VALU_DEP_1)
	v_add_nc_u32_e32 v0, v6, v0
	v_lshrrev_b32_e32 v1, s6, v0
	s_delay_alu instid0(VALU_DEP_1) | instskip(NEXT) | instid1(VALU_DEP_1)
	v_mul_lo_u32 v0, v1, s4
	v_sub_nc_u32_e32 v0, v6, v0
	s_delay_alu instid0(VALU_DEP_1)
	v_mul_lo_u32 v0, v0, s8
	s_cbranch_vccnz .LBB125_214
; %bb.213:
	v_mul_hi_u32 v2, s10, v1
	s_delay_alu instid0(VALU_DEP_1) | instskip(NEXT) | instid1(VALU_DEP_1)
	v_add_nc_u32_e32 v2, v1, v2
	v_lshrrev_b32_e32 v2, s11, v2
	s_delay_alu instid0(VALU_DEP_1) | instskip(NEXT) | instid1(VALU_DEP_1)
	v_mul_lo_u32 v2, v2, s7
	v_sub_nc_u32_e32 v3, v1, v2
	s_delay_alu instid0(VALU_DEP_1) | instskip(NEXT) | instid1(VALU_DEP_1)
	v_mad_u64_u32 v[1:2], null, v3, s9, v[0:1]
	v_mov_b32_e32 v0, v1
.LBB125_214:
	s_waitcnt lgkmcnt(0)
	v_dual_mov_b32 v1, s22 :: v_dual_add_nc_u32 v6, 0x80, v6
	global_store_b8 v0, v1, s[2:3]
	s_or_b32 exec_lo, exec_lo, s27
	s_delay_alu instid0(SALU_CYCLE_1)
	s_mov_b32 s16, exec_lo
	v_cmpx_gt_i32_e64 s24, v6
	s_cbranch_execz .LBB125_205
.LBB125_215:
	s_and_not1_b32 vcc_lo, exec_lo, s20
	s_cbranch_vccnz .LBB125_220
; %bb.216:
	v_mov_b32_e32 v0, 0
	s_and_not1_b32 vcc_lo, exec_lo, s26
	s_cbranch_vccnz .LBB125_225
; %bb.217:
	s_add_i32 s25, s25, 1
	s_cmp_eq_u32 s19, 2
	s_mov_b32 s17, 0
	s_cbranch_scc1 .LBB125_221
; %bb.218:
	v_dual_mov_b32 v0, 0 :: v_dual_mov_b32 v1, v6
	s_and_b32 s17, s25, 28
	s_mov_b32 s24, 0
	s_mov_b64 s[14:15], s[0:1]
.LBB125_219:                            ; =>This Inner Loop Header: Depth=1
	s_clause 0x1
	s_load_b256 s[36:43], s[14:15], 0x4
	s_load_b128 s[28:31], s[14:15], 0x24
	s_load_b128 s[44:47], s[12:13], 0x0
	s_add_u32 s14, s14, 48
	s_addc_u32 s15, s15, 0
	s_add_i32 s24, s24, 4
	s_add_u32 s12, s12, 16
	s_addc_u32 s13, s13, 0
	s_cmp_eq_u32 s17, s24
	s_waitcnt lgkmcnt(0)
	v_mul_hi_u32 v2, s37, v1
	s_delay_alu instid0(VALU_DEP_1) | instskip(NEXT) | instid1(VALU_DEP_1)
	v_add_nc_u32_e32 v2, v1, v2
	v_lshrrev_b32_e32 v2, s38, v2
	s_delay_alu instid0(VALU_DEP_1) | instskip(SKIP_1) | instid1(VALU_DEP_2)
	v_mul_hi_u32 v3, s40, v2
	v_mul_lo_u32 v7, v2, s36
	v_add_nc_u32_e32 v3, v2, v3
	s_delay_alu instid0(VALU_DEP_2) | instskip(NEXT) | instid1(VALU_DEP_2)
	v_sub_nc_u32_e32 v7, v1, v7
	v_lshrrev_b32_e32 v3, s41, v3
	s_delay_alu instid0(VALU_DEP_2) | instskip(NEXT) | instid1(VALU_DEP_2)
	v_mul_lo_u32 v7, v7, s44
	v_mul_hi_u32 v4, s43, v3
	v_mul_lo_u32 v8, v3, s39
	s_delay_alu instid0(VALU_DEP_2) | instskip(NEXT) | instid1(VALU_DEP_2)
	v_add_nc_u32_e32 v4, v3, v4
	v_sub_nc_u32_e32 v2, v2, v8
	s_delay_alu instid0(VALU_DEP_2) | instskip(NEXT) | instid1(VALU_DEP_2)
	v_lshrrev_b32_e32 v4, s28, v4
	v_mul_lo_u32 v2, v2, s45
	s_delay_alu instid0(VALU_DEP_2) | instskip(NEXT) | instid1(VALU_DEP_2)
	v_mul_hi_u32 v5, s30, v4
	v_add3_u32 v0, v7, v0, v2
	s_delay_alu instid0(VALU_DEP_2) | instskip(NEXT) | instid1(VALU_DEP_1)
	v_add_nc_u32_e32 v5, v4, v5
	v_lshrrev_b32_e32 v1, s31, v5
	v_mul_lo_u32 v5, v4, s42
	s_delay_alu instid0(VALU_DEP_2) | instskip(NEXT) | instid1(VALU_DEP_2)
	v_mul_lo_u32 v9, v1, s29
	v_sub_nc_u32_e32 v3, v3, v5
	s_delay_alu instid0(VALU_DEP_2) | instskip(NEXT) | instid1(VALU_DEP_2)
	v_sub_nc_u32_e32 v4, v4, v9
	v_mul_lo_u32 v3, v3, s46
	s_delay_alu instid0(VALU_DEP_2) | instskip(NEXT) | instid1(VALU_DEP_1)
	v_mul_lo_u32 v4, v4, s47
	v_add3_u32 v0, v3, v0, v4
	s_cbranch_scc0 .LBB125_219
	s_branch .LBB125_222
.LBB125_220:
                                        ; implicit-def: $vgpr0
	s_branch .LBB125_226
.LBB125_221:
	v_mov_b32_e32 v1, v6
.LBB125_222:
	s_and_b32 s24, s25, 3
	s_delay_alu instid0(SALU_CYCLE_1)
	s_cmp_eq_u32 s24, 0
	s_cbranch_scc1 .LBB125_225
; %bb.223:
	s_lshl_b32 s12, s17, 2
	s_mul_i32 s14, s17, 12
	s_add_u32 s12, s12, s0
	s_addc_u32 s13, s1, 0
	s_add_u32 s12, s12, 0xc4
	s_addc_u32 s13, s13, 0
	;; [unrolled: 2-line block ×3, first 2 shown]
	.p2align	6
.LBB125_224:                            ; =>This Inner Loop Header: Depth=1
	s_clause 0x1
	s_load_b64 s[26:27], s[14:15], 0x4
	s_load_b32 s17, s[14:15], 0xc
	s_load_b32 s25, s[12:13], 0x0
	s_add_u32 s14, s14, 12
	s_addc_u32 s15, s15, 0
	s_add_u32 s12, s12, 4
	s_addc_u32 s13, s13, 0
	s_add_i32 s24, s24, -1
	s_delay_alu instid0(SALU_CYCLE_1) | instskip(SKIP_2) | instid1(VALU_DEP_1)
	s_cmp_lg_u32 s24, 0
	s_waitcnt lgkmcnt(0)
	v_mul_hi_u32 v2, s27, v1
	v_add_nc_u32_e32 v2, v1, v2
	s_delay_alu instid0(VALU_DEP_1) | instskip(NEXT) | instid1(VALU_DEP_1)
	v_lshrrev_b32_e32 v4, s17, v2
	v_mul_lo_u32 v2, v4, s26
	s_delay_alu instid0(VALU_DEP_1) | instskip(NEXT) | instid1(VALU_DEP_1)
	v_sub_nc_u32_e32 v1, v1, v2
	v_mad_u64_u32 v[2:3], null, v1, s25, v[0:1]
	s_delay_alu instid0(VALU_DEP_1)
	v_dual_mov_b32 v1, v4 :: v_dual_mov_b32 v0, v2
	s_cbranch_scc1 .LBB125_224
.LBB125_225:
	s_cbranch_execnz .LBB125_228
.LBB125_226:
	s_waitcnt lgkmcnt(0)
	v_mul_hi_u32 v0, s5, v6
	s_and_not1_b32 vcc_lo, exec_lo, s23
	s_delay_alu instid0(VALU_DEP_1) | instskip(NEXT) | instid1(VALU_DEP_1)
	v_add_nc_u32_e32 v0, v6, v0
	v_lshrrev_b32_e32 v1, s6, v0
	s_delay_alu instid0(VALU_DEP_1) | instskip(NEXT) | instid1(VALU_DEP_1)
	v_mul_lo_u32 v0, v1, s4
	v_sub_nc_u32_e32 v0, v6, v0
	s_delay_alu instid0(VALU_DEP_1)
	v_mul_lo_u32 v0, v0, s8
	s_cbranch_vccnz .LBB125_228
; %bb.227:
	v_mul_hi_u32 v2, s10, v1
	s_delay_alu instid0(VALU_DEP_1) | instskip(NEXT) | instid1(VALU_DEP_1)
	v_add_nc_u32_e32 v2, v1, v2
	v_lshrrev_b32_e32 v2, s11, v2
	s_delay_alu instid0(VALU_DEP_1) | instskip(NEXT) | instid1(VALU_DEP_1)
	v_mul_lo_u32 v2, v2, s7
	v_sub_nc_u32_e32 v3, v1, v2
	s_delay_alu instid0(VALU_DEP_1) | instskip(NEXT) | instid1(VALU_DEP_1)
	v_mad_u64_u32 v[1:2], null, v3, s9, v[0:1]
	v_mov_b32_e32 v0, v1
.LBB125_228:
	s_waitcnt lgkmcnt(0)
	v_mov_b32_e32 v1, s22
	global_store_b8 v0, v1, s[2:3]
	s_or_b32 exec_lo, exec_lo, s16
                                        ; implicit-def: $vgpr8
                                        ; implicit-def: $vgpr6
	s_and_not1_saveexec_b32 s2, s21
	s_cbranch_execz .LBB125_206
	s_branch .LBB125_8
	.section	.rodata,"a",@progbits
	.p2align	6, 0x0
	.amdhsa_kernel _ZN2at6native32elementwise_kernel_manual_unrollILi128ELi8EZNS0_22gpu_kernel_impl_nocastINS0_11FillFunctorIN3c1015Float8_e5m2fnuzEEEEEvRNS_18TensorIteratorBaseERKT_EUlibE_EEviT1_
		.amdhsa_group_segment_fixed_size 0
		.amdhsa_private_segment_fixed_size 0
		.amdhsa_kernarg_size 288
		.amdhsa_user_sgpr_count 15
		.amdhsa_user_sgpr_dispatch_ptr 0
		.amdhsa_user_sgpr_queue_ptr 0
		.amdhsa_user_sgpr_kernarg_segment_ptr 1
		.amdhsa_user_sgpr_dispatch_id 0
		.amdhsa_user_sgpr_private_segment_size 0
		.amdhsa_wavefront_size32 1
		.amdhsa_uses_dynamic_stack 0
		.amdhsa_enable_private_segment 0
		.amdhsa_system_sgpr_workgroup_id_x 1
		.amdhsa_system_sgpr_workgroup_id_y 0
		.amdhsa_system_sgpr_workgroup_id_z 0
		.amdhsa_system_sgpr_workgroup_info 0
		.amdhsa_system_vgpr_workitem_id 0
		.amdhsa_next_free_vgpr 18
		.amdhsa_next_free_sgpr 52
		.amdhsa_reserve_vcc 1
		.amdhsa_float_round_mode_32 0
		.amdhsa_float_round_mode_16_64 0
		.amdhsa_float_denorm_mode_32 3
		.amdhsa_float_denorm_mode_16_64 3
		.amdhsa_dx10_clamp 1
		.amdhsa_ieee_mode 1
		.amdhsa_fp16_overflow 0
		.amdhsa_workgroup_processor_mode 1
		.amdhsa_memory_ordered 1
		.amdhsa_forward_progress 0
		.amdhsa_shared_vgpr_count 0
		.amdhsa_exception_fp_ieee_invalid_op 0
		.amdhsa_exception_fp_denorm_src 0
		.amdhsa_exception_fp_ieee_div_zero 0
		.amdhsa_exception_fp_ieee_overflow 0
		.amdhsa_exception_fp_ieee_underflow 0
		.amdhsa_exception_fp_ieee_inexact 0
		.amdhsa_exception_int_div_zero 0
	.end_amdhsa_kernel
	.section	.text._ZN2at6native32elementwise_kernel_manual_unrollILi128ELi8EZNS0_22gpu_kernel_impl_nocastINS0_11FillFunctorIN3c1015Float8_e5m2fnuzEEEEEvRNS_18TensorIteratorBaseERKT_EUlibE_EEviT1_,"axG",@progbits,_ZN2at6native32elementwise_kernel_manual_unrollILi128ELi8EZNS0_22gpu_kernel_impl_nocastINS0_11FillFunctorIN3c1015Float8_e5m2fnuzEEEEEvRNS_18TensorIteratorBaseERKT_EUlibE_EEviT1_,comdat
.Lfunc_end125:
	.size	_ZN2at6native32elementwise_kernel_manual_unrollILi128ELi8EZNS0_22gpu_kernel_impl_nocastINS0_11FillFunctorIN3c1015Float8_e5m2fnuzEEEEEvRNS_18TensorIteratorBaseERKT_EUlibE_EEviT1_, .Lfunc_end125-_ZN2at6native32elementwise_kernel_manual_unrollILi128ELi8EZNS0_22gpu_kernel_impl_nocastINS0_11FillFunctorIN3c1015Float8_e5m2fnuzEEEEEvRNS_18TensorIteratorBaseERKT_EUlibE_EEviT1_
                                        ; -- End function
	.section	.AMDGPU.csdata,"",@progbits
; Kernel info:
; codeLenInByte = 11652
; NumSgprs: 54
; NumVgprs: 18
; ScratchSize: 0
; MemoryBound: 0
; FloatMode: 240
; IeeeMode: 1
; LDSByteSize: 0 bytes/workgroup (compile time only)
; SGPRBlocks: 6
; VGPRBlocks: 2
; NumSGPRsForWavesPerEU: 54
; NumVGPRsForWavesPerEU: 18
; Occupancy: 16
; WaveLimiterHint : 1
; COMPUTE_PGM_RSRC2:SCRATCH_EN: 0
; COMPUTE_PGM_RSRC2:USER_SGPR: 15
; COMPUTE_PGM_RSRC2:TRAP_HANDLER: 0
; COMPUTE_PGM_RSRC2:TGID_X_EN: 1
; COMPUTE_PGM_RSRC2:TGID_Y_EN: 0
; COMPUTE_PGM_RSRC2:TGID_Z_EN: 0
; COMPUTE_PGM_RSRC2:TIDIG_COMP_CNT: 0
	.section	.text._ZN2at6native32elementwise_kernel_manual_unrollILi128ELi4EZNS0_15gpu_kernel_implINS0_11FillFunctorIN3c1015Float8_e5m2fnuzEEEEEvRNS_18TensorIteratorBaseERKT_EUlibE_EEviT1_,"axG",@progbits,_ZN2at6native32elementwise_kernel_manual_unrollILi128ELi4EZNS0_15gpu_kernel_implINS0_11FillFunctorIN3c1015Float8_e5m2fnuzEEEEEvRNS_18TensorIteratorBaseERKT_EUlibE_EEviT1_,comdat
	.protected	_ZN2at6native32elementwise_kernel_manual_unrollILi128ELi4EZNS0_15gpu_kernel_implINS0_11FillFunctorIN3c1015Float8_e5m2fnuzEEEEEvRNS_18TensorIteratorBaseERKT_EUlibE_EEviT1_ ; -- Begin function _ZN2at6native32elementwise_kernel_manual_unrollILi128ELi4EZNS0_15gpu_kernel_implINS0_11FillFunctorIN3c1015Float8_e5m2fnuzEEEEEvRNS_18TensorIteratorBaseERKT_EUlibE_EEviT1_
	.globl	_ZN2at6native32elementwise_kernel_manual_unrollILi128ELi4EZNS0_15gpu_kernel_implINS0_11FillFunctorIN3c1015Float8_e5m2fnuzEEEEEvRNS_18TensorIteratorBaseERKT_EUlibE_EEviT1_
	.p2align	8
	.type	_ZN2at6native32elementwise_kernel_manual_unrollILi128ELi4EZNS0_15gpu_kernel_implINS0_11FillFunctorIN3c1015Float8_e5m2fnuzEEEEEvRNS_18TensorIteratorBaseERKT_EUlibE_EEviT1_,@function
_ZN2at6native32elementwise_kernel_manual_unrollILi128ELi4EZNS0_15gpu_kernel_implINS0_11FillFunctorIN3c1015Float8_e5m2fnuzEEEEEvRNS_18TensorIteratorBaseERKT_EUlibE_EEviT1_: ; @_ZN2at6native32elementwise_kernel_manual_unrollILi128ELi4EZNS0_15gpu_kernel_implINS0_11FillFunctorIN3c1015Float8_e5m2fnuzEEEEEvRNS_18TensorIteratorBaseERKT_EUlibE_EEviT1_
; %bb.0:
	s_clause 0x1
	s_load_b128 s[4:7], s[0:1], 0x8
	s_load_b32 s11, s[0:1], 0x0
	v_lshl_or_b32 v17, s15, 9, v0
	s_mov_b32 s8, 0
	s_mov_b32 s2, 0
	s_mov_b32 s0, exec_lo
	s_delay_alu instid0(VALU_DEP_1) | instskip(SKIP_2) | instid1(VALU_DEP_2)
	v_or_b32_e32 v0, 0x180, v17
	s_waitcnt lgkmcnt(0)
	v_lshrrev_b16 v12, 8, s7
	v_cmpx_le_i32_e64 s11, v0
	s_xor_b32 s3, exec_lo, s0
	s_cbranch_execz .LBB126_473
; %bb.1:
	v_lshrrev_b16 v0, 2, s7
	s_and_b32 s0, s7, 3
	s_lshl_b32 s9, s7, 24
	s_clz_i32_u32 s1, s0
	s_mov_b32 s14, 0
	s_min_u32 s1, s1, 32
	v_readfirstlane_b32 s2, v0
	s_sub_i32 s10, s1, 29
	s_sub_i32 s1, 30, s1
	s_lshl_b32 s10, s7, s10
	s_mov_b32 s12, 0
	s_and_b32 s2, s2, 31
	s_and_b32 s10, s10, 3
	s_cmp_eq_u32 s2, 0
	s_mov_b32 s13, exec_lo
	s_cselect_b32 s1, s1, s2
	s_cselect_b32 s0, s10, s0
	s_lshl_b32 s1, s1, 23
	s_and_b32 s2, s9, 0x80000000
	s_add_i32 s1, s1, 0x37800000
	s_lshl_b32 s0, s0, 21
	s_or_b32 s2, s2, s1
	s_or_b32 s10, s0, s1
	;; [unrolled: 1-line block ×3, first 2 shown]
	s_and_b32 s1, s1, 0x7f800000
	v_cvt_f64_f32_e32 v[6:7], s2
	v_trunc_f32_e32 v0, s2
	v_cvt_f16_f32_e32 v14, s2
	s_or_b32 s0, s1, s0
	v_cvt_u32_f32_e32 v16, s2
	v_cvt_i32_f32_e32 v13, s2
	v_mul_f32_e64 v1, 0x2f800000, |v0|
	v_mul_f32_e32 v2, 0x2f800000, v0
	v_ashrrev_i32_e32 v5, 31, v0
	v_and_b32_e32 v15, 0xffff, v14
	s_cmp_lg_u32 s0, 0
	v_floor_f32_e32 v1, v1
	v_floor_f32_e32 v2, v2
	s_cselect_b32 s9, -1, 0
	s_mov_b32 s1, -1
	s_delay_alu instid0(VALU_DEP_2) | instskip(SKIP_3) | instid1(VALU_DEP_4)
	v_fma_f32 v3, 0xcf800000, v1, |v0|
	v_cvt_u32_f32_e32 v1, v1
	v_fmamk_f32 v0, v2, 0xcf800000, v0
	v_cvt_u32_f32_e32 v9, v2
	v_cvt_u32_f32_e32 v3, v3
	s_delay_alu instid0(VALU_DEP_4) | instskip(NEXT) | instid1(VALU_DEP_4)
	v_xor_b32_e32 v1, v1, v5
	v_cvt_u32_f32_e32 v8, v0
	s_delay_alu instid0(VALU_DEP_3) | instskip(NEXT) | instid1(VALU_DEP_1)
	v_xor_b32_e32 v3, v3, v5
	v_sub_co_u32 v4, vcc_lo, v3, v5
	s_delay_alu instid0(VALU_DEP_4)
	v_sub_co_ci_u32_e32 v5, vcc_lo, v1, v5, vcc_lo
	v_cmpx_gt_i32_e64 s11, v17
	s_cbranch_execz .LBB126_310
; %bb.2:
	v_mul_lo_u32 v0, v17, s6
	v_cmp_gt_i16_e32 vcc_lo, 11, v12
	s_delay_alu instid0(VALU_DEP_2) | instskip(SKIP_1) | instid1(VALU_DEP_1)
	v_ashrrev_i32_e32 v1, 31, v0
	v_add_co_u32 v10, s0, s4, v0
	v_add_co_ci_u32_e64 v11, s0, s5, v1, s0
	s_cbranch_vccnz .LBB126_11
; %bb.3:
	v_cmp_lt_i16_e32 vcc_lo, 25, v12
	s_cbranch_vccz .LBB126_14
; %bb.4:
	v_cmp_lt_i16_e32 vcc_lo, 28, v12
	s_cbranch_vccz .LBB126_15
	;; [unrolled: 3-line block ×4, first 2 shown]
; %bb.7:
	v_cmp_eq_u16_e32 vcc_lo, 46, v12
	s_mov_b32 s1, 0
	s_mov_b32 s12, -1
	s_mov_b32 s0, 0
	s_cbranch_vccz .LBB126_26
; %bb.8:
	v_and_b32_e64 v0, 0xff, s7
	s_delay_alu instid0(VALU_DEP_1)
	v_cmp_gt_i16_e32 vcc_lo, 0x80, v0
	s_cbranch_vccnz .LBB126_18
; %bb.9:
	v_cmp_eq_u16_e32 vcc_lo, 0x80, v0
	s_cbranch_vccz .LBB126_19
; %bb.10:
	s_mov_b32 s12, 0
	s_mov_b32 s0, 0x7f800001
	s_branch .LBB126_20
.LBB126_11:
	s_mov_b32 s0, 0
	s_and_b32 vcc_lo, exec_lo, s1
	s_cbranch_vccnz .LBB126_175
.LBB126_12:
	s_and_not1_b32 vcc_lo, exec_lo, s0
	s_cbranch_vccnz .LBB126_308
.LBB126_13:
	v_add_nc_u32_e32 v17, 0x80, v17
	s_mov_b32 s0, -1
	s_branch .LBB126_309
.LBB126_14:
	s_mov_b32 s0, 0
	s_and_b32 vcc_lo, exec_lo, s1
	s_cbranch_vccnz .LBB126_96
	s_branch .LBB126_174
.LBB126_15:
	s_mov_b32 s0, 0
	s_branch .LBB126_53
.LBB126_16:
	s_mov_b32 s0, 0
	s_branch .LBB126_40
.LBB126_17:
	s_mov_b32 s0, 0
	s_branch .LBB126_26
.LBB126_18:
	s_mov_b32 s15, -1
	s_mov_b32 s12, 0
                                        ; implicit-def: $sgpr0
	s_branch .LBB126_21
.LBB126_19:
                                        ; implicit-def: $sgpr0
.LBB126_20:
	s_mov_b32 s15, 0
.LBB126_21:
	s_delay_alu instid0(SALU_CYCLE_1)
	s_and_b32 vcc_lo, exec_lo, s15
	s_cbranch_vccz .LBB126_23
; %bb.22:
	v_cmp_ne_u16_e64 s12, 0, v0
	s_mov_b32 s0, 0
.LBB126_23:
	s_delay_alu instid0(VALU_DEP_1)
	s_and_not1_b32 vcc_lo, exec_lo, s12
	s_cbranch_vccnz .LBB126_25
; %bb.24:
	s_mov_b32 s0, s2
.LBB126_25:
	s_delay_alu instid0(SALU_CYCLE_1) | instskip(NEXT) | instid1(SALU_CYCLE_1)
	s_bfe_u32 s12, s0, 0x10010
	s_add_i32 s12, s0, s12
	v_cmp_o_f32_e64 s0, s0, s0
	s_addk_i32 s12, 0x7fff
	s_delay_alu instid0(SALU_CYCLE_1) | instskip(NEXT) | instid1(VALU_DEP_1)
	s_lshr_b32 s12, s12, 16
	s_and_b32 s0, s0, exec_lo
	s_cselect_b32 s0, s12, 0x7fc0
	s_mov_b32 s12, 0
	v_mov_b32_e32 v0, s0
	s_mov_b32 s0, -1
	global_store_b32 v[10:11], v0, off
.LBB126_26:
	s_and_b32 vcc_lo, exec_lo, s1
	s_cbranch_vccz .LBB126_39
; %bb.27:
	v_cmp_eq_u16_e32 vcc_lo, 44, v12
	s_mov_b32 s12, -1
	s_cbranch_vccz .LBB126_39
; %bb.28:
	v_and_b32_e64 v0, 0xff, s7
	s_delay_alu instid0(VALU_DEP_1)
	v_cmp_gt_i16_e32 vcc_lo, 0x80, v0
	v_readfirstlane_b32 s1, v0
	s_cbranch_vccnz .LBB126_31
; %bb.29:
	s_delay_alu instid0(VALU_DEP_1) | instskip(NEXT) | instid1(VALU_DEP_1)
	v_cmp_eq_u16_e64 s0, 0x80, s1
	s_and_b32 vcc_lo, exec_lo, s0
	s_cbranch_vccz .LBB126_32
; %bb.30:
	s_mov_b32 s12, 0
	s_mov_b32 s0, 0x7f800001
	s_branch .LBB126_33
.LBB126_31:
	s_mov_b32 s15, -1
	s_mov_b32 s12, 0
                                        ; implicit-def: $sgpr0
	s_branch .LBB126_34
.LBB126_32:
                                        ; implicit-def: $sgpr0
.LBB126_33:
	s_mov_b32 s15, 0
.LBB126_34:
	s_delay_alu instid0(SALU_CYCLE_1)
	s_and_b32 vcc_lo, exec_lo, s15
	s_cbranch_vccz .LBB126_44
; %bb.35:
	v_cmp_ne_u16_e64 s12, s1, 0
	s_and_b32 s0, 0xffff, s1
	s_delay_alu instid0(VALU_DEP_1)
	s_and_not1_b32 vcc_lo, exec_lo, s12
	s_cbranch_vccz .LBB126_45
.LBB126_36:
	v_mov_b32_e32 v0, 0xff
	s_bfe_u32 s1, s0, 0x80017
	s_delay_alu instid0(SALU_CYCLE_1)
	s_cmpk_eq_i32 s1, 0xff
	s_cbranch_scc1 .LBB126_38
.LBB126_37:
	s_lshr_b32 s12, s0, 23
	s_bitcmp1_b32 s0, 22
	s_cselect_b32 s15, -1, 0
	s_and_b32 s0, s0, 0x3fffff
	s_delay_alu instid0(SALU_CYCLE_1) | instskip(NEXT) | instid1(SALU_CYCLE_1)
	s_or_b32 s0, s1, s0
	s_cmp_lg_u32 s0, 0
	s_cselect_b32 s0, -1, 0
	s_delay_alu instid0(SALU_CYCLE_1) | instskip(NEXT) | instid1(SALU_CYCLE_1)
	s_and_b32 s0, s15, s0
	v_cndmask_b32_e64 v0, 0, 1, s0
	s_delay_alu instid0(VALU_DEP_1)
	v_add_nc_u32_e32 v0, s12, v0
.LBB126_38:
	s_mov_b32 s0, -1
	s_mov_b32 s12, 0
	global_store_b8 v[10:11], v0, off
.LBB126_39:
	s_mov_b32 s1, 0
.LBB126_40:
	s_delay_alu instid0(SALU_CYCLE_1)
	s_and_b32 vcc_lo, exec_lo, s1
	s_cbranch_vccz .LBB126_52
; %bb.41:
	v_cmp_eq_u16_e32 vcc_lo, 29, v12
	s_mov_b32 s12, -1
	s_cbranch_vccz .LBB126_52
; %bb.42:
	v_and_b32_e64 v0, 0xff, s7
	s_delay_alu instid0(VALU_DEP_1)
	v_cmp_gt_i16_e32 vcc_lo, 0x80, v0
	s_cbranch_vccnz .LBB126_46
; %bb.43:
	v_cmp_ne_u16_e64 s12, 0x80, v0
	s_mov_b32 s15, 0
	s_mov_b64 s[0:1], 0
	s_branch .LBB126_47
.LBB126_44:
	s_and_not1_b32 vcc_lo, exec_lo, s12
	s_cbranch_vccnz .LBB126_36
.LBB126_45:
	s_mov_b32 s0, s10
	v_mov_b32_e32 v0, 0xff
	s_bfe_u32 s1, s0, 0x80017
	s_delay_alu instid0(SALU_CYCLE_1)
	s_cmpk_eq_i32 s1, 0xff
	s_cbranch_scc0 .LBB126_37
	s_branch .LBB126_38
.LBB126_46:
	s_mov_b32 s15, -1
	s_mov_b32 s12, 0
                                        ; implicit-def: $sgpr0_sgpr1
.LBB126_47:
	s_and_not1_b32 vcc_lo, exec_lo, s15
	s_cbranch_vccnz .LBB126_49
; %bb.48:
	v_cmp_ne_u16_e64 s12, 0, v0
	s_mov_b64 s[0:1], 0
.LBB126_49:
	s_delay_alu instid0(SALU_CYCLE_1) | instskip(NEXT) | instid1(VALU_DEP_2)
	v_dual_mov_b32 v0, s0 :: v_dual_mov_b32 v1, s1
	s_and_not1_b32 vcc_lo, exec_lo, s12
	s_cbranch_vccnz .LBB126_51
; %bb.50:
	v_dual_mov_b32 v0, v8 :: v_dual_mov_b32 v1, v9
.LBB126_51:
	s_mov_b32 s0, -1
	s_mov_b32 s12, 0
	global_store_b64 v[10:11], v[0:1], off
.LBB126_52:
	s_mov_b32 s1, 0
.LBB126_53:
	s_delay_alu instid0(SALU_CYCLE_1)
	s_and_b32 vcc_lo, exec_lo, s1
	s_cbranch_vccz .LBB126_95
; %bb.54:
	v_cmp_gt_i16_e32 vcc_lo, 27, v12
	s_mov_b32 s0, -1
	s_cbranch_vccnz .LBB126_74
; %bb.55:
	v_cmp_lt_i16_e32 vcc_lo, 27, v12
	s_cbranch_vccz .LBB126_64
; %bb.56:
	v_and_b32_e64 v0, 0xff, s7
	s_delay_alu instid0(VALU_DEP_1)
	v_cmp_gt_i16_e32 vcc_lo, 0x80, v0
	s_cbranch_vccnz .LBB126_58
; %bb.57:
	v_cmp_ne_u16_e64 s0, 0x80, v0
	s_mov_b32 s15, 0
	s_mov_b32 s1, 0
	s_branch .LBB126_59
.LBB126_58:
	s_mov_b32 s15, -1
	s_mov_b32 s0, 0
                                        ; implicit-def: $sgpr1
.LBB126_59:
	s_and_not1_b32 vcc_lo, exec_lo, s15
	s_cbranch_vccnz .LBB126_61
; %bb.60:
	v_cmp_ne_u16_e64 s0, 0, v0
	s_mov_b32 s1, 0
.LBB126_61:
	s_delay_alu instid0(SALU_CYCLE_1) | instskip(NEXT) | instid1(VALU_DEP_2)
	v_mov_b32_e32 v0, s1
	s_and_not1_b32 vcc_lo, exec_lo, s0
	s_cbranch_vccnz .LBB126_63
; %bb.62:
	v_mov_b32_e32 v0, v16
.LBB126_63:
	s_mov_b32 s0, 0
	global_store_b32 v[10:11], v0, off
.LBB126_64:
	s_and_b32 vcc_lo, exec_lo, s0
	s_cbranch_vccz .LBB126_73
; %bb.65:
	v_and_b32_e64 v0, 0xff, s7
	s_delay_alu instid0(VALU_DEP_1)
	v_cmp_gt_i16_e32 vcc_lo, 0x80, v0
	s_cbranch_vccnz .LBB126_67
; %bb.66:
	v_cmp_ne_u16_e64 s0, 0x80, v0
	s_mov_b32 s15, 0
	s_mov_b32 s1, 0
	s_branch .LBB126_68
.LBB126_67:
	s_mov_b32 s15, -1
	s_mov_b32 s0, 0
                                        ; implicit-def: $sgpr1
.LBB126_68:
	s_and_not1_b32 vcc_lo, exec_lo, s15
	s_cbranch_vccnz .LBB126_70
; %bb.69:
	v_cmp_ne_u16_e64 s0, 0, v0
	s_mov_b32 s1, 0
.LBB126_70:
	s_delay_alu instid0(SALU_CYCLE_1) | instskip(NEXT) | instid1(VALU_DEP_2)
	v_mov_b32_e32 v0, s1
	s_and_not1_b32 vcc_lo, exec_lo, s0
	s_cbranch_vccnz .LBB126_72
; %bb.71:
	v_mov_b32_e32 v0, v16
.LBB126_72:
	global_store_b16 v[10:11], v0, off
.LBB126_73:
	s_mov_b32 s0, 0
.LBB126_74:
	s_delay_alu instid0(SALU_CYCLE_1)
	s_and_not1_b32 vcc_lo, exec_lo, s0
	s_cbranch_vccnz .LBB126_94
; %bb.75:
	v_and_b32_e64 v0, 0xff, s7
	s_delay_alu instid0(VALU_DEP_1)
	v_cmp_gt_i16_e32 vcc_lo, 0x80, v0
	s_cbranch_vccnz .LBB126_78
; %bb.76:
	v_cmp_eq_u16_e32 vcc_lo, 0x80, v0
	s_cbranch_vccz .LBB126_79
; %bb.77:
	s_mov_b32 s1, 0
	s_mov_b32 s0, 0x7f800001
	s_branch .LBB126_80
.LBB126_78:
	s_mov_b32 s15, -1
	s_mov_b32 s1, 0
                                        ; implicit-def: $sgpr0
	s_branch .LBB126_81
.LBB126_79:
	s_mov_b32 s1, -1
                                        ; implicit-def: $sgpr0
.LBB126_80:
	s_mov_b32 s15, 0
.LBB126_81:
	s_delay_alu instid0(SALU_CYCLE_1)
	s_and_b32 vcc_lo, exec_lo, s15
	s_cbranch_vccz .LBB126_84
; %bb.82:
	v_cmp_ne_u16_e64 s1, 0, v0
	s_mov_b32 s0, 0
	s_delay_alu instid0(VALU_DEP_1)
	s_and_not1_b32 vcc_lo, exec_lo, s1
	s_cbranch_vccz .LBB126_85
.LBB126_83:
	v_mov_b32_e32 v1, 0x80
	s_and_b32 s1, s0, 0x7fffffff
	s_delay_alu instid0(SALU_CYCLE_1)
	s_cmp_gt_u32 s1, 0x437fffff
	s_cbranch_scc0 .LBB126_86
	s_branch .LBB126_93
.LBB126_84:
	s_and_not1_b32 vcc_lo, exec_lo, s1
	s_cbranch_vccnz .LBB126_83
.LBB126_85:
	s_mov_b32 s0, s2
	v_mov_b32_e32 v1, 0x80
	s_and_b32 s1, s0, 0x7fffffff
	s_delay_alu instid0(SALU_CYCLE_1)
	s_cmp_gt_u32 s1, 0x437fffff
	s_cbranch_scc1 .LBB126_93
.LBB126_86:
	s_cmp_gt_u32 s1, 0x3bffffff
	s_cbranch_scc0 .LBB126_88
; %bb.87:
	s_bfe_u32 s1, s0, 0x10014
	s_mov_b32 s15, 0
	s_add_i32 s1, s0, s1
	s_delay_alu instid0(SALU_CYCLE_1) | instskip(NEXT) | instid1(SALU_CYCLE_1)
	s_add_i32 s1, s1, 0x487ffff
	s_lshr_b32 s16, s1, 20
	s_mov_b32 s1, -1
	s_branch .LBB126_89
.LBB126_88:
	s_mov_b32 s15, -1
	s_mov_b32 s1, 0
                                        ; implicit-def: $sgpr16
.LBB126_89:
	v_mov_b32_e32 v0, s16
	s_and_not1_b32 vcc_lo, exec_lo, s15
                                        ; implicit-def: $sgpr15
	s_cbranch_vccnz .LBB126_91
; %bb.90:
	v_add_f32_e64 v0, 0x46000000, |s0|
	s_mov_b32 s15, 0
	s_delay_alu instid0(VALU_DEP_1) | instskip(NEXT) | instid1(VALU_DEP_1)
	v_and_b32_e32 v0, 0xff, v0
	v_cmp_ne_u32_e64 s1, 0, v0
.LBB126_91:
	v_mov_b32_e32 v1, s15
	s_delay_alu instid0(VALU_DEP_2)
	s_and_not1_b32 vcc_lo, exec_lo, s1
	s_cbranch_vccnz .LBB126_93
; %bb.92:
	s_lshr_b32 s0, s0, 24
	s_delay_alu instid0(SALU_CYCLE_1) | instskip(NEXT) | instid1(SALU_CYCLE_1)
	s_and_b32 s0, s0, 0x80
	v_or_b32_e32 v1, s0, v0
.LBB126_93:
	global_store_b8 v[10:11], v1, off
.LBB126_94:
	s_mov_b32 s0, -1
.LBB126_95:
	s_branch .LBB126_174
.LBB126_96:
	v_cmp_lt_i16_e32 vcc_lo, 22, v12
	s_mov_b32 s1, -1
	s_cbranch_vccz .LBB126_146
; %bb.97:
	v_cmp_gt_i16_e32 vcc_lo, 24, v12
	s_mov_b32 s0, -1
	s_cbranch_vccnz .LBB126_123
; %bb.98:
	v_cmp_lt_i16_e32 vcc_lo, 24, v12
	s_cbranch_vccz .LBB126_100
; %bb.99:
	v_mov_b32_e32 v0, s7
	s_mov_b32 s0, 0
	global_store_b8 v[10:11], v0, off
.LBB126_100:
	s_and_not1_b32 vcc_lo, exec_lo, s0
	s_cbranch_vccnz .LBB126_122
; %bb.101:
	v_and_b32_e64 v0, 0xff, s7
	s_delay_alu instid0(VALU_DEP_1)
	v_cmp_gt_i16_e32 vcc_lo, 0x80, v0
	s_cbranch_vccnz .LBB126_104
; %bb.102:
	v_cmp_eq_u16_e32 vcc_lo, 0x80, v0
	s_cbranch_vccz .LBB126_105
; %bb.103:
	s_mov_b32 s1, 0
	s_mov_b32 s0, 0x7f800001
	s_branch .LBB126_106
.LBB126_104:
	s_mov_b32 s15, -1
	s_mov_b32 s1, 0
                                        ; implicit-def: $sgpr0
	s_branch .LBB126_107
.LBB126_105:
                                        ; implicit-def: $sgpr0
.LBB126_106:
	s_mov_b32 s15, 0
.LBB126_107:
	s_delay_alu instid0(SALU_CYCLE_1)
	s_and_b32 vcc_lo, exec_lo, s15
	s_cbranch_vccz .LBB126_112
; %bb.108:
	v_cmp_ne_u16_e64 s1, 0, v0
	s_mov_b32 s0, 0
	s_delay_alu instid0(VALU_DEP_1)
	s_and_not1_b32 vcc_lo, exec_lo, s1
	s_cbranch_vccz .LBB126_113
.LBB126_109:
	s_and_b32 s1, s0, 0x7fffffff
	s_delay_alu instid0(SALU_CYCLE_1)
	s_cmp_lt_u32 s1, 0x43f00000
	s_cbranch_scc0 .LBB126_114
.LBB126_110:
	s_cmp_gt_u32 s1, 0x3c7fffff
	s_cbranch_scc0 .LBB126_115
; %bb.111:
	s_bfe_u32 s15, s0, 0x10014
	s_delay_alu instid0(SALU_CYCLE_1) | instskip(NEXT) | instid1(SALU_CYCLE_1)
	s_add_i32 s15, s0, s15
	s_add_i32 s15, s15, 0x407ffff
	s_delay_alu instid0(SALU_CYCLE_1)
	s_and_b32 s16, s15, 0xff00000
	s_lshr_b32 s15, s15, 20
	s_cmp_lg_u32 s16, 0x7f00000
	s_cselect_b32 s16, s15, 0x7e
	s_mov_b32 s15, 0
	s_branch .LBB126_116
.LBB126_112:
	s_and_not1_b32 vcc_lo, exec_lo, s1
	s_cbranch_vccnz .LBB126_109
.LBB126_113:
	s_mov_b32 s0, s2
	s_delay_alu instid0(SALU_CYCLE_1) | instskip(NEXT) | instid1(SALU_CYCLE_1)
	s_and_b32 s1, s0, 0x7fffffff
	s_cmp_lt_u32 s1, 0x43f00000
	s_cbranch_scc1 .LBB126_110
.LBB126_114:
	s_mov_b32 s15, -1
                                        ; implicit-def: $vgpr0
	s_branch .LBB126_119
.LBB126_115:
	s_mov_b32 s15, -1
                                        ; implicit-def: $sgpr16
.LBB126_116:
	v_mov_b32_e32 v0, s16
	s_and_not1_b32 vcc_lo, exec_lo, s15
	s_cbranch_vccnz .LBB126_118
; %bb.117:
	v_add_f32_e64 v0, 0x46800000, |s0|
.LBB126_118:
	s_mov_b32 s15, 0
.LBB126_119:
	s_delay_alu instid0(SALU_CYCLE_1)
	s_and_not1_b32 vcc_lo, exec_lo, s15
	s_cbranch_vccnz .LBB126_121
; %bb.120:
	s_cmp_gt_u32 s1, 0x7f800000
	s_movk_i32 s1, 0x7f
	s_delay_alu instid0(SALU_CYCLE_1) | instskip(NEXT) | instid1(SALU_CYCLE_1)
	s_cselect_b32 s1, s1, 0x7e
	v_mov_b32_e32 v0, s1
.LBB126_121:
	s_lshr_b32 s0, s0, 24
	s_delay_alu instid0(SALU_CYCLE_1)
	s_and_b32 s0, s0, 0x80
	s_delay_alu instid0(VALU_DEP_1) | instid1(SALU_CYCLE_1)
	v_or_b32_e32 v0, s0, v0
	global_store_b8 v[10:11], v0, off
.LBB126_122:
	s_mov_b32 s0, 0
.LBB126_123:
	s_delay_alu instid0(SALU_CYCLE_1)
	s_and_not1_b32 vcc_lo, exec_lo, s0
	s_cbranch_vccnz .LBB126_145
; %bb.124:
	v_and_b32_e64 v0, 0xff, s7
	s_delay_alu instid0(VALU_DEP_1)
	v_cmp_gt_i16_e32 vcc_lo, 0x80, v0
	s_cbranch_vccnz .LBB126_127
; %bb.125:
	v_cmp_eq_u16_e32 vcc_lo, 0x80, v0
	s_cbranch_vccz .LBB126_128
; %bb.126:
	s_mov_b32 s1, 0
	s_mov_b32 s0, 0x7f800001
	s_branch .LBB126_129
.LBB126_127:
	s_mov_b32 s15, -1
	s_mov_b32 s1, 0
                                        ; implicit-def: $sgpr0
	s_branch .LBB126_130
.LBB126_128:
	s_mov_b32 s1, -1
                                        ; implicit-def: $sgpr0
.LBB126_129:
	s_mov_b32 s15, 0
.LBB126_130:
	s_delay_alu instid0(SALU_CYCLE_1)
	s_and_b32 vcc_lo, exec_lo, s15
	s_cbranch_vccz .LBB126_135
; %bb.131:
	v_cmp_ne_u16_e64 s1, 0, v0
	s_mov_b32 s0, 0
	s_delay_alu instid0(VALU_DEP_1)
	s_and_not1_b32 vcc_lo, exec_lo, s1
	s_cbranch_vccz .LBB126_136
.LBB126_132:
	s_and_b32 s1, s0, 0x7fffffff
	s_delay_alu instid0(SALU_CYCLE_1)
	s_cmp_lt_u32 s1, 0x47800000
	s_cbranch_scc0 .LBB126_137
.LBB126_133:
	s_cmp_gt_u32 s1, 0x387fffff
	s_cbranch_scc0 .LBB126_138
; %bb.134:
	s_bfe_u32 s15, s0, 0x10015
	s_delay_alu instid0(SALU_CYCLE_1) | instskip(NEXT) | instid1(SALU_CYCLE_1)
	s_add_i32 s15, s0, s15
	s_add_i32 s15, s15, 0x80fffff
	s_delay_alu instid0(SALU_CYCLE_1)
	s_lshr_b32 s16, s15, 21
	s_mov_b32 s15, 0
	s_branch .LBB126_139
.LBB126_135:
	s_and_not1_b32 vcc_lo, exec_lo, s1
	s_cbranch_vccnz .LBB126_132
.LBB126_136:
	s_mov_b32 s0, s2
	s_delay_alu instid0(SALU_CYCLE_1) | instskip(NEXT) | instid1(SALU_CYCLE_1)
	s_and_b32 s1, s0, 0x7fffffff
	s_cmp_lt_u32 s1, 0x47800000
	s_cbranch_scc1 .LBB126_133
.LBB126_137:
	s_mov_b32 s15, -1
                                        ; implicit-def: $vgpr0
	s_branch .LBB126_142
.LBB126_138:
	s_mov_b32 s15, -1
                                        ; implicit-def: $sgpr16
.LBB126_139:
	v_mov_b32_e32 v0, s16
	s_and_not1_b32 vcc_lo, exec_lo, s15
	s_cbranch_vccnz .LBB126_141
; %bb.140:
	v_add_f32_e64 v0, 0x43000000, |s0|
.LBB126_141:
	s_mov_b32 s15, 0
.LBB126_142:
	s_delay_alu instid0(SALU_CYCLE_1)
	s_and_not1_b32 vcc_lo, exec_lo, s15
	s_cbranch_vccnz .LBB126_144
; %bb.143:
	s_cmp_gt_u32 s1, 0x7f800000
	s_movk_i32 s1, 0x7f
	s_delay_alu instid0(SALU_CYCLE_1) | instskip(NEXT) | instid1(SALU_CYCLE_1)
	s_cselect_b32 s1, s1, 0x7c
	v_mov_b32_e32 v0, s1
.LBB126_144:
	s_lshr_b32 s0, s0, 24
	s_delay_alu instid0(SALU_CYCLE_1)
	s_and_b32 s0, s0, 0x80
	s_delay_alu instid0(VALU_DEP_1) | instid1(SALU_CYCLE_1)
	v_or_b32_e32 v0, s0, v0
	global_store_b8 v[10:11], v0, off
.LBB126_145:
	s_mov_b32 s1, 0
	s_mov_b32 s0, -1
.LBB126_146:
	s_and_not1_b32 vcc_lo, exec_lo, s1
	s_cbranch_vccnz .LBB126_174
; %bb.147:
	v_cmp_lt_i16_e32 vcc_lo, 14, v12
	s_mov_b32 s1, -1
	s_cbranch_vccz .LBB126_161
; %bb.148:
	v_cmp_eq_u16_e32 vcc_lo, 15, v12
	s_mov_b32 s12, -1
	s_cbranch_vccz .LBB126_160
; %bb.149:
	v_and_b32_e64 v0, 0xff, s7
	s_delay_alu instid0(VALU_DEP_1)
	v_cmp_gt_i16_e32 vcc_lo, 0x80, v0
	s_cbranch_vccnz .LBB126_152
; %bb.150:
	v_cmp_eq_u16_e32 vcc_lo, 0x80, v0
	s_cbranch_vccz .LBB126_153
; %bb.151:
	s_mov_b32 s1, 0
	s_mov_b32 s0, 0x7f800001
	s_branch .LBB126_154
.LBB126_152:
	s_mov_b32 s1, 0
                                        ; implicit-def: $sgpr0
	s_branch .LBB126_155
.LBB126_153:
                                        ; implicit-def: $sgpr0
.LBB126_154:
	s_mov_b32 s12, 0
.LBB126_155:
	s_delay_alu instid0(SALU_CYCLE_1)
	s_and_b32 vcc_lo, exec_lo, s12
	s_cbranch_vccz .LBB126_157
; %bb.156:
	v_cmp_ne_u16_e64 s1, 0, v0
	s_mov_b32 s0, 0
.LBB126_157:
	s_delay_alu instid0(VALU_DEP_1)
	s_and_not1_b32 vcc_lo, exec_lo, s1
	s_cbranch_vccnz .LBB126_159
; %bb.158:
	s_mov_b32 s0, s2
.LBB126_159:
	s_delay_alu instid0(SALU_CYCLE_1) | instskip(SKIP_4) | instid1(SALU_CYCLE_1)
	s_bfe_u32 s1, s0, 0x10010
	s_mov_b32 s12, 0
	s_add_i32 s1, s0, s1
	v_cmp_o_f32_e64 s0, s0, s0
	s_addk_i32 s1, 0x7fff
	s_lshr_b32 s1, s1, 16
	s_delay_alu instid0(VALU_DEP_1) | instskip(SKIP_1) | instid1(SALU_CYCLE_1)
	s_and_b32 s0, s0, exec_lo
	s_cselect_b32 s0, s1, 0x7fc0
	v_mov_b32_e32 v0, s0
	s_mov_b32 s0, -1
	global_store_b16 v[10:11], v0, off
.LBB126_160:
	s_mov_b32 s1, 0
.LBB126_161:
	s_delay_alu instid0(SALU_CYCLE_1)
	s_and_b32 vcc_lo, exec_lo, s1
	s_cbranch_vccz .LBB126_174
; %bb.162:
	v_cmp_eq_u16_e32 vcc_lo, 11, v12
	s_mov_b32 s12, -1
	s_cbranch_vccz .LBB126_174
; %bb.163:
	v_and_b32_e64 v0, 0xff, s7
	s_delay_alu instid0(VALU_DEP_1)
	v_cmp_gt_i16_e32 vcc_lo, 0x80, v0
	s_cbranch_vccnz .LBB126_166
; %bb.164:
	v_cmp_eq_u16_e32 vcc_lo, 0x80, v0
	s_cbranch_vccz .LBB126_167
; %bb.165:
	s_mov_b32 s1, 0
	s_mov_b32 s0, -1
	s_branch .LBB126_168
.LBB126_166:
	s_mov_b32 s1, 0
                                        ; implicit-def: $sgpr0
	s_branch .LBB126_169
.LBB126_167:
	s_mov_b32 s1, -1
                                        ; implicit-def: $sgpr0
.LBB126_168:
	s_mov_b32 s12, 0
.LBB126_169:
	s_delay_alu instid0(SALU_CYCLE_1)
	s_and_b32 vcc_lo, exec_lo, s12
	s_cbranch_vccz .LBB126_171
; %bb.170:
	v_cmp_ne_u16_e64 s1, 0, v0
	s_mov_b32 s0, 0
.LBB126_171:
	s_delay_alu instid0(VALU_DEP_1)
	s_and_not1_b32 vcc_lo, exec_lo, s1
	s_cbranch_vccnz .LBB126_173
; %bb.172:
	s_mov_b32 s0, s9
.LBB126_173:
	s_delay_alu instid0(SALU_CYCLE_1)
	v_cndmask_b32_e64 v0, 0, 1, s0
	s_mov_b32 s0, -1
	s_mov_b32 s12, 0
	global_store_b8 v[10:11], v0, off
.LBB126_174:
	s_branch .LBB126_12
.LBB126_175:
	v_cmp_gt_i16_e32 vcc_lo, 5, v12
	s_mov_b32 s0, -1
	s_cbranch_vccnz .LBB126_256
; %bb.176:
	v_cmp_gt_i16_e32 vcc_lo, 8, v12
	s_cbranch_vccnz .LBB126_216
; %bb.177:
	v_cmp_gt_i16_e32 vcc_lo, 9, v12
	s_cbranch_vccnz .LBB126_203
; %bb.178:
	v_cmp_lt_i16_e32 vcc_lo, 9, v12
	s_cbranch_vccz .LBB126_190
; %bb.179:
	v_and_b32_e64 v0, 0xff, s7
	s_delay_alu instid0(VALU_DEP_1)
	v_cmp_gt_i16_e32 vcc_lo, 0x80, v0
	s_cbranch_vccnz .LBB126_182
; %bb.180:
	v_cmp_eq_u16_e32 vcc_lo, 0x80, v0
	s_cbranch_vccz .LBB126_183
; %bb.181:
	s_mov_b32 s15, 0
	s_mov_b32 s1, 0x7ff80000
	s_brev_b32 s0, 4
	s_branch .LBB126_184
.LBB126_182:
	s_mov_b32 s16, -1
	s_mov_b32 s15, 0
                                        ; implicit-def: $sgpr0_sgpr1
	s_branch .LBB126_185
.LBB126_183:
	s_mov_b32 s15, -1
                                        ; implicit-def: $sgpr0_sgpr1
.LBB126_184:
	s_mov_b32 s16, 0
.LBB126_185:
	s_delay_alu instid0(SALU_CYCLE_1)
	s_and_b32 vcc_lo, exec_lo, s16
	s_cbranch_vccz .LBB126_187
; %bb.186:
	v_cmp_ne_u16_e64 s15, 0, v0
	s_mov_b64 s[0:1], 0
.LBB126_187:
	s_delay_alu instid0(SALU_CYCLE_1) | instskip(NEXT) | instid1(VALU_DEP_2)
	v_dual_mov_b32 v0, s0 :: v_dual_mov_b32 v1, s1
	s_and_not1_b32 vcc_lo, exec_lo, s15
	s_cbranch_vccnz .LBB126_189
; %bb.188:
	v_dual_mov_b32 v0, v6 :: v_dual_mov_b32 v1, v7
.LBB126_189:
	v_mov_b32_e32 v2, 0
	s_mov_b32 s0, 0
	s_delay_alu instid0(VALU_DEP_1)
	v_mov_b32_e32 v3, v2
	global_store_b128 v[10:11], v[0:3], off
.LBB126_190:
	s_and_b32 vcc_lo, exec_lo, s0
	s_cbranch_vccz .LBB126_202
; %bb.191:
	v_and_b32_e64 v1, 0xff, s7
	s_delay_alu instid0(VALU_DEP_1)
	v_cmp_gt_i16_e32 vcc_lo, 0x80, v1
	s_cbranch_vccnz .LBB126_194
; %bb.192:
	v_cmp_eq_u16_e32 vcc_lo, 0x80, v1
	s_cbranch_vccz .LBB126_195
; %bb.193:
	s_mov_b32 s0, 0
	s_mov_b32 s1, 0x7f800001
	s_branch .LBB126_196
.LBB126_194:
	s_mov_b32 s15, -1
	s_mov_b32 s0, 0
                                        ; implicit-def: $sgpr1
	s_branch .LBB126_197
.LBB126_195:
	s_mov_b32 s0, -1
                                        ; implicit-def: $sgpr1
.LBB126_196:
	s_mov_b32 s15, 0
.LBB126_197:
	v_mov_b32_e32 v0, s1
	s_and_b32 vcc_lo, exec_lo, s15
	s_cbranch_vccz .LBB126_199
; %bb.198:
	v_and_b32_e32 v0, 0xffff, v1
	v_cmp_ne_u16_e64 s0, 0, v1
.LBB126_199:
	s_delay_alu instid0(VALU_DEP_1)
	s_and_not1_b32 vcc_lo, exec_lo, s0
	s_cbranch_vccnz .LBB126_201
; %bb.200:
	v_mov_b32_e32 v0, s2
.LBB126_201:
	v_mov_b32_e32 v1, 0
	global_store_b64 v[10:11], v[0:1], off
.LBB126_202:
	s_mov_b32 s0, 0
.LBB126_203:
	s_delay_alu instid0(SALU_CYCLE_1)
	s_and_not1_b32 vcc_lo, exec_lo, s0
	s_cbranch_vccnz .LBB126_215
; %bb.204:
	v_and_b32_e64 v0, 0xff, s7
	s_delay_alu instid0(VALU_DEP_1)
	v_cmp_gt_i16_e32 vcc_lo, 0x80, v0
	s_cbranch_vccnz .LBB126_207
; %bb.205:
	v_cmp_eq_u16_e32 vcc_lo, 0x80, v0
	s_cbranch_vccz .LBB126_208
; %bb.206:
	s_mov_b32 s0, 0
	s_movk_i32 s1, 0x7e00
	s_branch .LBB126_209
.LBB126_207:
	s_mov_b32 s15, -1
	s_mov_b32 s0, 0
                                        ; implicit-def: $sgpr1
	s_branch .LBB126_210
.LBB126_208:
	s_mov_b32 s0, -1
                                        ; implicit-def: $sgpr1
.LBB126_209:
	s_mov_b32 s15, 0
.LBB126_210:
	v_mov_b32_e32 v1, s1
	s_and_b32 vcc_lo, exec_lo, s15
	s_cbranch_vccz .LBB126_212
; %bb.211:
	v_and_b32_e32 v1, 0xffff, v0
	v_cmp_ne_u16_e64 s0, 0, v0
.LBB126_212:
	s_delay_alu instid0(VALU_DEP_1)
	s_and_not1_b32 vcc_lo, exec_lo, s0
	s_cbranch_vccnz .LBB126_214
; %bb.213:
	v_mov_b32_e32 v1, v15
.LBB126_214:
	global_store_b32 v[10:11], v1, off
.LBB126_215:
	s_mov_b32 s0, 0
.LBB126_216:
	s_delay_alu instid0(SALU_CYCLE_1)
	s_and_not1_b32 vcc_lo, exec_lo, s0
	s_cbranch_vccnz .LBB126_255
; %bb.217:
	v_cmp_gt_i16_e32 vcc_lo, 6, v12
	s_mov_b32 s0, -1
	s_cbranch_vccnz .LBB126_243
; %bb.218:
	v_cmp_lt_i16_e32 vcc_lo, 6, v12
	s_cbranch_vccz .LBB126_230
; %bb.219:
	v_and_b32_e64 v0, 0xff, s7
	s_delay_alu instid0(VALU_DEP_1)
	v_cmp_gt_i16_e32 vcc_lo, 0x80, v0
	s_cbranch_vccnz .LBB126_222
; %bb.220:
	v_cmp_eq_u16_e32 vcc_lo, 0x80, v0
	s_cbranch_vccz .LBB126_223
; %bb.221:
	s_mov_b32 s15, 0
	s_mov_b32 s1, 0x7ff80000
	s_brev_b32 s0, 4
	s_branch .LBB126_224
.LBB126_222:
	s_mov_b32 s16, -1
	s_mov_b32 s15, 0
                                        ; implicit-def: $sgpr0_sgpr1
	s_branch .LBB126_225
.LBB126_223:
	s_mov_b32 s15, -1
                                        ; implicit-def: $sgpr0_sgpr1
.LBB126_224:
	s_mov_b32 s16, 0
.LBB126_225:
	s_delay_alu instid0(SALU_CYCLE_1)
	s_and_b32 vcc_lo, exec_lo, s16
	s_cbranch_vccz .LBB126_227
; %bb.226:
	v_cmp_ne_u16_e64 s15, 0, v0
	s_mov_b64 s[0:1], 0
.LBB126_227:
	s_delay_alu instid0(SALU_CYCLE_1) | instskip(NEXT) | instid1(VALU_DEP_2)
	v_dual_mov_b32 v0, s0 :: v_dual_mov_b32 v1, s1
	s_and_not1_b32 vcc_lo, exec_lo, s15
	s_cbranch_vccnz .LBB126_229
; %bb.228:
	v_dual_mov_b32 v0, v6 :: v_dual_mov_b32 v1, v7
.LBB126_229:
	s_mov_b32 s0, 0
	global_store_b64 v[10:11], v[0:1], off
.LBB126_230:
	s_and_b32 vcc_lo, exec_lo, s0
	s_cbranch_vccz .LBB126_242
; %bb.231:
	v_and_b32_e64 v0, 0xff, s7
	s_delay_alu instid0(VALU_DEP_1)
	v_cmp_gt_i16_e32 vcc_lo, 0x80, v0
	s_cbranch_vccnz .LBB126_234
; %bb.232:
	v_cmp_eq_u16_e32 vcc_lo, 0x80, v0
	s_cbranch_vccz .LBB126_235
; %bb.233:
	s_mov_b32 s1, 0
	s_mov_b32 s0, 0x7f800001
	s_branch .LBB126_236
.LBB126_234:
	s_mov_b32 s15, -1
	s_mov_b32 s1, 0
                                        ; implicit-def: $sgpr0
	s_branch .LBB126_237
.LBB126_235:
	s_mov_b32 s1, -1
                                        ; implicit-def: $sgpr0
.LBB126_236:
	s_mov_b32 s15, 0
.LBB126_237:
	s_delay_alu instid0(SALU_CYCLE_1)
	s_and_b32 vcc_lo, exec_lo, s15
	s_cbranch_vccz .LBB126_239
; %bb.238:
	v_cmp_ne_u16_e64 s1, 0, v0
	s_mov_b32 s0, 0
.LBB126_239:
	s_delay_alu instid0(VALU_DEP_1)
	s_and_not1_b32 vcc_lo, exec_lo, s1
	s_cbranch_vccnz .LBB126_241
; %bb.240:
	s_mov_b32 s0, s2
.LBB126_241:
	s_delay_alu instid0(SALU_CYCLE_1)
	v_mov_b32_e32 v0, s0
	global_store_b32 v[10:11], v0, off
.LBB126_242:
	s_mov_b32 s0, 0
.LBB126_243:
	s_delay_alu instid0(SALU_CYCLE_1)
	s_and_not1_b32 vcc_lo, exec_lo, s0
	s_cbranch_vccnz .LBB126_255
; %bb.244:
	v_and_b32_e64 v0, 0xff, s7
	s_delay_alu instid0(VALU_DEP_1)
	v_cmp_gt_i16_e32 vcc_lo, 0x80, v0
	s_cbranch_vccnz .LBB126_247
; %bb.245:
	v_cmp_eq_u16_e32 vcc_lo, 0x80, v0
	s_cbranch_vccz .LBB126_248
; %bb.246:
	s_mov_b32 s0, 0
	s_movk_i32 s1, 0x7e00
	s_branch .LBB126_249
.LBB126_247:
	s_mov_b32 s15, -1
	s_mov_b32 s0, 0
                                        ; implicit-def: $sgpr1
	s_branch .LBB126_250
.LBB126_248:
	s_mov_b32 s0, -1
                                        ; implicit-def: $sgpr1
.LBB126_249:
	s_mov_b32 s15, 0
.LBB126_250:
	v_mov_b32_e32 v1, s1
	s_and_b32 vcc_lo, exec_lo, s15
	s_cbranch_vccz .LBB126_252
; %bb.251:
	v_cmp_ne_u16_e64 s0, 0, v0
	v_mov_b32_e32 v1, v0
.LBB126_252:
	s_delay_alu instid0(VALU_DEP_2)
	s_and_not1_b32 vcc_lo, exec_lo, s0
	s_cbranch_vccnz .LBB126_254
; %bb.253:
	v_mov_b32_e32 v1, v14
.LBB126_254:
	global_store_b16 v[10:11], v1, off
.LBB126_255:
	s_mov_b32 s0, 0
.LBB126_256:
	s_delay_alu instid0(SALU_CYCLE_1)
	s_and_not1_b32 vcc_lo, exec_lo, s0
	s_cbranch_vccnz .LBB126_307
; %bb.257:
	v_cmp_gt_i16_e32 vcc_lo, 2, v12
	s_mov_b32 s0, -1
	s_cbranch_vccnz .LBB126_288
; %bb.258:
	v_cmp_gt_i16_e32 vcc_lo, 3, v12
	s_cbranch_vccnz .LBB126_278
; %bb.259:
	v_cmp_lt_i16_e32 vcc_lo, 3, v12
	s_cbranch_vccz .LBB126_268
; %bb.260:
	v_and_b32_e64 v0, 0xff, s7
	s_delay_alu instid0(VALU_DEP_1)
	v_cmp_gt_i16_e32 vcc_lo, 0x80, v0
	s_cbranch_vccnz .LBB126_262
; %bb.261:
	v_cmp_ne_u16_e64 s15, 0x80, v0
	s_mov_b32 s16, 0
	s_mov_b64 s[0:1], 0
	s_branch .LBB126_263
.LBB126_262:
	s_mov_b32 s16, -1
	s_mov_b32 s15, 0
                                        ; implicit-def: $sgpr0_sgpr1
.LBB126_263:
	s_and_not1_b32 vcc_lo, exec_lo, s16
	s_cbranch_vccnz .LBB126_265
; %bb.264:
	v_cmp_ne_u16_e64 s15, 0, v0
	s_mov_b64 s[0:1], 0
.LBB126_265:
	s_delay_alu instid0(SALU_CYCLE_1) | instskip(NEXT) | instid1(VALU_DEP_2)
	v_dual_mov_b32 v0, s0 :: v_dual_mov_b32 v1, s1
	s_and_not1_b32 vcc_lo, exec_lo, s15
	s_cbranch_vccnz .LBB126_267
; %bb.266:
	v_dual_mov_b32 v0, v4 :: v_dual_mov_b32 v1, v5
.LBB126_267:
	s_mov_b32 s0, 0
	global_store_b64 v[10:11], v[0:1], off
.LBB126_268:
	s_and_b32 vcc_lo, exec_lo, s0
	s_cbranch_vccz .LBB126_277
; %bb.269:
	v_and_b32_e64 v0, 0xff, s7
	s_delay_alu instid0(VALU_DEP_1)
	v_cmp_gt_i16_e32 vcc_lo, 0x80, v0
	s_cbranch_vccnz .LBB126_271
; %bb.270:
	v_cmp_ne_u16_e64 s0, 0x80, v0
	s_mov_b32 s15, 0
	s_mov_b32 s1, 0
	s_branch .LBB126_272
.LBB126_271:
	s_mov_b32 s15, -1
	s_mov_b32 s0, 0
                                        ; implicit-def: $sgpr1
.LBB126_272:
	s_and_not1_b32 vcc_lo, exec_lo, s15
	s_cbranch_vccnz .LBB126_274
; %bb.273:
	v_cmp_ne_u16_e64 s0, 0, v0
	s_mov_b32 s1, 0
.LBB126_274:
	s_delay_alu instid0(SALU_CYCLE_1) | instskip(NEXT) | instid1(VALU_DEP_2)
	v_mov_b32_e32 v0, s1
	s_and_not1_b32 vcc_lo, exec_lo, s0
	s_cbranch_vccnz .LBB126_276
; %bb.275:
	v_mov_b32_e32 v0, v13
.LBB126_276:
	global_store_b32 v[10:11], v0, off
.LBB126_277:
	s_mov_b32 s0, 0
.LBB126_278:
	s_delay_alu instid0(SALU_CYCLE_1)
	s_and_not1_b32 vcc_lo, exec_lo, s0
	s_cbranch_vccnz .LBB126_287
; %bb.279:
	v_and_b32_e64 v0, 0xff, s7
	s_delay_alu instid0(VALU_DEP_1)
	v_cmp_gt_i16_e32 vcc_lo, 0x80, v0
	s_cbranch_vccnz .LBB126_281
; %bb.280:
	v_cmp_ne_u16_e64 s0, 0x80, v0
	s_mov_b32 s15, 0
	s_mov_b32 s1, 0
	s_branch .LBB126_282
.LBB126_281:
	s_mov_b32 s15, -1
	s_mov_b32 s0, 0
                                        ; implicit-def: $sgpr1
.LBB126_282:
	s_and_not1_b32 vcc_lo, exec_lo, s15
	s_cbranch_vccnz .LBB126_284
; %bb.283:
	v_cmp_ne_u16_e64 s0, 0, v0
	s_mov_b32 s1, 0
.LBB126_284:
	s_delay_alu instid0(SALU_CYCLE_1) | instskip(NEXT) | instid1(VALU_DEP_2)
	v_mov_b32_e32 v0, s1
	s_and_not1_b32 vcc_lo, exec_lo, s0
	s_cbranch_vccnz .LBB126_286
; %bb.285:
	v_mov_b32_e32 v0, v13
.LBB126_286:
	global_store_b16 v[10:11], v0, off
.LBB126_287:
	s_mov_b32 s0, 0
.LBB126_288:
	s_delay_alu instid0(SALU_CYCLE_1)
	s_and_not1_b32 vcc_lo, exec_lo, s0
	s_cbranch_vccnz .LBB126_307
; %bb.289:
	v_cmp_lt_i16_e32 vcc_lo, 0, v12
	s_mov_b32 s0, 0
	s_mov_b32 s1, -1
	s_cbranch_vccz .LBB126_298
; %bb.290:
	v_and_b32_e64 v0, 0xff, s7
	s_delay_alu instid0(VALU_DEP_1)
	v_cmp_gt_i16_e32 vcc_lo, 0x80, v0
	s_cbranch_vccnz .LBB126_292
; %bb.291:
	v_cmp_ne_u16_e64 s0, 0x80, v0
	s_mov_b32 s15, 0
	s_mov_b32 s1, 0
	s_branch .LBB126_293
.LBB126_292:
	s_mov_b32 s15, -1
                                        ; implicit-def: $sgpr1
.LBB126_293:
	s_delay_alu instid0(SALU_CYCLE_1)
	s_and_not1_b32 vcc_lo, exec_lo, s15
	s_cbranch_vccnz .LBB126_295
; %bb.294:
	v_cmp_ne_u16_e64 s0, 0, v0
	s_mov_b32 s1, 0
.LBB126_295:
	s_delay_alu instid0(SALU_CYCLE_1) | instskip(NEXT) | instid1(VALU_DEP_2)
	v_mov_b32_e32 v0, s1
	s_and_not1_b32 vcc_lo, exec_lo, s0
	s_cbranch_vccnz .LBB126_297
; %bb.296:
	v_mov_b32_e32 v0, v13
.LBB126_297:
	s_mov_b32 s1, 0
	global_store_b8 v[10:11], v0, off
.LBB126_298:
	s_and_b32 vcc_lo, exec_lo, s1
	s_cbranch_vccz .LBB126_307
; %bb.299:
	v_and_b32_e64 v0, 0xff, s7
	s_delay_alu instid0(VALU_DEP_1)
	v_cmp_gt_i16_e32 vcc_lo, 0x80, v0
	s_cbranch_vccnz .LBB126_301
; %bb.300:
	v_cmp_ne_u16_e64 s0, 0x80, v0
	s_mov_b32 s15, 0
	s_mov_b32 s1, 0
	s_branch .LBB126_302
.LBB126_301:
	s_mov_b32 s15, -1
	s_mov_b32 s0, 0
                                        ; implicit-def: $sgpr1
.LBB126_302:
	s_and_not1_b32 vcc_lo, exec_lo, s15
	s_cbranch_vccnz .LBB126_304
; %bb.303:
	v_cmp_ne_u16_e64 s0, 0, v0
	s_mov_b32 s1, 0
.LBB126_304:
	s_delay_alu instid0(SALU_CYCLE_1) | instskip(NEXT) | instid1(VALU_DEP_2)
	v_mov_b32_e32 v0, s1
	s_and_not1_b32 vcc_lo, exec_lo, s0
	s_cbranch_vccnz .LBB126_306
; %bb.305:
	v_mov_b32_e32 v0, v4
.LBB126_306:
	global_store_b8 v[10:11], v0, off
.LBB126_307:
	s_branch .LBB126_13
.LBB126_308:
	s_mov_b32 s0, 0
                                        ; implicit-def: $vgpr17
.LBB126_309:
	s_and_b32 s12, s12, exec_lo
	s_or_not1_b32 s1, s0, exec_lo
.LBB126_310:
	s_or_b32 exec_lo, exec_lo, s13
	s_mov_b32 s0, 0
                                        ; implicit-def: $vgpr10_vgpr11
	s_and_saveexec_b32 s13, s1
	s_cbranch_execz .LBB126_321
; %bb.311:
	s_mov_b32 s0, -1
	s_mov_b32 s14, s12
	s_mov_b32 s15, exec_lo
	v_cmpx_gt_i32_e64 s11, v17
	s_cbranch_execz .LBB126_1392
; %bb.312:
	v_mul_lo_u32 v0, v17, s6
	v_cmp_gt_i16_e32 vcc_lo, 11, v12
	s_delay_alu instid0(VALU_DEP_2) | instskip(SKIP_1) | instid1(VALU_DEP_1)
	v_ashrrev_i32_e32 v1, 31, v0
	v_add_co_u32 v10, s0, s4, v0
	v_add_co_ci_u32_e64 v11, s0, s5, v1, s0
	s_cbranch_vccnz .LBB126_339
; %bb.313:
	v_cmp_lt_i16_e32 vcc_lo, 25, v12
	s_cbranch_vccz .LBB126_343
; %bb.314:
	v_cmp_lt_i16_e32 vcc_lo, 28, v12
	s_cbranch_vccz .LBB126_344
	;; [unrolled: 3-line block ×4, first 2 shown]
; %bb.317:
	v_cmp_eq_u16_e32 vcc_lo, 46, v12
	s_mov_b32 s1, 0
	s_mov_b32 s14, -1
	s_mov_b32 s0, 0
	s_cbranch_vccz .LBB126_1107
; %bb.318:
	v_and_b32_e64 v0, 0xff, s7
	s_delay_alu instid0(VALU_DEP_1)
	v_cmp_gt_i16_e32 vcc_lo, 0x80, v0
	s_cbranch_vccnz .LBB126_924
; %bb.319:
	v_cmp_eq_u16_e32 vcc_lo, 0x80, v0
	s_cbranch_vccz .LBB126_1100
; %bb.320:
	s_mov_b32 s14, 0
	s_mov_b32 s0, 0x7f800001
	s_branch .LBB126_1101
.LBB126_321:
	s_or_b32 exec_lo, exec_lo, s13
	s_mov_b32 s10, 0
	s_and_saveexec_b32 s1, s12
	s_cbranch_execnz .LBB126_2473
.LBB126_322:
	s_or_b32 exec_lo, exec_lo, s1
	s_and_saveexec_b32 s1, s14
	s_cbranch_execz .LBB126_331
.LBB126_323:
	v_and_b32_e64 v0, 0xff, s7
	s_delay_alu instid0(VALU_DEP_1)
	v_cmp_gt_i16_e32 vcc_lo, 0x80, v0
	s_cbranch_vccnz .LBB126_326
; %bb.324:
	v_cmp_eq_u16_e32 vcc_lo, 0x80, v0
	s_cbranch_vccz .LBB126_342
; %bb.325:
	s_mov_b32 s12, 0
	s_mov_b32 s11, -1
	s_branch .LBB126_328
.LBB126_326:
	s_mov_b32 s12, 0
                                        ; implicit-def: $sgpr11
	s_cbranch_execz .LBB126_328
; %bb.327:
	v_cmp_ne_u16_e64 s12, 0, v0
	s_mov_b32 s11, 0
.LBB126_328:
	s_delay_alu instid0(VALU_DEP_1)
	s_and_not1_b32 vcc_lo, exec_lo, s12
	s_cbranch_vccnz .LBB126_330
; %bb.329:
	s_mov_b32 s11, s9
.LBB126_330:
	s_delay_alu instid0(SALU_CYCLE_1)
	v_cndmask_b32_e64 v0, 0, 1, s11
	global_store_b8 v[10:11], v0, off
.LBB126_331:
	s_or_b32 exec_lo, exec_lo, s1
	s_and_saveexec_b32 s1, s0
	s_delay_alu instid0(SALU_CYCLE_1)
	s_xor_b32 s9, exec_lo, s1
	s_cbranch_execz .LBB126_472
; %bb.332:
	v_cmp_gt_i16_e32 vcc_lo, 5, v12
	s_mov_b32 s0, -1
	s_cbranch_vccnz .LBB126_421
; %bb.333:
	v_cmp_gt_i16_e32 vcc_lo, 8, v12
	s_cbranch_vccnz .LBB126_381
; %bb.334:
	v_cmp_gt_i16_e32 vcc_lo, 9, v12
	s_cbranch_vccnz .LBB126_368
; %bb.335:
	v_cmp_lt_i16_e32 vcc_lo, 9, v12
	s_cbranch_vccz .LBB126_355
; %bb.336:
	v_and_b32_e64 v0, 0xff, s7
	s_delay_alu instid0(VALU_DEP_1)
	v_cmp_gt_i16_e32 vcc_lo, 0x80, v0
	s_cbranch_vccnz .LBB126_346
; %bb.337:
	v_cmp_eq_u16_e32 vcc_lo, 0x80, v0
	s_cbranch_vccz .LBB126_348
; %bb.338:
	s_mov_b32 s11, 0
	s_mov_b32 s1, 0x7ff80000
	s_brev_b32 s0, 4
	s_branch .LBB126_349
.LBB126_339:
	s_mov_b32 s0, 0
	s_mov_b32 s14, s12
	s_cbranch_execnz .LBB126_1257
.LBB126_340:
	s_and_not1_b32 vcc_lo, exec_lo, s0
	s_cbranch_vccnz .LBB126_1390
.LBB126_341:
	v_add_nc_u32_e32 v17, 0x80, v17
	s_mov_b32 s0, -1
	s_branch .LBB126_1391
.LBB126_342:
	s_mov_b32 s12, -1
                                        ; implicit-def: $sgpr11
	s_branch .LBB126_328
.LBB126_343:
	s_mov_b32 s1, -1
	s_mov_b32 s0, 0
	s_mov_b32 s14, s12
	s_branch .LBB126_1177
.LBB126_344:
	s_mov_b32 s1, -1
	s_mov_b32 s0, 0
	s_mov_b32 s14, s12
	s_branch .LBB126_1134
.LBB126_345:
	s_mov_b32 s1, -1
	s_mov_b32 s0, 0
	s_mov_b32 s14, s12
	s_branch .LBB126_1121
.LBB126_346:
	s_mov_b32 s12, -1
	s_mov_b32 s11, 0
                                        ; implicit-def: $sgpr0_sgpr1
	s_branch .LBB126_350
.LBB126_347:
	s_mov_b32 s1, -1
	s_mov_b32 s0, 0
	s_mov_b32 s14, s12
	s_branch .LBB126_1107
.LBB126_348:
	s_mov_b32 s11, -1
                                        ; implicit-def: $sgpr0_sgpr1
.LBB126_349:
	s_mov_b32 s12, 0
.LBB126_350:
	s_delay_alu instid0(SALU_CYCLE_1)
	s_and_b32 vcc_lo, exec_lo, s12
	s_cbranch_vccz .LBB126_352
; %bb.351:
	v_cmp_ne_u16_e64 s11, 0, v0
	s_mov_b64 s[0:1], 0
.LBB126_352:
	s_delay_alu instid0(SALU_CYCLE_1) | instskip(NEXT) | instid1(VALU_DEP_2)
	v_dual_mov_b32 v0, s0 :: v_dual_mov_b32 v1, s1
	s_and_not1_b32 vcc_lo, exec_lo, s11
	s_cbranch_vccnz .LBB126_354
; %bb.353:
	v_dual_mov_b32 v0, v6 :: v_dual_mov_b32 v1, v7
.LBB126_354:
	v_mov_b32_e32 v2, 0
	s_mov_b32 s0, 0
	s_delay_alu instid0(VALU_DEP_1)
	v_mov_b32_e32 v3, v2
	global_store_b128 v[10:11], v[0:3], off
.LBB126_355:
	s_and_b32 vcc_lo, exec_lo, s0
	s_cbranch_vccz .LBB126_367
; %bb.356:
	v_and_b32_e64 v1, 0xff, s7
	s_delay_alu instid0(VALU_DEP_1)
	v_cmp_gt_i16_e32 vcc_lo, 0x80, v1
	s_cbranch_vccnz .LBB126_359
; %bb.357:
	v_cmp_eq_u16_e32 vcc_lo, 0x80, v1
	s_cbranch_vccz .LBB126_360
; %bb.358:
	s_mov_b32 s0, 0
	s_mov_b32 s1, 0x7f800001
	s_branch .LBB126_361
.LBB126_359:
	s_mov_b32 s11, -1
	s_mov_b32 s0, 0
                                        ; implicit-def: $sgpr1
	s_branch .LBB126_362
.LBB126_360:
	s_mov_b32 s0, -1
                                        ; implicit-def: $sgpr1
.LBB126_361:
	s_mov_b32 s11, 0
.LBB126_362:
	v_mov_b32_e32 v0, s1
	s_and_b32 vcc_lo, exec_lo, s11
	s_cbranch_vccz .LBB126_364
; %bb.363:
	v_and_b32_e32 v0, 0xffff, v1
	v_cmp_ne_u16_e64 s0, 0, v1
.LBB126_364:
	s_delay_alu instid0(VALU_DEP_1)
	s_and_not1_b32 vcc_lo, exec_lo, s0
	s_cbranch_vccnz .LBB126_366
; %bb.365:
	v_mov_b32_e32 v0, s2
.LBB126_366:
	v_mov_b32_e32 v1, 0
	global_store_b64 v[10:11], v[0:1], off
.LBB126_367:
	s_mov_b32 s0, 0
.LBB126_368:
	s_delay_alu instid0(SALU_CYCLE_1)
	s_and_not1_b32 vcc_lo, exec_lo, s0
	s_cbranch_vccnz .LBB126_380
; %bb.369:
	v_and_b32_e64 v0, 0xff, s7
	s_delay_alu instid0(VALU_DEP_1)
	v_cmp_gt_i16_e32 vcc_lo, 0x80, v0
	s_cbranch_vccnz .LBB126_372
; %bb.370:
	v_cmp_eq_u16_e32 vcc_lo, 0x80, v0
	s_cbranch_vccz .LBB126_373
; %bb.371:
	s_mov_b32 s0, 0
	s_movk_i32 s1, 0x7e00
	s_branch .LBB126_374
.LBB126_372:
	s_mov_b32 s11, -1
	s_mov_b32 s0, 0
                                        ; implicit-def: $sgpr1
	s_branch .LBB126_375
.LBB126_373:
	s_mov_b32 s0, -1
                                        ; implicit-def: $sgpr1
.LBB126_374:
	s_mov_b32 s11, 0
.LBB126_375:
	v_mov_b32_e32 v1, s1
	s_and_b32 vcc_lo, exec_lo, s11
	s_cbranch_vccz .LBB126_377
; %bb.376:
	v_and_b32_e32 v1, 0xffff, v0
	v_cmp_ne_u16_e64 s0, 0, v0
.LBB126_377:
	s_delay_alu instid0(VALU_DEP_1)
	s_and_not1_b32 vcc_lo, exec_lo, s0
	s_cbranch_vccnz .LBB126_379
; %bb.378:
	v_mov_b32_e32 v1, v15
.LBB126_379:
	global_store_b32 v[10:11], v1, off
.LBB126_380:
	s_mov_b32 s0, 0
.LBB126_381:
	s_delay_alu instid0(SALU_CYCLE_1)
	s_and_not1_b32 vcc_lo, exec_lo, s0
	s_cbranch_vccnz .LBB126_420
; %bb.382:
	v_cmp_gt_i16_e32 vcc_lo, 6, v12
	s_mov_b32 s0, -1
	s_cbranch_vccnz .LBB126_408
; %bb.383:
	v_cmp_lt_i16_e32 vcc_lo, 6, v12
	s_cbranch_vccz .LBB126_395
; %bb.384:
	v_and_b32_e64 v0, 0xff, s7
	s_delay_alu instid0(VALU_DEP_1)
	v_cmp_gt_i16_e32 vcc_lo, 0x80, v0
	s_cbranch_vccnz .LBB126_387
; %bb.385:
	v_cmp_eq_u16_e32 vcc_lo, 0x80, v0
	s_cbranch_vccz .LBB126_388
; %bb.386:
	s_mov_b32 s11, 0
	s_mov_b32 s1, 0x7ff80000
	s_brev_b32 s0, 4
	s_branch .LBB126_389
.LBB126_387:
	s_mov_b32 s12, -1
	s_mov_b32 s11, 0
                                        ; implicit-def: $sgpr0_sgpr1
	s_branch .LBB126_390
.LBB126_388:
	s_mov_b32 s11, -1
                                        ; implicit-def: $sgpr0_sgpr1
.LBB126_389:
	s_mov_b32 s12, 0
.LBB126_390:
	s_delay_alu instid0(SALU_CYCLE_1)
	s_and_b32 vcc_lo, exec_lo, s12
	s_cbranch_vccz .LBB126_392
; %bb.391:
	v_cmp_ne_u16_e64 s11, 0, v0
	s_mov_b64 s[0:1], 0
.LBB126_392:
	s_delay_alu instid0(SALU_CYCLE_1) | instskip(NEXT) | instid1(VALU_DEP_2)
	v_dual_mov_b32 v0, s0 :: v_dual_mov_b32 v1, s1
	s_and_not1_b32 vcc_lo, exec_lo, s11
	s_cbranch_vccnz .LBB126_394
; %bb.393:
	v_dual_mov_b32 v0, v6 :: v_dual_mov_b32 v1, v7
.LBB126_394:
	s_mov_b32 s0, 0
	global_store_b64 v[10:11], v[0:1], off
.LBB126_395:
	s_and_b32 vcc_lo, exec_lo, s0
	s_cbranch_vccz .LBB126_407
; %bb.396:
	v_and_b32_e64 v0, 0xff, s7
	s_delay_alu instid0(VALU_DEP_1)
	v_cmp_gt_i16_e32 vcc_lo, 0x80, v0
	s_cbranch_vccnz .LBB126_399
; %bb.397:
	v_cmp_eq_u16_e32 vcc_lo, 0x80, v0
	s_cbranch_vccz .LBB126_400
; %bb.398:
	s_mov_b32 s1, 0
	s_mov_b32 s0, 0x7f800001
	s_branch .LBB126_401
.LBB126_399:
	s_mov_b32 s11, -1
	s_mov_b32 s1, 0
                                        ; implicit-def: $sgpr0
	s_branch .LBB126_402
.LBB126_400:
	s_mov_b32 s1, -1
                                        ; implicit-def: $sgpr0
.LBB126_401:
	s_mov_b32 s11, 0
.LBB126_402:
	s_delay_alu instid0(SALU_CYCLE_1)
	s_and_b32 vcc_lo, exec_lo, s11
	s_cbranch_vccz .LBB126_404
; %bb.403:
	v_cmp_ne_u16_e64 s1, 0, v0
	s_mov_b32 s0, 0
.LBB126_404:
	s_delay_alu instid0(VALU_DEP_1)
	s_and_not1_b32 vcc_lo, exec_lo, s1
	s_cbranch_vccnz .LBB126_406
; %bb.405:
	s_mov_b32 s0, s2
.LBB126_406:
	s_delay_alu instid0(SALU_CYCLE_1)
	v_mov_b32_e32 v0, s0
	global_store_b32 v[10:11], v0, off
.LBB126_407:
	s_mov_b32 s0, 0
.LBB126_408:
	s_delay_alu instid0(SALU_CYCLE_1)
	s_and_not1_b32 vcc_lo, exec_lo, s0
	s_cbranch_vccnz .LBB126_420
; %bb.409:
	v_and_b32_e64 v0, 0xff, s7
	s_delay_alu instid0(VALU_DEP_1)
	v_cmp_gt_i16_e32 vcc_lo, 0x80, v0
	s_cbranch_vccnz .LBB126_412
; %bb.410:
	v_cmp_eq_u16_e32 vcc_lo, 0x80, v0
	s_cbranch_vccz .LBB126_413
; %bb.411:
	s_mov_b32 s0, 0
	s_movk_i32 s1, 0x7e00
	s_branch .LBB126_414
.LBB126_412:
	s_mov_b32 s2, -1
	s_mov_b32 s0, 0
                                        ; implicit-def: $sgpr1
	s_branch .LBB126_415
.LBB126_413:
	s_mov_b32 s0, -1
                                        ; implicit-def: $sgpr1
.LBB126_414:
	s_mov_b32 s2, 0
.LBB126_415:
	v_mov_b32_e32 v1, s1
	s_and_b32 vcc_lo, exec_lo, s2
	s_cbranch_vccz .LBB126_417
; %bb.416:
	v_cmp_ne_u16_e64 s0, 0, v0
	v_mov_b32_e32 v1, v0
.LBB126_417:
	s_delay_alu instid0(VALU_DEP_2)
	s_and_not1_b32 vcc_lo, exec_lo, s0
	s_cbranch_vccnz .LBB126_419
; %bb.418:
	v_mov_b32_e32 v1, v14
.LBB126_419:
	global_store_b16 v[10:11], v1, off
.LBB126_420:
	s_mov_b32 s0, 0
.LBB126_421:
	s_delay_alu instid0(SALU_CYCLE_1)
	s_and_not1_b32 vcc_lo, exec_lo, s0
	s_cbranch_vccnz .LBB126_472
; %bb.422:
	v_cmp_gt_i16_e32 vcc_lo, 2, v12
	s_mov_b32 s0, -1
	s_cbranch_vccnz .LBB126_453
; %bb.423:
	v_cmp_gt_i16_e32 vcc_lo, 3, v12
	s_cbranch_vccnz .LBB126_443
; %bb.424:
	v_cmp_lt_i16_e32 vcc_lo, 3, v12
	s_cbranch_vccz .LBB126_433
; %bb.425:
	v_and_b32_e64 v0, 0xff, s7
	s_delay_alu instid0(VALU_DEP_1)
	v_cmp_gt_i16_e32 vcc_lo, 0x80, v0
	s_cbranch_vccnz .LBB126_427
; %bb.426:
	v_cmp_ne_u16_e64 s2, 0x80, v0
	s_mov_b32 s11, 0
	s_mov_b64 s[0:1], 0
	s_branch .LBB126_428
.LBB126_427:
	s_mov_b32 s11, -1
	s_mov_b32 s2, 0
                                        ; implicit-def: $sgpr0_sgpr1
.LBB126_428:
	s_and_not1_b32 vcc_lo, exec_lo, s11
	s_cbranch_vccnz .LBB126_430
; %bb.429:
	v_cmp_ne_u16_e64 s2, 0, v0
	s_mov_b64 s[0:1], 0
.LBB126_430:
	s_delay_alu instid0(SALU_CYCLE_1) | instskip(NEXT) | instid1(VALU_DEP_2)
	v_dual_mov_b32 v0, s0 :: v_dual_mov_b32 v1, s1
	s_and_not1_b32 vcc_lo, exec_lo, s2
	s_cbranch_vccnz .LBB126_432
; %bb.431:
	v_dual_mov_b32 v0, v4 :: v_dual_mov_b32 v1, v5
.LBB126_432:
	s_mov_b32 s0, 0
	global_store_b64 v[10:11], v[0:1], off
.LBB126_433:
	s_and_b32 vcc_lo, exec_lo, s0
	s_cbranch_vccz .LBB126_442
; %bb.434:
	v_and_b32_e64 v0, 0xff, s7
	s_delay_alu instid0(VALU_DEP_1)
	v_cmp_gt_i16_e32 vcc_lo, 0x80, v0
	s_cbranch_vccnz .LBB126_436
; %bb.435:
	v_cmp_ne_u16_e64 s0, 0x80, v0
	s_mov_b32 s2, 0
	s_mov_b32 s1, 0
	s_branch .LBB126_437
.LBB126_436:
	s_mov_b32 s2, -1
	s_mov_b32 s0, 0
                                        ; implicit-def: $sgpr1
.LBB126_437:
	s_and_not1_b32 vcc_lo, exec_lo, s2
	s_cbranch_vccnz .LBB126_439
; %bb.438:
	v_cmp_ne_u16_e64 s0, 0, v0
	s_mov_b32 s1, 0
.LBB126_439:
	s_delay_alu instid0(SALU_CYCLE_1) | instskip(NEXT) | instid1(VALU_DEP_2)
	v_mov_b32_e32 v0, s1
	s_and_not1_b32 vcc_lo, exec_lo, s0
	s_cbranch_vccnz .LBB126_441
; %bb.440:
	v_mov_b32_e32 v0, v13
.LBB126_441:
	global_store_b32 v[10:11], v0, off
.LBB126_442:
	s_mov_b32 s0, 0
.LBB126_443:
	s_delay_alu instid0(SALU_CYCLE_1)
	s_and_not1_b32 vcc_lo, exec_lo, s0
	s_cbranch_vccnz .LBB126_452
; %bb.444:
	v_and_b32_e64 v0, 0xff, s7
	s_delay_alu instid0(VALU_DEP_1)
	v_cmp_gt_i16_e32 vcc_lo, 0x80, v0
	s_cbranch_vccnz .LBB126_446
; %bb.445:
	v_cmp_ne_u16_e64 s0, 0x80, v0
	s_mov_b32 s2, 0
	s_mov_b32 s1, 0
	s_branch .LBB126_447
.LBB126_446:
	s_mov_b32 s2, -1
	s_mov_b32 s0, 0
                                        ; implicit-def: $sgpr1
.LBB126_447:
	s_and_not1_b32 vcc_lo, exec_lo, s2
	s_cbranch_vccnz .LBB126_449
; %bb.448:
	v_cmp_ne_u16_e64 s0, 0, v0
	s_mov_b32 s1, 0
.LBB126_449:
	s_delay_alu instid0(SALU_CYCLE_1) | instskip(NEXT) | instid1(VALU_DEP_2)
	v_mov_b32_e32 v0, s1
	s_and_not1_b32 vcc_lo, exec_lo, s0
	s_cbranch_vccnz .LBB126_451
; %bb.450:
	v_mov_b32_e32 v0, v13
.LBB126_451:
	global_store_b16 v[10:11], v0, off
.LBB126_452:
	s_mov_b32 s0, 0
.LBB126_453:
	s_delay_alu instid0(SALU_CYCLE_1)
	s_and_not1_b32 vcc_lo, exec_lo, s0
	s_cbranch_vccnz .LBB126_472
; %bb.454:
	v_cmp_lt_i16_e32 vcc_lo, 0, v12
	s_mov_b32 s0, 0
	s_mov_b32 s1, -1
	s_cbranch_vccz .LBB126_463
; %bb.455:
	v_and_b32_e64 v0, 0xff, s7
	s_delay_alu instid0(VALU_DEP_1)
	v_cmp_gt_i16_e32 vcc_lo, 0x80, v0
	s_cbranch_vccnz .LBB126_457
; %bb.456:
	v_cmp_ne_u16_e64 s0, 0x80, v0
	s_mov_b32 s2, 0
	s_mov_b32 s1, 0
	s_branch .LBB126_458
.LBB126_457:
	s_mov_b32 s2, -1
                                        ; implicit-def: $sgpr1
.LBB126_458:
	s_delay_alu instid0(SALU_CYCLE_1)
	s_and_not1_b32 vcc_lo, exec_lo, s2
	s_cbranch_vccnz .LBB126_460
; %bb.459:
	v_cmp_ne_u16_e64 s0, 0, v0
	s_mov_b32 s1, 0
.LBB126_460:
	s_delay_alu instid0(SALU_CYCLE_1) | instskip(NEXT) | instid1(VALU_DEP_2)
	v_mov_b32_e32 v0, s1
	s_and_not1_b32 vcc_lo, exec_lo, s0
	s_cbranch_vccnz .LBB126_462
; %bb.461:
	v_mov_b32_e32 v0, v13
.LBB126_462:
	s_mov_b32 s1, 0
	global_store_b8 v[10:11], v0, off
.LBB126_463:
	s_and_b32 vcc_lo, exec_lo, s1
	s_cbranch_vccz .LBB126_472
; %bb.464:
	v_and_b32_e64 v0, 0xff, s7
	s_delay_alu instid0(VALU_DEP_1)
	v_cmp_gt_i16_e32 vcc_lo, 0x80, v0
	s_cbranch_vccnz .LBB126_466
; %bb.465:
	v_cmp_ne_u16_e64 s0, 0x80, v0
	s_mov_b32 s2, 0
	s_mov_b32 s1, 0
	s_branch .LBB126_467
.LBB126_466:
	s_mov_b32 s2, -1
	s_mov_b32 s0, 0
                                        ; implicit-def: $sgpr1
.LBB126_467:
	s_and_not1_b32 vcc_lo, exec_lo, s2
	s_cbranch_vccnz .LBB126_469
; %bb.468:
	v_cmp_ne_u16_e64 s0, 0, v0
	s_mov_b32 s1, 0
.LBB126_469:
	s_delay_alu instid0(SALU_CYCLE_1) | instskip(NEXT) | instid1(VALU_DEP_2)
	v_mov_b32_e32 v0, s1
	s_and_not1_b32 vcc_lo, exec_lo, s0
	s_cbranch_vccnz .LBB126_471
; %bb.470:
	v_mov_b32_e32 v0, v4
.LBB126_471:
	global_store_b8 v[10:11], v0, off
.LBB126_472:
	s_or_b32 exec_lo, exec_lo, s9
	s_delay_alu instid0(SALU_CYCLE_1)
	s_and_b32 s2, s10, exec_lo
                                        ; implicit-def: $vgpr12
                                        ; implicit-def: $vgpr17
.LBB126_473:
	s_or_saveexec_b32 s3, s3
	s_mov_b32 s0, 0
                                        ; implicit-def: $vgpr4_vgpr5
	s_xor_b32 exec_lo, exec_lo, s3
	s_cbranch_execz .LBB126_1718
; %bb.474:
	v_mul_lo_u32 v6, s6, v17
	v_cmp_gt_i16_e32 vcc_lo, 11, v12
	s_delay_alu instid0(VALU_DEP_2) | instskip(SKIP_1) | instid1(VALU_DEP_1)
	v_ashrrev_i32_e32 v0, 31, v6
	v_add_co_u32 v4, s0, s4, v6
	v_add_co_ci_u32_e64 v5, s0, s5, v0, s0
	s_cbranch_vccnz .LBB126_483
; %bb.475:
	v_cmp_lt_i16_e32 vcc_lo, 25, v12
	s_mov_b32 s8, -1
	s_mov_b32 s9, 0
	s_mov_b32 s1, 0
	s_mov_b32 s0, 0
	s_cbranch_vccz .LBB126_695
; %bb.476:
	v_cmp_lt_i16_e32 vcc_lo, 28, v12
	s_cbranch_vccz .LBB126_652
; %bb.477:
	v_cmp_lt_i16_e32 vcc_lo, 43, v12
	;; [unrolled: 3-line block ×3, first 2 shown]
	s_cbranch_vccz .LBB126_625
; %bb.479:
	v_cmp_eq_u16_e32 vcc_lo, 46, v12
	s_mov_b32 s0, -1
	s_mov_b32 s8, 0
	s_cbranch_vccz .LBB126_625
; %bb.480:
	v_and_b32_e64 v0, 0xff, s7
	s_delay_alu instid0(VALU_DEP_1)
	v_cmp_gt_i16_e32 vcc_lo, 0x80, v0
	s_cbranch_vccnz .LBB126_492
; %bb.481:
	v_cmp_eq_u16_e32 vcc_lo, 0x80, v0
	s_cbranch_vccz .LBB126_618
; %bb.482:
	s_mov_b32 s0, 0x7f800001
	s_branch .LBB126_619
.LBB126_483:
	s_mov_b32 s1, 0
	s_mov_b32 s8, s2
	s_cbranch_execz .LBB126_777
; %bb.484:
	v_cmp_gt_i16_e32 vcc_lo, 5, v12
	s_mov_b32 s0, -1
	s_cbranch_vccnz .LBB126_566
; %bb.485:
	v_cmp_gt_i16_e32 vcc_lo, 8, v12
	s_cbranch_vccnz .LBB126_526
; %bb.486:
	v_cmp_gt_i16_e32 vcc_lo, 9, v12
	s_cbranch_vccnz .LBB126_513
; %bb.487:
	v_cmp_lt_i16_e32 vcc_lo, 9, v12
	s_cbranch_vccz .LBB126_500
; %bb.488:
	v_and_b32_e64 v0, 0xff, s7
	s_delay_alu instid0(VALU_DEP_1)
	v_cmp_gt_i16_e32 vcc_lo, 0x80, v0
	s_cbranch_vccnz .LBB126_491
; %bb.489:
	v_cmp_eq_u16_e32 vcc_lo, 0x80, v0
	s_cbranch_vccz .LBB126_493
; %bb.490:
	s_mov_b32 s9, 0
	s_mov_b32 s1, 0x7ff80000
	s_brev_b32 s0, 4
	s_branch .LBB126_494
.LBB126_491:
	s_mov_b32 s10, -1
	s_mov_b32 s9, 0
                                        ; implicit-def: $sgpr0_sgpr1
	s_branch .LBB126_495
.LBB126_492:
	s_mov_b32 s10, -1
                                        ; implicit-def: $sgpr0
	s_branch .LBB126_620
.LBB126_493:
	s_mov_b32 s9, -1
                                        ; implicit-def: $sgpr0_sgpr1
.LBB126_494:
	s_mov_b32 s10, 0
.LBB126_495:
	s_delay_alu instid0(SALU_CYCLE_1)
	s_and_b32 vcc_lo, exec_lo, s10
	s_cbranch_vccz .LBB126_497
; %bb.496:
	v_cmp_ne_u16_e64 s9, 0, v0
	s_mov_b64 s[0:1], 0
.LBB126_497:
	s_delay_alu instid0(SALU_CYCLE_1) | instskip(NEXT) | instid1(VALU_DEP_2)
	v_dual_mov_b32 v0, s0 :: v_dual_mov_b32 v1, s1
	s_and_not1_b32 vcc_lo, exec_lo, s9
	s_cbranch_vccnz .LBB126_499
; %bb.498:
	v_lshrrev_b16 v0, 2, s7
	s_and_b32 s0, s7, 3
	s_lshl_b32 s11, s7, 24
	s_clz_i32_u32 s1, s0
	s_delay_alu instid0(SALU_CYCLE_1) | instskip(SKIP_4) | instid1(VALU_DEP_1)
	s_min_u32 s1, s1, 32
	v_readfirstlane_b32 s9, v0
	s_sub_i32 s10, s1, 29
	s_sub_i32 s1, 30, s1
	s_lshl_b32 s10, s7, s10
	s_and_b32 s9, s9, 31
	s_and_b32 s10, s10, 3
	s_cmp_eq_u32 s9, 0
	s_cselect_b32 s1, s1, s9
	s_cselect_b32 s0, s10, s0
	s_lshl_b32 s1, s1, 23
	s_and_b32 s9, s11, 0x80000000
	s_add_i32 s1, s1, 0x37800000
	s_lshl_b32 s0, s0, 21
	s_or_b32 s1, s9, s1
	s_delay_alu instid0(SALU_CYCLE_1) | instskip(NEXT) | instid1(SALU_CYCLE_1)
	s_or_b32 s0, s1, s0
	v_cvt_f64_f32_e32 v[0:1], s0
.LBB126_499:
	v_mov_b32_e32 v2, 0
	s_mov_b32 s0, 0
	s_delay_alu instid0(VALU_DEP_1)
	v_mov_b32_e32 v3, v2
	global_store_b128 v[4:5], v[0:3], off
.LBB126_500:
	s_and_b32 vcc_lo, exec_lo, s0
	s_cbranch_vccz .LBB126_512
; %bb.501:
	v_and_b32_e64 v1, 0xff, s7
	s_delay_alu instid0(VALU_DEP_1)
	v_cmp_gt_i16_e32 vcc_lo, 0x80, v1
	s_cbranch_vccnz .LBB126_504
; %bb.502:
	v_cmp_eq_u16_e32 vcc_lo, 0x80, v1
	s_cbranch_vccz .LBB126_505
; %bb.503:
	s_mov_b32 s0, 0
	s_mov_b32 s1, 0x7f800001
	s_branch .LBB126_506
.LBB126_504:
	s_mov_b32 s9, -1
	s_mov_b32 s0, 0
                                        ; implicit-def: $sgpr1
	s_branch .LBB126_507
.LBB126_505:
	s_mov_b32 s0, -1
                                        ; implicit-def: $sgpr1
.LBB126_506:
	s_mov_b32 s9, 0
.LBB126_507:
	v_mov_b32_e32 v0, s1
	s_and_b32 vcc_lo, exec_lo, s9
	s_cbranch_vccz .LBB126_509
; %bb.508:
	v_and_b32_e32 v0, 0xffff, v1
	v_cmp_ne_u16_e64 s0, 0, v1
.LBB126_509:
	s_delay_alu instid0(VALU_DEP_1)
	s_and_not1_b32 vcc_lo, exec_lo, s0
	s_cbranch_vccnz .LBB126_511
; %bb.510:
	v_lshrrev_b16 v0, 2, s7
	s_and_b32 s0, s7, 3
	s_lshl_b32 s11, s7, 24
	s_clz_i32_u32 s1, s0
	s_delay_alu instid0(SALU_CYCLE_1) | instskip(SKIP_4) | instid1(VALU_DEP_1)
	s_min_u32 s1, s1, 32
	v_readfirstlane_b32 s9, v0
	s_sub_i32 s10, s1, 29
	s_sub_i32 s1, 30, s1
	s_lshl_b32 s10, s7, s10
	s_and_b32 s9, s9, 31
	s_and_b32 s10, s10, 3
	s_cmp_eq_u32 s9, 0
	s_cselect_b32 s1, s1, s9
	s_cselect_b32 s0, s10, s0
	s_lshl_b32 s1, s1, 23
	s_and_b32 s9, s11, 0x80000000
	s_add_i32 s1, s1, 0x37800000
	s_lshl_b32 s0, s0, 21
	s_or_b32 s1, s9, s1
	s_delay_alu instid0(SALU_CYCLE_1) | instskip(NEXT) | instid1(SALU_CYCLE_1)
	s_or_b32 s0, s1, s0
	v_mov_b32_e32 v0, s0
.LBB126_511:
	v_mov_b32_e32 v1, 0
	global_store_b64 v[4:5], v[0:1], off
.LBB126_512:
	s_mov_b32 s0, 0
.LBB126_513:
	s_delay_alu instid0(SALU_CYCLE_1)
	s_and_not1_b32 vcc_lo, exec_lo, s0
	s_cbranch_vccnz .LBB126_525
; %bb.514:
	v_and_b32_e64 v0, 0xff, s7
	s_delay_alu instid0(VALU_DEP_1)
	v_cmp_gt_i16_e32 vcc_lo, 0x80, v0
	s_cbranch_vccnz .LBB126_517
; %bb.515:
	v_cmp_eq_u16_e32 vcc_lo, 0x80, v0
	s_cbranch_vccz .LBB126_518
; %bb.516:
	s_mov_b32 s0, 0
	s_movk_i32 s1, 0x7e00
	s_branch .LBB126_519
.LBB126_517:
	s_mov_b32 s9, -1
	s_mov_b32 s0, 0
                                        ; implicit-def: $sgpr1
	s_branch .LBB126_520
.LBB126_518:
	s_mov_b32 s0, -1
                                        ; implicit-def: $sgpr1
.LBB126_519:
	s_mov_b32 s9, 0
.LBB126_520:
	v_mov_b32_e32 v1, s1
	s_and_b32 vcc_lo, exec_lo, s9
	s_cbranch_vccz .LBB126_522
; %bb.521:
	v_and_b32_e32 v1, 0xffff, v0
	v_cmp_ne_u16_e64 s0, 0, v0
.LBB126_522:
	s_delay_alu instid0(VALU_DEP_1)
	s_and_not1_b32 vcc_lo, exec_lo, s0
	s_cbranch_vccnz .LBB126_524
; %bb.523:
	v_lshrrev_b16 v0, 2, s7
	s_and_b32 s0, s7, 3
	s_lshl_b32 s11, s7, 24
	s_clz_i32_u32 s1, s0
	s_delay_alu instid0(SALU_CYCLE_1) | instskip(SKIP_4) | instid1(VALU_DEP_1)
	s_min_u32 s1, s1, 32
	v_readfirstlane_b32 s9, v0
	s_sub_i32 s10, s1, 29
	s_sub_i32 s1, 30, s1
	s_lshl_b32 s10, s7, s10
	s_and_b32 s9, s9, 31
	s_and_b32 s10, s10, 3
	s_cmp_eq_u32 s9, 0
	s_cselect_b32 s1, s1, s9
	s_cselect_b32 s0, s10, s0
	s_lshl_b32 s1, s1, 23
	s_and_b32 s9, s11, 0x80000000
	s_add_i32 s1, s1, 0x37800000
	s_lshl_b32 s0, s0, 21
	s_or_b32 s1, s9, s1
	s_delay_alu instid0(SALU_CYCLE_1) | instskip(NEXT) | instid1(SALU_CYCLE_1)
	s_or_b32 s0, s1, s0
	v_cvt_f16_f32_e32 v0, s0
	s_delay_alu instid0(VALU_DEP_1)
	v_and_b32_e32 v1, 0xffff, v0
.LBB126_524:
	global_store_b32 v[4:5], v1, off
.LBB126_525:
	s_mov_b32 s0, 0
.LBB126_526:
	s_delay_alu instid0(SALU_CYCLE_1)
	s_and_not1_b32 vcc_lo, exec_lo, s0
	s_cbranch_vccnz .LBB126_565
; %bb.527:
	v_cmp_gt_i16_e32 vcc_lo, 6, v12
	s_mov_b32 s0, -1
	s_cbranch_vccnz .LBB126_553
; %bb.528:
	v_cmp_lt_i16_e32 vcc_lo, 6, v12
	s_cbranch_vccz .LBB126_540
; %bb.529:
	v_and_b32_e64 v0, 0xff, s7
	s_delay_alu instid0(VALU_DEP_1)
	v_cmp_gt_i16_e32 vcc_lo, 0x80, v0
	s_cbranch_vccnz .LBB126_532
; %bb.530:
	v_cmp_eq_u16_e32 vcc_lo, 0x80, v0
	s_cbranch_vccz .LBB126_533
; %bb.531:
	s_mov_b32 s9, 0
	s_mov_b32 s1, 0x7ff80000
	s_brev_b32 s0, 4
	s_branch .LBB126_534
.LBB126_532:
	s_mov_b32 s10, -1
	s_mov_b32 s9, 0
                                        ; implicit-def: $sgpr0_sgpr1
	s_branch .LBB126_535
.LBB126_533:
	s_mov_b32 s9, -1
                                        ; implicit-def: $sgpr0_sgpr1
.LBB126_534:
	s_mov_b32 s10, 0
.LBB126_535:
	s_delay_alu instid0(SALU_CYCLE_1)
	s_and_b32 vcc_lo, exec_lo, s10
	s_cbranch_vccz .LBB126_537
; %bb.536:
	v_cmp_ne_u16_e64 s9, 0, v0
	s_mov_b64 s[0:1], 0
.LBB126_537:
	s_delay_alu instid0(SALU_CYCLE_1) | instskip(NEXT) | instid1(VALU_DEP_2)
	v_dual_mov_b32 v0, s0 :: v_dual_mov_b32 v1, s1
	s_and_not1_b32 vcc_lo, exec_lo, s9
	s_cbranch_vccnz .LBB126_539
; %bb.538:
	v_lshrrev_b16 v0, 2, s7
	s_and_b32 s0, s7, 3
	s_lshl_b32 s11, s7, 24
	s_clz_i32_u32 s1, s0
	s_delay_alu instid0(SALU_CYCLE_1) | instskip(SKIP_4) | instid1(VALU_DEP_1)
	s_min_u32 s1, s1, 32
	v_readfirstlane_b32 s9, v0
	s_sub_i32 s10, s1, 29
	s_sub_i32 s1, 30, s1
	s_lshl_b32 s10, s7, s10
	s_and_b32 s9, s9, 31
	s_and_b32 s10, s10, 3
	s_cmp_eq_u32 s9, 0
	s_cselect_b32 s1, s1, s9
	s_cselect_b32 s0, s10, s0
	s_lshl_b32 s1, s1, 23
	s_and_b32 s9, s11, 0x80000000
	s_add_i32 s1, s1, 0x37800000
	s_lshl_b32 s0, s0, 21
	s_or_b32 s1, s9, s1
	s_delay_alu instid0(SALU_CYCLE_1) | instskip(NEXT) | instid1(SALU_CYCLE_1)
	s_or_b32 s0, s1, s0
	v_cvt_f64_f32_e32 v[0:1], s0
.LBB126_539:
	s_mov_b32 s0, 0
	global_store_b64 v[4:5], v[0:1], off
.LBB126_540:
	s_and_b32 vcc_lo, exec_lo, s0
	s_cbranch_vccz .LBB126_552
; %bb.541:
	v_and_b32_e64 v0, 0xff, s7
	s_delay_alu instid0(VALU_DEP_1)
	v_cmp_gt_i16_e32 vcc_lo, 0x80, v0
	s_cbranch_vccnz .LBB126_544
; %bb.542:
	v_cmp_eq_u16_e32 vcc_lo, 0x80, v0
	s_cbranch_vccz .LBB126_545
; %bb.543:
	s_mov_b32 s0, 0
	s_mov_b32 s1, 0x7f800001
	s_branch .LBB126_546
.LBB126_544:
	s_mov_b32 s9, -1
	s_mov_b32 s0, 0
                                        ; implicit-def: $sgpr1
	s_branch .LBB126_547
.LBB126_545:
	s_mov_b32 s0, -1
                                        ; implicit-def: $sgpr1
.LBB126_546:
	s_mov_b32 s9, 0
.LBB126_547:
	v_mov_b32_e32 v1, s1
	s_and_b32 vcc_lo, exec_lo, s9
	s_cbranch_vccz .LBB126_549
; %bb.548:
	v_and_b32_e32 v1, 0xffff, v0
	v_cmp_ne_u16_e64 s0, 0, v0
.LBB126_549:
	s_delay_alu instid0(VALU_DEP_1)
	s_and_not1_b32 vcc_lo, exec_lo, s0
	s_cbranch_vccnz .LBB126_551
; %bb.550:
	v_lshrrev_b16 v0, 2, s7
	s_and_b32 s0, s7, 3
	s_lshl_b32 s11, s7, 24
	s_clz_i32_u32 s1, s0
	s_delay_alu instid0(SALU_CYCLE_1) | instskip(SKIP_4) | instid1(VALU_DEP_1)
	s_min_u32 s1, s1, 32
	v_readfirstlane_b32 s9, v0
	s_sub_i32 s10, s1, 29
	s_sub_i32 s1, 30, s1
	s_lshl_b32 s10, s7, s10
	s_and_b32 s9, s9, 31
	s_and_b32 s10, s10, 3
	s_cmp_eq_u32 s9, 0
	s_cselect_b32 s1, s1, s9
	s_cselect_b32 s0, s10, s0
	s_lshl_b32 s1, s1, 23
	s_and_b32 s9, s11, 0x80000000
	s_add_i32 s1, s1, 0x37800000
	s_lshl_b32 s0, s0, 21
	s_or_b32 s1, s9, s1
	s_delay_alu instid0(SALU_CYCLE_1) | instskip(NEXT) | instid1(SALU_CYCLE_1)
	s_or_b32 s0, s1, s0
	v_mov_b32_e32 v1, s0
.LBB126_551:
	global_store_b32 v[4:5], v1, off
.LBB126_552:
	s_mov_b32 s0, 0
.LBB126_553:
	s_delay_alu instid0(SALU_CYCLE_1)
	s_and_not1_b32 vcc_lo, exec_lo, s0
	s_cbranch_vccnz .LBB126_565
; %bb.554:
	v_and_b32_e64 v0, 0xff, s7
	s_delay_alu instid0(VALU_DEP_1)
	v_cmp_gt_i16_e32 vcc_lo, 0x80, v0
	s_cbranch_vccnz .LBB126_557
; %bb.555:
	v_cmp_eq_u16_e32 vcc_lo, 0x80, v0
	s_cbranch_vccz .LBB126_558
; %bb.556:
	s_mov_b32 s0, 0
	s_movk_i32 s1, 0x7e00
	s_branch .LBB126_559
.LBB126_557:
	s_mov_b32 s9, -1
	s_mov_b32 s0, 0
                                        ; implicit-def: $sgpr1
	s_branch .LBB126_560
.LBB126_558:
	s_mov_b32 s0, -1
                                        ; implicit-def: $sgpr1
.LBB126_559:
	s_mov_b32 s9, 0
.LBB126_560:
	v_mov_b32_e32 v1, s1
	s_and_b32 vcc_lo, exec_lo, s9
	s_cbranch_vccz .LBB126_562
; %bb.561:
	v_cmp_ne_u16_e64 s0, 0, v0
	v_mov_b32_e32 v1, v0
.LBB126_562:
	s_delay_alu instid0(VALU_DEP_2)
	s_and_not1_b32 vcc_lo, exec_lo, s0
	s_cbranch_vccnz .LBB126_564
; %bb.563:
	v_lshrrev_b16 v0, 2, s7
	s_and_b32 s0, s7, 3
	s_lshl_b32 s11, s7, 24
	s_clz_i32_u32 s1, s0
	s_delay_alu instid0(SALU_CYCLE_1) | instskip(SKIP_4) | instid1(VALU_DEP_1)
	s_min_u32 s1, s1, 32
	v_readfirstlane_b32 s9, v0
	s_sub_i32 s10, s1, 29
	s_sub_i32 s1, 30, s1
	s_lshl_b32 s10, s7, s10
	s_and_b32 s9, s9, 31
	s_and_b32 s10, s10, 3
	s_cmp_eq_u32 s9, 0
	s_cselect_b32 s1, s1, s9
	s_cselect_b32 s0, s10, s0
	s_lshl_b32 s1, s1, 23
	s_and_b32 s9, s11, 0x80000000
	s_add_i32 s1, s1, 0x37800000
	s_lshl_b32 s0, s0, 21
	s_or_b32 s1, s9, s1
	s_delay_alu instid0(SALU_CYCLE_1) | instskip(NEXT) | instid1(SALU_CYCLE_1)
	s_or_b32 s0, s1, s0
	v_cvt_f16_f32_e32 v1, s0
.LBB126_564:
	global_store_b16 v[4:5], v1, off
.LBB126_565:
	s_mov_b32 s0, 0
.LBB126_566:
	s_delay_alu instid0(SALU_CYCLE_1)
	s_and_not1_b32 vcc_lo, exec_lo, s0
	s_cbranch_vccnz .LBB126_617
; %bb.567:
	v_cmp_gt_i16_e32 vcc_lo, 2, v12
	s_mov_b32 s0, -1
	s_cbranch_vccnz .LBB126_598
; %bb.568:
	v_cmp_gt_i16_e32 vcc_lo, 3, v12
	s_cbranch_vccnz .LBB126_588
; %bb.569:
	v_cmp_lt_i16_e32 vcc_lo, 3, v12
	s_cbranch_vccz .LBB126_578
; %bb.570:
	v_and_b32_e64 v0, 0xff, s7
	s_delay_alu instid0(VALU_DEP_1)
	v_cmp_gt_i16_e32 vcc_lo, 0x80, v0
	s_cbranch_vccnz .LBB126_572
; %bb.571:
	v_cmp_ne_u16_e64 s9, 0x80, v0
	s_mov_b32 s10, 0
	s_mov_b64 s[0:1], 0
	s_branch .LBB126_573
.LBB126_572:
	s_mov_b32 s10, -1
	s_mov_b32 s9, 0
                                        ; implicit-def: $sgpr0_sgpr1
.LBB126_573:
	s_and_not1_b32 vcc_lo, exec_lo, s10
	s_cbranch_vccnz .LBB126_575
; %bb.574:
	v_cmp_ne_u16_e64 s9, 0, v0
	s_mov_b64 s[0:1], 0
.LBB126_575:
	s_delay_alu instid0(SALU_CYCLE_1) | instskip(NEXT) | instid1(VALU_DEP_2)
	v_dual_mov_b32 v0, s0 :: v_dual_mov_b32 v1, s1
	s_and_not1_b32 vcc_lo, exec_lo, s9
	s_cbranch_vccnz .LBB126_577
; %bb.576:
	v_lshrrev_b16 v0, 2, s7
	s_and_b32 s0, s7, 3
	s_lshl_b32 s10, s7, 24
	s_clz_i32_u32 s1, s0
	s_delay_alu instid0(SALU_CYCLE_1) | instskip(SKIP_4) | instid1(VALU_DEP_1)
	s_min_u32 s1, s1, 32
	v_readfirstlane_b32 s9, v0
	s_sub_i32 s11, s1, 29
	s_sub_i32 s1, 30, s1
	s_lshl_b32 s11, s7, s11
	s_and_b32 s9, s9, 31
	s_and_b32 s11, s11, 3
	s_cmp_eq_u32 s9, 0
	s_cselect_b32 s1, s1, s9
	s_cselect_b32 s0, s11, s0
	s_lshl_b32 s1, s1, 23
	s_and_b32 s9, s10, 0x80000000
	s_add_i32 s1, s1, 0x37800000
	s_lshl_b32 s0, s0, 21
	s_or_b32 s1, s9, s1
	s_delay_alu instid0(SALU_CYCLE_1) | instskip(NEXT) | instid1(SALU_CYCLE_1)
	s_or_b32 s0, s1, s0
	v_trunc_f32_e32 v0, s0
	s_delay_alu instid0(VALU_DEP_1) | instskip(SKIP_1) | instid1(VALU_DEP_2)
	v_mul_f32_e64 v1, 0x2f800000, |v0|
	v_ashrrev_i32_e32 v3, 31, v0
	v_floor_f32_e32 v1, v1
	s_delay_alu instid0(VALU_DEP_1) | instskip(SKIP_1) | instid1(VALU_DEP_2)
	v_fma_f32 v2, 0xcf800000, v1, |v0|
	v_cvt_u32_f32_e32 v1, v1
	v_cvt_u32_f32_e32 v0, v2
	s_delay_alu instid0(VALU_DEP_2) | instskip(NEXT) | instid1(VALU_DEP_2)
	v_xor_b32_e32 v1, v1, v3
	v_xor_b32_e32 v0, v0, v3
	s_delay_alu instid0(VALU_DEP_1) | instskip(NEXT) | instid1(VALU_DEP_3)
	v_sub_co_u32 v0, vcc_lo, v0, v3
	v_sub_co_ci_u32_e32 v1, vcc_lo, v1, v3, vcc_lo
.LBB126_577:
	s_mov_b32 s0, 0
	global_store_b64 v[4:5], v[0:1], off
.LBB126_578:
	s_and_b32 vcc_lo, exec_lo, s0
	s_cbranch_vccz .LBB126_587
; %bb.579:
	v_and_b32_e64 v0, 0xff, s7
	s_delay_alu instid0(VALU_DEP_1)
	v_cmp_gt_i16_e32 vcc_lo, 0x80, v0
	s_cbranch_vccnz .LBB126_581
; %bb.580:
	v_cmp_ne_u16_e64 s0, 0x80, v0
	s_mov_b32 s9, 0
	s_mov_b32 s1, 0
	s_branch .LBB126_582
.LBB126_581:
	s_mov_b32 s9, -1
	s_mov_b32 s0, 0
                                        ; implicit-def: $sgpr1
.LBB126_582:
	s_and_not1_b32 vcc_lo, exec_lo, s9
	s_cbranch_vccnz .LBB126_584
; %bb.583:
	v_cmp_ne_u16_e64 s0, 0, v0
	s_mov_b32 s1, 0
.LBB126_584:
	s_delay_alu instid0(SALU_CYCLE_1) | instskip(NEXT) | instid1(VALU_DEP_2)
	v_mov_b32_e32 v0, s1
	s_and_not1_b32 vcc_lo, exec_lo, s0
	s_cbranch_vccnz .LBB126_586
; %bb.585:
	v_lshrrev_b16 v0, 2, s7
	s_and_b32 s0, s7, 3
	s_lshl_b32 s11, s7, 24
	s_clz_i32_u32 s1, s0
	s_delay_alu instid0(SALU_CYCLE_1) | instskip(SKIP_4) | instid1(VALU_DEP_1)
	s_min_u32 s1, s1, 32
	v_readfirstlane_b32 s9, v0
	s_sub_i32 s10, s1, 29
	s_sub_i32 s1, 30, s1
	s_lshl_b32 s10, s7, s10
	s_and_b32 s9, s9, 31
	s_and_b32 s10, s10, 3
	s_cmp_eq_u32 s9, 0
	s_cselect_b32 s1, s1, s9
	s_cselect_b32 s0, s10, s0
	s_lshl_b32 s1, s1, 23
	s_and_b32 s9, s11, 0x80000000
	s_add_i32 s1, s1, 0x37800000
	s_lshl_b32 s0, s0, 21
	s_or_b32 s1, s9, s1
	s_delay_alu instid0(SALU_CYCLE_1) | instskip(NEXT) | instid1(SALU_CYCLE_1)
	s_or_b32 s0, s1, s0
	v_cvt_i32_f32_e32 v0, s0
.LBB126_586:
	global_store_b32 v[4:5], v0, off
.LBB126_587:
	s_mov_b32 s0, 0
.LBB126_588:
	s_delay_alu instid0(SALU_CYCLE_1)
	s_and_not1_b32 vcc_lo, exec_lo, s0
	s_cbranch_vccnz .LBB126_597
; %bb.589:
	v_and_b32_e64 v0, 0xff, s7
	s_delay_alu instid0(VALU_DEP_1)
	v_cmp_gt_i16_e32 vcc_lo, 0x80, v0
	s_cbranch_vccnz .LBB126_591
; %bb.590:
	v_cmp_ne_u16_e64 s0, 0x80, v0
	s_mov_b32 s9, 0
	s_mov_b32 s1, 0
	s_branch .LBB126_592
.LBB126_591:
	s_mov_b32 s9, -1
	s_mov_b32 s0, 0
                                        ; implicit-def: $sgpr1
.LBB126_592:
	s_and_not1_b32 vcc_lo, exec_lo, s9
	s_cbranch_vccnz .LBB126_594
; %bb.593:
	v_cmp_ne_u16_e64 s0, 0, v0
	s_mov_b32 s1, 0
.LBB126_594:
	s_delay_alu instid0(SALU_CYCLE_1) | instskip(NEXT) | instid1(VALU_DEP_2)
	v_mov_b32_e32 v0, s1
	s_and_not1_b32 vcc_lo, exec_lo, s0
	s_cbranch_vccnz .LBB126_596
; %bb.595:
	v_lshrrev_b16 v0, 2, s7
	s_and_b32 s0, s7, 3
	s_lshl_b32 s11, s7, 24
	s_clz_i32_u32 s1, s0
	s_delay_alu instid0(SALU_CYCLE_1) | instskip(SKIP_4) | instid1(VALU_DEP_1)
	s_min_u32 s1, s1, 32
	v_readfirstlane_b32 s9, v0
	s_sub_i32 s10, s1, 29
	s_sub_i32 s1, 30, s1
	s_lshl_b32 s10, s7, s10
	s_and_b32 s9, s9, 31
	s_and_b32 s10, s10, 3
	s_cmp_eq_u32 s9, 0
	s_cselect_b32 s1, s1, s9
	s_cselect_b32 s0, s10, s0
	s_lshl_b32 s1, s1, 23
	s_and_b32 s9, s11, 0x80000000
	s_add_i32 s1, s1, 0x37800000
	s_lshl_b32 s0, s0, 21
	s_or_b32 s1, s9, s1
	s_delay_alu instid0(SALU_CYCLE_1) | instskip(NEXT) | instid1(SALU_CYCLE_1)
	s_or_b32 s0, s1, s0
	v_cvt_i32_f32_e32 v0, s0
.LBB126_596:
	global_store_b16 v[4:5], v0, off
.LBB126_597:
	s_mov_b32 s0, 0
.LBB126_598:
	s_delay_alu instid0(SALU_CYCLE_1)
	s_and_not1_b32 vcc_lo, exec_lo, s0
	s_cbranch_vccnz .LBB126_617
; %bb.599:
	v_cmp_lt_i16_e32 vcc_lo, 0, v12
	s_mov_b32 s0, 0
	s_mov_b32 s1, -1
	s_cbranch_vccz .LBB126_608
; %bb.600:
	v_and_b32_e64 v0, 0xff, s7
	s_delay_alu instid0(VALU_DEP_1)
	v_cmp_gt_i16_e32 vcc_lo, 0x80, v0
	s_cbranch_vccnz .LBB126_602
; %bb.601:
	v_cmp_ne_u16_e64 s0, 0x80, v0
	s_mov_b32 s9, 0
	s_mov_b32 s1, 0
	s_branch .LBB126_603
.LBB126_602:
	s_mov_b32 s9, -1
                                        ; implicit-def: $sgpr1
.LBB126_603:
	s_delay_alu instid0(SALU_CYCLE_1)
	s_and_not1_b32 vcc_lo, exec_lo, s9
	s_cbranch_vccnz .LBB126_605
; %bb.604:
	v_cmp_ne_u16_e64 s0, 0, v0
	s_mov_b32 s1, 0
.LBB126_605:
	s_delay_alu instid0(SALU_CYCLE_1) | instskip(NEXT) | instid1(VALU_DEP_2)
	v_mov_b32_e32 v0, s1
	s_and_not1_b32 vcc_lo, exec_lo, s0
	s_cbranch_vccnz .LBB126_607
; %bb.606:
	v_lshrrev_b16 v0, 2, s7
	s_and_b32 s0, s7, 3
	s_lshl_b32 s11, s7, 24
	s_clz_i32_u32 s1, s0
	s_delay_alu instid0(SALU_CYCLE_1) | instskip(SKIP_4) | instid1(VALU_DEP_1)
	s_min_u32 s1, s1, 32
	v_readfirstlane_b32 s9, v0
	s_sub_i32 s10, s1, 29
	s_sub_i32 s1, 30, s1
	s_lshl_b32 s10, s7, s10
	s_and_b32 s9, s9, 31
	s_and_b32 s10, s10, 3
	s_cmp_eq_u32 s9, 0
	s_cselect_b32 s1, s1, s9
	s_cselect_b32 s0, s10, s0
	s_lshl_b32 s1, s1, 23
	s_and_b32 s9, s11, 0x80000000
	s_add_i32 s1, s1, 0x37800000
	s_lshl_b32 s0, s0, 21
	s_or_b32 s1, s9, s1
	s_delay_alu instid0(SALU_CYCLE_1) | instskip(NEXT) | instid1(SALU_CYCLE_1)
	s_or_b32 s0, s1, s0
	v_cvt_i32_f32_e32 v0, s0
.LBB126_607:
	s_mov_b32 s1, 0
	global_store_b8 v[4:5], v0, off
.LBB126_608:
	s_and_b32 vcc_lo, exec_lo, s1
	s_cbranch_vccz .LBB126_617
; %bb.609:
	v_and_b32_e64 v0, 0xff, s7
	s_delay_alu instid0(VALU_DEP_1)
	v_cmp_gt_i16_e32 vcc_lo, 0x80, v0
	s_cbranch_vccnz .LBB126_611
; %bb.610:
	v_cmp_ne_u16_e64 s0, 0x80, v0
	s_mov_b32 s9, 0
	s_mov_b32 s1, 0
	s_branch .LBB126_612
.LBB126_611:
	s_mov_b32 s9, -1
	s_mov_b32 s0, 0
                                        ; implicit-def: $sgpr1
.LBB126_612:
	s_and_not1_b32 vcc_lo, exec_lo, s9
	s_cbranch_vccnz .LBB126_614
; %bb.613:
	v_cmp_ne_u16_e64 s0, 0, v0
	s_mov_b32 s1, 0
.LBB126_614:
	s_delay_alu instid0(SALU_CYCLE_1) | instskip(NEXT) | instid1(VALU_DEP_2)
	v_mov_b32_e32 v0, s1
	s_and_not1_b32 vcc_lo, exec_lo, s0
	s_cbranch_vccnz .LBB126_616
; %bb.615:
	v_lshrrev_b16 v0, 2, s7
	s_and_b32 s0, s7, 3
	s_lshl_b32 s10, s7, 24
	s_clz_i32_u32 s1, s0
	s_delay_alu instid0(SALU_CYCLE_1) | instskip(SKIP_4) | instid1(VALU_DEP_1)
	s_min_u32 s1, s1, 32
	v_readfirstlane_b32 s9, v0
	s_sub_i32 s11, s1, 29
	s_sub_i32 s1, 30, s1
	s_lshl_b32 s11, s7, s11
	s_and_b32 s9, s9, 31
	s_and_b32 s11, s11, 3
	s_cmp_eq_u32 s9, 0
	s_cselect_b32 s1, s1, s9
	s_cselect_b32 s0, s11, s0
	s_lshl_b32 s1, s1, 23
	s_and_b32 s9, s10, 0x80000000
	s_add_i32 s1, s1, 0x37800000
	s_lshl_b32 s0, s0, 21
	s_or_b32 s1, s9, s1
	s_delay_alu instid0(SALU_CYCLE_1) | instskip(NEXT) | instid1(SALU_CYCLE_1)
	s_or_b32 s0, s1, s0
	v_trunc_f32_e32 v0, s0
	s_delay_alu instid0(VALU_DEP_1) | instskip(NEXT) | instid1(VALU_DEP_1)
	v_mul_f32_e64 v1, 0x2f800000, |v0|
	v_floor_f32_e32 v1, v1
	s_delay_alu instid0(VALU_DEP_1) | instskip(SKIP_1) | instid1(VALU_DEP_2)
	v_fma_f32 v1, 0xcf800000, v1, |v0|
	v_ashrrev_i32_e32 v0, 31, v0
	v_cvt_u32_f32_e32 v1, v1
	s_delay_alu instid0(VALU_DEP_1) | instskip(NEXT) | instid1(VALU_DEP_1)
	v_xor_b32_e32 v1, v1, v0
	v_sub_nc_u32_e32 v0, v1, v0
.LBB126_616:
	global_store_b8 v[4:5], v0, off
.LBB126_617:
	s_branch .LBB126_778
.LBB126_618:
	s_mov_b32 s1, -1
                                        ; implicit-def: $sgpr0
.LBB126_619:
	s_mov_b32 s10, 0
.LBB126_620:
	s_delay_alu instid0(SALU_CYCLE_1)
	s_and_b32 vcc_lo, exec_lo, s10
	s_cbranch_vccz .LBB126_622
; %bb.621:
	v_cmp_ne_u16_e64 s1, 0, v0
	s_mov_b32 s0, 0
.LBB126_622:
	s_delay_alu instid0(VALU_DEP_1)
	s_and_not1_b32 vcc_lo, exec_lo, s1
	s_cbranch_vccnz .LBB126_624
; %bb.623:
	v_lshrrev_b16 v0, 2, s7
	s_and_b32 s0, s7, 3
	s_lshl_b32 s12, s7, 24
	s_clz_i32_u32 s1, s0
	s_delay_alu instid0(SALU_CYCLE_1) | instskip(SKIP_4) | instid1(VALU_DEP_1)
	s_min_u32 s1, s1, 32
	v_readfirstlane_b32 s10, v0
	s_sub_i32 s11, s1, 29
	s_sub_i32 s1, 30, s1
	s_lshl_b32 s11, s7, s11
	s_and_b32 s10, s10, 31
	s_and_b32 s11, s11, 3
	s_cmp_eq_u32 s10, 0
	s_cselect_b32 s1, s1, s10
	s_cselect_b32 s0, s11, s0
	s_lshl_b32 s1, s1, 23
	s_and_b32 s10, s12, 0x80000000
	s_add_i32 s1, s1, 0x37800000
	s_lshl_b32 s0, s0, 21
	s_or_b32 s1, s10, s1
	s_delay_alu instid0(SALU_CYCLE_1)
	s_or_b32 s0, s1, s0
.LBB126_624:
	s_delay_alu instid0(SALU_CYCLE_1) | instskip(NEXT) | instid1(SALU_CYCLE_1)
	s_bfe_u32 s1, s0, 0x10010
	s_add_i32 s1, s0, s1
	v_cmp_o_f32_e64 s0, s0, s0
	s_addk_i32 s1, 0x7fff
	s_delay_alu instid0(SALU_CYCLE_1) | instskip(NEXT) | instid1(VALU_DEP_1)
	s_lshr_b32 s1, s1, 16
	s_and_b32 s0, s0, exec_lo
	s_cselect_b32 s0, s1, 0x7fc0
	s_mov_b32 s1, -1
	v_mov_b32_e32 v0, s0
	s_mov_b32 s0, 0
	global_store_b32 v[4:5], v0, off
.LBB126_625:
	s_and_b32 vcc_lo, exec_lo, s8
	s_cbranch_vccz .LBB126_638
; %bb.626:
	v_cmp_eq_u16_e32 vcc_lo, 44, v12
	s_mov_b32 s0, -1
	s_cbranch_vccz .LBB126_638
; %bb.627:
	v_and_b32_e64 v0, 0xff, s7
	s_delay_alu instid0(VALU_DEP_1)
	v_cmp_gt_i16_e32 vcc_lo, 0x80, v0
	v_readfirstlane_b32 s1, v0
	s_cbranch_vccnz .LBB126_630
; %bb.628:
	s_delay_alu instid0(VALU_DEP_1) | instskip(NEXT) | instid1(VALU_DEP_1)
	v_cmp_eq_u16_e64 s0, 0x80, s1
	s_and_b32 vcc_lo, exec_lo, s0
	s_cbranch_vccz .LBB126_631
; %bb.629:
	s_mov_b32 s8, 0
	s_mov_b32 s0, 0x7f800001
	s_branch .LBB126_632
.LBB126_630:
	s_mov_b32 s10, -1
	s_mov_b32 s8, 0
                                        ; implicit-def: $sgpr0
	s_branch .LBB126_633
.LBB126_631:
	s_mov_b32 s8, -1
                                        ; implicit-def: $sgpr0
.LBB126_632:
	s_mov_b32 s10, 0
.LBB126_633:
	s_delay_alu instid0(SALU_CYCLE_1)
	s_and_b32 vcc_lo, exec_lo, s10
	s_cbranch_vccz .LBB126_643
; %bb.634:
	v_cmp_ne_u16_e64 s8, s1, 0
	s_and_b32 s0, 0xffff, s1
	s_delay_alu instid0(VALU_DEP_1)
	s_and_not1_b32 vcc_lo, exec_lo, s8
	s_cbranch_vccz .LBB126_644
.LBB126_635:
	v_mov_b32_e32 v0, 0xff
	s_bfe_u32 s1, s0, 0x80017
	s_delay_alu instid0(SALU_CYCLE_1)
	s_cmpk_eq_i32 s1, 0xff
	s_cbranch_scc1 .LBB126_637
.LBB126_636:
	s_lshr_b32 s8, s0, 23
	s_bitcmp1_b32 s0, 22
	s_cselect_b32 s10, -1, 0
	s_and_b32 s0, s0, 0x3fffff
	s_delay_alu instid0(SALU_CYCLE_1) | instskip(NEXT) | instid1(SALU_CYCLE_1)
	s_or_b32 s0, s1, s0
	s_cmp_lg_u32 s0, 0
	s_cselect_b32 s0, -1, 0
	s_delay_alu instid0(SALU_CYCLE_1) | instskip(NEXT) | instid1(SALU_CYCLE_1)
	s_and_b32 s0, s10, s0
	v_cndmask_b32_e64 v0, 0, 1, s0
	s_delay_alu instid0(VALU_DEP_1)
	v_add_nc_u32_e32 v0, s8, v0
.LBB126_637:
	s_mov_b32 s0, 0
	s_mov_b32 s1, -1
	global_store_b8 v[4:5], v0, off
.LBB126_638:
	s_mov_b32 s8, 0
.LBB126_639:
	s_delay_alu instid0(SALU_CYCLE_1)
	s_and_b32 vcc_lo, exec_lo, s8
	s_cbranch_vccz .LBB126_651
; %bb.640:
	v_cmp_eq_u16_e32 vcc_lo, 29, v12
	s_mov_b32 s0, -1
	s_cbranch_vccz .LBB126_651
; %bb.641:
	v_and_b32_e64 v0, 0xff, s7
	s_delay_alu instid0(VALU_DEP_1)
	v_cmp_gt_i16_e32 vcc_lo, 0x80, v0
	s_cbranch_vccnz .LBB126_645
; %bb.642:
	v_cmp_ne_u16_e64 s8, 0x80, v0
	s_mov_b32 s10, 0
	s_mov_b64 s[0:1], 0
	s_branch .LBB126_646
.LBB126_643:
	s_and_not1_b32 vcc_lo, exec_lo, s8
	s_cbranch_vccnz .LBB126_635
.LBB126_644:
	v_lshrrev_b16 v0, 2, s7
	s_and_b32 s0, s7, 3
	s_delay_alu instid0(SALU_CYCLE_1) | instskip(NEXT) | instid1(SALU_CYCLE_1)
	s_clz_i32_u32 s1, s0
	s_min_u32 s1, s1, 32
	s_delay_alu instid0(VALU_DEP_1) | instskip(SKIP_3) | instid1(VALU_DEP_1)
	v_readfirstlane_b32 s8, v0
	s_sub_i32 s10, s1, 29
	s_sub_i32 s1, 30, s1
	s_lshl_b32 s10, s7, s10
	s_and_b32 s8, s8, 31
	s_and_b32 s10, s10, 3
	s_cmp_eq_u32 s8, 0
	s_cselect_b32 s0, s10, s0
	s_cselect_b32 s1, s1, s8
	s_lshl_b32 s0, s0, 21
	s_lshl_b32 s1, s1, 23
	s_delay_alu instid0(SALU_CYCLE_1) | instskip(NEXT) | instid1(SALU_CYCLE_1)
	s_or_b32 s0, s1, s0
	s_add_i32 s0, s0, 0x37800000
	v_mov_b32_e32 v0, 0xff
	s_bfe_u32 s1, s0, 0x80017
	s_delay_alu instid0(SALU_CYCLE_1)
	s_cmpk_eq_i32 s1, 0xff
	s_cbranch_scc0 .LBB126_636
	s_branch .LBB126_637
.LBB126_645:
	s_mov_b32 s10, -1
	s_mov_b32 s8, 0
                                        ; implicit-def: $sgpr0_sgpr1
.LBB126_646:
	s_and_not1_b32 vcc_lo, exec_lo, s10
	s_cbranch_vccnz .LBB126_648
; %bb.647:
	v_cmp_ne_u16_e64 s8, 0, v0
	s_mov_b64 s[0:1], 0
.LBB126_648:
	s_delay_alu instid0(SALU_CYCLE_1) | instskip(NEXT) | instid1(VALU_DEP_2)
	v_dual_mov_b32 v0, s0 :: v_dual_mov_b32 v1, s1
	s_and_not1_b32 vcc_lo, exec_lo, s8
	s_cbranch_vccnz .LBB126_650
; %bb.649:
	v_lshrrev_b16 v0, 2, s7
	s_and_b32 s0, s7, 3
	s_lshl_b32 s10, s7, 24
	s_clz_i32_u32 s1, s0
	s_delay_alu instid0(SALU_CYCLE_1) | instskip(SKIP_4) | instid1(VALU_DEP_1)
	s_min_u32 s1, s1, 32
	v_readfirstlane_b32 s8, v0
	s_sub_i32 s11, s1, 29
	s_sub_i32 s1, 30, s1
	s_lshl_b32 s11, s7, s11
	s_and_b32 s8, s8, 31
	s_and_b32 s11, s11, 3
	s_cmp_eq_u32 s8, 0
	s_cselect_b32 s1, s1, s8
	s_cselect_b32 s0, s11, s0
	s_lshl_b32 s1, s1, 23
	s_and_b32 s8, s10, 0x80000000
	s_add_i32 s1, s1, 0x37800000
	s_lshl_b32 s0, s0, 21
	s_or_b32 s1, s8, s1
	s_delay_alu instid0(SALU_CYCLE_1) | instskip(NEXT) | instid1(SALU_CYCLE_1)
	s_or_b32 s0, s1, s0
	v_trunc_f32_e32 v0, s0
	s_delay_alu instid0(VALU_DEP_1) | instskip(NEXT) | instid1(VALU_DEP_1)
	v_mul_f32_e32 v1, 0x2f800000, v0
	v_floor_f32_e32 v1, v1
	s_delay_alu instid0(VALU_DEP_1) | instskip(SKIP_1) | instid1(VALU_DEP_2)
	v_fmamk_f32 v0, v1, 0xcf800000, v0
	v_cvt_u32_f32_e32 v1, v1
	v_cvt_u32_f32_e32 v0, v0
.LBB126_650:
	s_mov_b32 s0, 0
	s_mov_b32 s1, -1
	global_store_b64 v[4:5], v[0:1], off
.LBB126_651:
	s_mov_b32 s8, 0
.LBB126_652:
	s_delay_alu instid0(SALU_CYCLE_1)
	s_and_b32 vcc_lo, exec_lo, s8
	s_cbranch_vccz .LBB126_694
; %bb.653:
	v_cmp_gt_i16_e32 vcc_lo, 27, v12
	s_mov_b32 s1, -1
	s_cbranch_vccnz .LBB126_673
; %bb.654:
	v_cmp_lt_i16_e32 vcc_lo, 27, v12
	s_cbranch_vccz .LBB126_663
; %bb.655:
	v_and_b32_e64 v0, 0xff, s7
	s_delay_alu instid0(VALU_DEP_1)
	v_cmp_gt_i16_e32 vcc_lo, 0x80, v0
	s_cbranch_vccnz .LBB126_657
; %bb.656:
	v_cmp_ne_u16_e64 s1, 0x80, v0
	s_mov_b32 s10, 0
	s_mov_b32 s8, 0
	s_branch .LBB126_658
.LBB126_657:
	s_mov_b32 s10, -1
	s_mov_b32 s1, 0
                                        ; implicit-def: $sgpr8
.LBB126_658:
	s_and_not1_b32 vcc_lo, exec_lo, s10
	s_cbranch_vccnz .LBB126_660
; %bb.659:
	v_cmp_ne_u16_e64 s1, 0, v0
	s_mov_b32 s8, 0
.LBB126_660:
	s_delay_alu instid0(SALU_CYCLE_1) | instskip(NEXT) | instid1(VALU_DEP_2)
	v_mov_b32_e32 v0, s8
	s_and_not1_b32 vcc_lo, exec_lo, s1
	s_cbranch_vccnz .LBB126_662
; %bb.661:
	v_lshrrev_b16 v0, 2, s7
	s_and_b32 s1, s7, 3
	s_lshl_b32 s12, s7, 24
	s_clz_i32_u32 s8, s1
	s_delay_alu instid0(SALU_CYCLE_1) | instskip(SKIP_4) | instid1(VALU_DEP_1)
	s_min_u32 s8, s8, 32
	v_readfirstlane_b32 s10, v0
	s_sub_i32 s11, s8, 29
	s_sub_i32 s8, 30, s8
	s_lshl_b32 s11, s7, s11
	s_and_b32 s10, s10, 31
	s_and_b32 s11, s11, 3
	s_cmp_eq_u32 s10, 0
	s_cselect_b32 s8, s8, s10
	s_cselect_b32 s1, s11, s1
	s_lshl_b32 s8, s8, 23
	s_and_b32 s10, s12, 0x80000000
	s_add_i32 s8, s8, 0x37800000
	s_lshl_b32 s1, s1, 21
	s_or_b32 s8, s10, s8
	s_delay_alu instid0(SALU_CYCLE_1) | instskip(NEXT) | instid1(SALU_CYCLE_1)
	s_or_b32 s1, s8, s1
	v_cvt_u32_f32_e32 v0, s1
.LBB126_662:
	s_mov_b32 s1, 0
	global_store_b32 v[4:5], v0, off
.LBB126_663:
	s_and_b32 vcc_lo, exec_lo, s1
	s_cbranch_vccz .LBB126_672
; %bb.664:
	v_and_b32_e64 v0, 0xff, s7
	s_delay_alu instid0(VALU_DEP_1)
	v_cmp_gt_i16_e32 vcc_lo, 0x80, v0
	s_cbranch_vccnz .LBB126_666
; %bb.665:
	v_cmp_ne_u16_e64 s1, 0x80, v0
	s_mov_b32 s10, 0
	s_mov_b32 s8, 0
	s_branch .LBB126_667
.LBB126_666:
	s_mov_b32 s10, -1
	s_mov_b32 s1, 0
                                        ; implicit-def: $sgpr8
.LBB126_667:
	s_and_not1_b32 vcc_lo, exec_lo, s10
	s_cbranch_vccnz .LBB126_669
; %bb.668:
	v_cmp_ne_u16_e64 s1, 0, v0
	s_mov_b32 s8, 0
.LBB126_669:
	s_delay_alu instid0(SALU_CYCLE_1) | instskip(NEXT) | instid1(VALU_DEP_2)
	v_mov_b32_e32 v0, s8
	s_and_not1_b32 vcc_lo, exec_lo, s1
	s_cbranch_vccnz .LBB126_671
; %bb.670:
	v_lshrrev_b16 v0, 2, s7
	s_and_b32 s1, s7, 3
	s_lshl_b32 s12, s7, 24
	s_clz_i32_u32 s8, s1
	s_delay_alu instid0(SALU_CYCLE_1) | instskip(SKIP_4) | instid1(VALU_DEP_1)
	s_min_u32 s8, s8, 32
	v_readfirstlane_b32 s10, v0
	s_sub_i32 s11, s8, 29
	s_sub_i32 s8, 30, s8
	s_lshl_b32 s11, s7, s11
	s_and_b32 s10, s10, 31
	s_and_b32 s11, s11, 3
	s_cmp_eq_u32 s10, 0
	s_cselect_b32 s8, s8, s10
	s_cselect_b32 s1, s11, s1
	s_lshl_b32 s8, s8, 23
	s_and_b32 s10, s12, 0x80000000
	s_add_i32 s8, s8, 0x37800000
	s_lshl_b32 s1, s1, 21
	s_or_b32 s8, s10, s8
	s_delay_alu instid0(SALU_CYCLE_1) | instskip(NEXT) | instid1(SALU_CYCLE_1)
	s_or_b32 s1, s8, s1
	v_cvt_u32_f32_e32 v0, s1
.LBB126_671:
	global_store_b16 v[4:5], v0, off
.LBB126_672:
	s_mov_b32 s1, 0
.LBB126_673:
	s_delay_alu instid0(SALU_CYCLE_1)
	s_and_not1_b32 vcc_lo, exec_lo, s1
	s_cbranch_vccnz .LBB126_693
; %bb.674:
	v_and_b32_e64 v0, 0xff, s7
	s_delay_alu instid0(VALU_DEP_1)
	v_cmp_gt_i16_e32 vcc_lo, 0x80, v0
	s_cbranch_vccnz .LBB126_677
; %bb.675:
	v_cmp_eq_u16_e32 vcc_lo, 0x80, v0
	s_cbranch_vccz .LBB126_678
; %bb.676:
	s_mov_b32 s8, 0
	s_mov_b32 s1, 0x7f800001
	s_branch .LBB126_679
.LBB126_677:
	s_mov_b32 s10, -1
	s_mov_b32 s8, 0
                                        ; implicit-def: $sgpr1
	s_branch .LBB126_680
.LBB126_678:
	s_mov_b32 s8, -1
                                        ; implicit-def: $sgpr1
.LBB126_679:
	s_mov_b32 s10, 0
.LBB126_680:
	s_delay_alu instid0(SALU_CYCLE_1)
	s_and_b32 vcc_lo, exec_lo, s10
	s_cbranch_vccz .LBB126_683
; %bb.681:
	v_cmp_ne_u16_e64 s8, 0, v0
	s_mov_b32 s1, 0
	s_delay_alu instid0(VALU_DEP_1)
	s_and_not1_b32 vcc_lo, exec_lo, s8
	s_cbranch_vccz .LBB126_684
.LBB126_682:
	v_mov_b32_e32 v1, 0x80
	s_and_b32 s8, s1, 0x7fffffff
	s_delay_alu instid0(SALU_CYCLE_1)
	s_cmp_gt_u32 s8, 0x437fffff
	s_cbranch_scc0 .LBB126_685
	s_branch .LBB126_692
.LBB126_683:
	s_and_not1_b32 vcc_lo, exec_lo, s8
	s_cbranch_vccnz .LBB126_682
.LBB126_684:
	v_lshrrev_b16 v0, 2, s7
	s_and_b32 s1, s7, 3
	s_lshl_b32 s12, s7, 24
	s_clz_i32_u32 s8, s1
	s_delay_alu instid0(SALU_CYCLE_1) | instskip(SKIP_4) | instid1(VALU_DEP_1)
	s_min_u32 s8, s8, 32
	v_readfirstlane_b32 s10, v0
	s_sub_i32 s11, s8, 29
	s_sub_i32 s8, 30, s8
	s_lshl_b32 s11, s7, s11
	s_and_b32 s10, s10, 31
	s_and_b32 s11, s11, 3
	s_cmp_eq_u32 s10, 0
	s_cselect_b32 s8, s8, s10
	s_cselect_b32 s1, s11, s1
	s_lshl_b32 s8, s8, 23
	s_and_b32 s10, s12, 0x80000000
	s_add_i32 s8, s8, 0x37800000
	s_lshl_b32 s1, s1, 21
	s_or_b32 s8, s10, s8
	s_delay_alu instid0(SALU_CYCLE_1) | instskip(SKIP_2) | instid1(SALU_CYCLE_1)
	s_or_b32 s1, s8, s1
	v_mov_b32_e32 v1, 0x80
	s_and_b32 s8, s1, 0x7fffffff
	s_cmp_gt_u32 s8, 0x437fffff
	s_cbranch_scc1 .LBB126_692
.LBB126_685:
	s_cmp_gt_u32 s8, 0x3bffffff
	s_cbranch_scc0 .LBB126_687
; %bb.686:
	s_bfe_u32 s8, s1, 0x10014
	s_mov_b32 s10, 0
	s_add_i32 s8, s1, s8
	s_delay_alu instid0(SALU_CYCLE_1) | instskip(NEXT) | instid1(SALU_CYCLE_1)
	s_add_i32 s8, s8, 0x487ffff
	s_lshr_b32 s11, s8, 20
	s_mov_b32 s8, -1
	s_branch .LBB126_688
.LBB126_687:
	s_mov_b32 s10, -1
	s_mov_b32 s8, 0
                                        ; implicit-def: $sgpr11
.LBB126_688:
	v_mov_b32_e32 v0, s11
	s_and_not1_b32 vcc_lo, exec_lo, s10
                                        ; implicit-def: $sgpr10
	s_cbranch_vccnz .LBB126_690
; %bb.689:
	v_add_f32_e64 v0, 0x46000000, |s1|
	s_mov_b32 s10, 0
	s_delay_alu instid0(VALU_DEP_1) | instskip(NEXT) | instid1(VALU_DEP_1)
	v_and_b32_e32 v0, 0xff, v0
	v_cmp_ne_u32_e64 s8, 0, v0
.LBB126_690:
	v_mov_b32_e32 v1, s10
	s_delay_alu instid0(VALU_DEP_2)
	s_and_not1_b32 vcc_lo, exec_lo, s8
	s_cbranch_vccnz .LBB126_692
; %bb.691:
	s_lshr_b32 s1, s1, 24
	s_delay_alu instid0(SALU_CYCLE_1) | instskip(NEXT) | instid1(SALU_CYCLE_1)
	s_and_b32 s1, s1, 0x80
	v_or_b32_e32 v1, s1, v0
.LBB126_692:
	global_store_b8 v[4:5], v1, off
.LBB126_693:
	s_mov_b32 s1, -1
.LBB126_694:
	s_mov_b32 s8, 0
.LBB126_695:
	s_delay_alu instid0(SALU_CYCLE_1)
	s_and_b32 vcc_lo, exec_lo, s8
	s_cbranch_vccz .LBB126_762
; %bb.696:
	v_cmp_lt_i16_e32 vcc_lo, 22, v12
	s_mov_b32 s8, -1
	s_cbranch_vccz .LBB126_745
; %bb.697:
	v_cmp_gt_i16_e32 vcc_lo, 24, v12
	s_mov_b32 s1, -1
	s_cbranch_vccnz .LBB126_722
; %bb.698:
	v_cmp_lt_i16_e32 vcc_lo, 24, v12
	s_cbranch_vccz .LBB126_700
; %bb.699:
	v_mov_b32_e32 v0, s7
	s_mov_b32 s1, 0
	global_store_b8 v[4:5], v0, off
.LBB126_700:
	s_and_not1_b32 vcc_lo, exec_lo, s1
	s_cbranch_vccnz .LBB126_721
; %bb.701:
	v_and_b32_e64 v0, 0xff, s7
	s_delay_alu instid0(VALU_DEP_1)
	v_cmp_gt_i16_e32 vcc_lo, 0x80, v0
	s_cbranch_vccnz .LBB126_704
; %bb.702:
	v_cmp_eq_u16_e32 vcc_lo, 0x80, v0
	s_cbranch_vccz .LBB126_705
; %bb.703:
	s_mov_b32 s8, 0
	s_mov_b32 s1, 0x7f800001
	s_branch .LBB126_706
.LBB126_704:
	s_mov_b32 s9, -1
	s_mov_b32 s8, 0
.LBB126_705:
                                        ; implicit-def: $sgpr1
.LBB126_706:
	s_and_b32 vcc_lo, exec_lo, s9
	s_cbranch_vccz .LBB126_711
; %bb.707:
	v_cmp_ne_u16_e64 s8, 0, v0
	s_mov_b32 s1, 0
	s_delay_alu instid0(VALU_DEP_1)
	s_and_not1_b32 vcc_lo, exec_lo, s8
	s_cbranch_vccz .LBB126_712
.LBB126_708:
	s_and_b32 s8, s1, 0x7fffffff
	s_delay_alu instid0(SALU_CYCLE_1)
	s_cmp_lt_u32 s8, 0x43f00000
	s_cbranch_scc0 .LBB126_713
.LBB126_709:
	s_cmp_gt_u32 s8, 0x3c7fffff
	s_cbranch_scc0 .LBB126_714
; %bb.710:
	s_bfe_u32 s9, s1, 0x10014
	s_delay_alu instid0(SALU_CYCLE_1) | instskip(NEXT) | instid1(SALU_CYCLE_1)
	s_add_i32 s9, s1, s9
	s_add_i32 s9, s9, 0x407ffff
	s_delay_alu instid0(SALU_CYCLE_1)
	s_and_b32 s10, s9, 0xff00000
	s_lshr_b32 s9, s9, 20
	s_cmp_lg_u32 s10, 0x7f00000
	s_cselect_b32 s10, s9, 0x7e
	s_mov_b32 s9, 0
	s_branch .LBB126_715
.LBB126_711:
	s_and_not1_b32 vcc_lo, exec_lo, s8
	s_cbranch_vccnz .LBB126_708
.LBB126_712:
	v_lshrrev_b16 v0, 2, s7
	s_and_b32 s1, s7, 3
	s_lshl_b32 s11, s7, 24
	s_clz_i32_u32 s8, s1
	s_delay_alu instid0(SALU_CYCLE_1) | instskip(SKIP_4) | instid1(VALU_DEP_1)
	s_min_u32 s8, s8, 32
	v_readfirstlane_b32 s9, v0
	s_sub_i32 s10, s8, 29
	s_sub_i32 s8, 30, s8
	s_lshl_b32 s10, s7, s10
	s_and_b32 s9, s9, 31
	s_and_b32 s10, s10, 3
	s_cmp_eq_u32 s9, 0
	s_cselect_b32 s8, s8, s9
	s_cselect_b32 s1, s10, s1
	s_lshl_b32 s8, s8, 23
	s_and_b32 s9, s11, 0x80000000
	s_add_i32 s8, s8, 0x37800000
	s_lshl_b32 s1, s1, 21
	s_or_b32 s8, s9, s8
	s_delay_alu instid0(SALU_CYCLE_1) | instskip(NEXT) | instid1(SALU_CYCLE_1)
	s_or_b32 s1, s8, s1
	s_and_b32 s8, s1, 0x7fffffff
	s_delay_alu instid0(SALU_CYCLE_1)
	s_cmp_lt_u32 s8, 0x43f00000
	s_cbranch_scc1 .LBB126_709
.LBB126_713:
	s_mov_b32 s9, -1
                                        ; implicit-def: $vgpr0
	s_branch .LBB126_718
.LBB126_714:
	s_mov_b32 s9, -1
                                        ; implicit-def: $sgpr10
.LBB126_715:
	v_mov_b32_e32 v0, s10
	s_and_not1_b32 vcc_lo, exec_lo, s9
	s_cbranch_vccnz .LBB126_717
; %bb.716:
	v_add_f32_e64 v0, 0x46800000, |s1|
.LBB126_717:
	s_mov_b32 s9, 0
.LBB126_718:
	s_delay_alu instid0(SALU_CYCLE_1)
	s_and_not1_b32 vcc_lo, exec_lo, s9
	s_cbranch_vccnz .LBB126_720
; %bb.719:
	s_cmp_gt_u32 s8, 0x7f800000
	s_movk_i32 s8, 0x7f
	s_delay_alu instid0(SALU_CYCLE_1) | instskip(NEXT) | instid1(SALU_CYCLE_1)
	s_cselect_b32 s8, s8, 0x7e
	v_mov_b32_e32 v0, s8
.LBB126_720:
	s_lshr_b32 s1, s1, 24
	s_delay_alu instid0(SALU_CYCLE_1)
	s_and_b32 s1, s1, 0x80
	s_delay_alu instid0(VALU_DEP_1) | instid1(SALU_CYCLE_1)
	v_or_b32_e32 v0, s1, v0
	global_store_b8 v[4:5], v0, off
.LBB126_721:
	s_mov_b32 s1, 0
.LBB126_722:
	s_delay_alu instid0(SALU_CYCLE_1)
	s_and_not1_b32 vcc_lo, exec_lo, s1
	s_cbranch_vccnz .LBB126_744
; %bb.723:
	v_and_b32_e64 v0, 0xff, s7
	s_delay_alu instid0(VALU_DEP_1)
	v_cmp_gt_i16_e32 vcc_lo, 0x80, v0
	s_cbranch_vccnz .LBB126_726
; %bb.724:
	v_cmp_eq_u16_e32 vcc_lo, 0x80, v0
	s_cbranch_vccz .LBB126_727
; %bb.725:
	s_mov_b32 s8, 0
	s_mov_b32 s1, 0x7f800001
	s_branch .LBB126_728
.LBB126_726:
	s_mov_b32 s9, -1
	s_mov_b32 s8, 0
                                        ; implicit-def: $sgpr1
	s_branch .LBB126_729
.LBB126_727:
	s_mov_b32 s8, -1
                                        ; implicit-def: $sgpr1
.LBB126_728:
	s_mov_b32 s9, 0
.LBB126_729:
	s_delay_alu instid0(SALU_CYCLE_1)
	s_and_b32 vcc_lo, exec_lo, s9
	s_cbranch_vccz .LBB126_734
; %bb.730:
	v_cmp_ne_u16_e64 s8, 0, v0
	s_mov_b32 s1, 0
	s_delay_alu instid0(VALU_DEP_1)
	s_and_not1_b32 vcc_lo, exec_lo, s8
	s_cbranch_vccz .LBB126_735
.LBB126_731:
	s_and_b32 s8, s1, 0x7fffffff
	s_delay_alu instid0(SALU_CYCLE_1)
	s_cmp_lt_u32 s8, 0x47800000
	s_cbranch_scc0 .LBB126_736
.LBB126_732:
	s_cmp_gt_u32 s8, 0x387fffff
	s_cbranch_scc0 .LBB126_737
; %bb.733:
	s_bfe_u32 s9, s1, 0x10015
	s_delay_alu instid0(SALU_CYCLE_1) | instskip(NEXT) | instid1(SALU_CYCLE_1)
	s_add_i32 s9, s1, s9
	s_add_i32 s9, s9, 0x80fffff
	s_delay_alu instid0(SALU_CYCLE_1)
	s_lshr_b32 s10, s9, 21
	s_mov_b32 s9, 0
	s_branch .LBB126_738
.LBB126_734:
	s_and_not1_b32 vcc_lo, exec_lo, s8
	s_cbranch_vccnz .LBB126_731
.LBB126_735:
	v_lshrrev_b16 v0, 2, s7
	s_and_b32 s1, s7, 3
	s_lshl_b32 s11, s7, 24
	s_clz_i32_u32 s8, s1
	s_delay_alu instid0(SALU_CYCLE_1) | instskip(SKIP_4) | instid1(VALU_DEP_1)
	s_min_u32 s8, s8, 32
	v_readfirstlane_b32 s9, v0
	s_sub_i32 s10, s8, 29
	s_sub_i32 s8, 30, s8
	s_lshl_b32 s10, s7, s10
	s_and_b32 s9, s9, 31
	s_and_b32 s10, s10, 3
	s_cmp_eq_u32 s9, 0
	s_cselect_b32 s8, s8, s9
	s_cselect_b32 s1, s10, s1
	s_lshl_b32 s8, s8, 23
	s_and_b32 s9, s11, 0x80000000
	s_add_i32 s8, s8, 0x37800000
	s_lshl_b32 s1, s1, 21
	s_or_b32 s8, s9, s8
	s_delay_alu instid0(SALU_CYCLE_1) | instskip(NEXT) | instid1(SALU_CYCLE_1)
	s_or_b32 s1, s8, s1
	s_and_b32 s8, s1, 0x7fffffff
	s_delay_alu instid0(SALU_CYCLE_1)
	s_cmp_lt_u32 s8, 0x47800000
	s_cbranch_scc1 .LBB126_732
.LBB126_736:
	s_mov_b32 s9, -1
                                        ; implicit-def: $vgpr0
	s_branch .LBB126_741
.LBB126_737:
	s_mov_b32 s9, -1
                                        ; implicit-def: $sgpr10
.LBB126_738:
	v_mov_b32_e32 v0, s10
	s_and_not1_b32 vcc_lo, exec_lo, s9
	s_cbranch_vccnz .LBB126_740
; %bb.739:
	v_add_f32_e64 v0, 0x43000000, |s1|
.LBB126_740:
	s_mov_b32 s9, 0
.LBB126_741:
	s_delay_alu instid0(SALU_CYCLE_1)
	s_and_not1_b32 vcc_lo, exec_lo, s9
	s_cbranch_vccnz .LBB126_743
; %bb.742:
	s_cmp_gt_u32 s8, 0x7f800000
	s_movk_i32 s8, 0x7f
	s_delay_alu instid0(SALU_CYCLE_1) | instskip(NEXT) | instid1(SALU_CYCLE_1)
	s_cselect_b32 s8, s8, 0x7c
	v_mov_b32_e32 v0, s8
.LBB126_743:
	s_lshr_b32 s1, s1, 24
	s_delay_alu instid0(SALU_CYCLE_1)
	s_and_b32 s1, s1, 0x80
	s_delay_alu instid0(VALU_DEP_1) | instid1(SALU_CYCLE_1)
	v_or_b32_e32 v0, s1, v0
	global_store_b8 v[4:5], v0, off
.LBB126_744:
	s_mov_b32 s8, 0
	s_mov_b32 s1, -1
.LBB126_745:
	s_and_not1_b32 vcc_lo, exec_lo, s8
	s_mov_b32 s9, 0
	s_cbranch_vccnz .LBB126_762
; %bb.746:
	v_cmp_lt_i16_e32 vcc_lo, 14, v12
	s_mov_b32 s8, -1
	s_cbranch_vccz .LBB126_760
; %bb.747:
	v_cmp_eq_u16_e32 vcc_lo, 15, v12
	s_mov_b32 s0, -1
	s_cbranch_vccz .LBB126_759
; %bb.748:
	v_and_b32_e64 v0, 0xff, s7
	s_delay_alu instid0(VALU_DEP_1)
	v_cmp_gt_i16_e32 vcc_lo, 0x80, v0
	s_cbranch_vccnz .LBB126_751
; %bb.749:
	v_cmp_eq_u16_e32 vcc_lo, 0x80, v0
	s_cbranch_vccz .LBB126_752
; %bb.750:
	s_mov_b32 s1, 0
	s_mov_b32 s0, 0x7f800001
	s_branch .LBB126_753
.LBB126_751:
	s_mov_b32 s1, 0
                                        ; implicit-def: $sgpr0
	s_branch .LBB126_754
.LBB126_752:
	s_mov_b32 s1, -1
                                        ; implicit-def: $sgpr0
.LBB126_753:
	s_mov_b32 s8, 0
.LBB126_754:
	s_delay_alu instid0(SALU_CYCLE_1)
	s_and_b32 vcc_lo, exec_lo, s8
	s_cbranch_vccz .LBB126_756
; %bb.755:
	v_cmp_ne_u16_e64 s1, 0, v0
	s_mov_b32 s0, 0
.LBB126_756:
	s_delay_alu instid0(VALU_DEP_1)
	s_and_not1_b32 vcc_lo, exec_lo, s1
	s_cbranch_vccnz .LBB126_758
; %bb.757:
	v_lshrrev_b16 v0, 2, s7
	s_and_b32 s0, s7, 3
	s_lshl_b32 s10, s7, 24
	s_clz_i32_u32 s1, s0
	s_delay_alu instid0(SALU_CYCLE_1) | instskip(SKIP_4) | instid1(VALU_DEP_1)
	s_min_u32 s1, s1, 32
	v_readfirstlane_b32 s8, v0
	s_sub_i32 s9, s1, 29
	s_sub_i32 s1, 30, s1
	s_lshl_b32 s9, s7, s9
	s_and_b32 s8, s8, 31
	s_and_b32 s9, s9, 3
	s_cmp_eq_u32 s8, 0
	s_cselect_b32 s1, s1, s8
	s_cselect_b32 s0, s9, s0
	s_lshl_b32 s1, s1, 23
	s_and_b32 s8, s10, 0x80000000
	s_add_i32 s1, s1, 0x37800000
	s_lshl_b32 s0, s0, 21
	s_or_b32 s1, s8, s1
	s_delay_alu instid0(SALU_CYCLE_1)
	s_or_b32 s0, s1, s0
.LBB126_758:
	s_delay_alu instid0(SALU_CYCLE_1) | instskip(NEXT) | instid1(SALU_CYCLE_1)
	s_bfe_u32 s1, s0, 0x10010
	s_add_i32 s1, s0, s1
	v_cmp_o_f32_e64 s0, s0, s0
	s_addk_i32 s1, 0x7fff
	s_delay_alu instid0(SALU_CYCLE_1) | instskip(NEXT) | instid1(VALU_DEP_1)
	s_lshr_b32 s1, s1, 16
	s_and_b32 s0, s0, exec_lo
	s_cselect_b32 s0, s1, 0x7fc0
	s_mov_b32 s1, -1
	v_mov_b32_e32 v0, s0
	s_mov_b32 s0, 0
	global_store_b16 v[4:5], v0, off
.LBB126_759:
	s_mov_b32 s8, 0
.LBB126_760:
	s_delay_alu instid0(SALU_CYCLE_1)
	s_and_b32 vcc_lo, exec_lo, s8
	s_mov_b32 s9, 0
	s_cbranch_vccz .LBB126_762
; %bb.761:
	v_cmp_ne_u16_e64 s0, 11, v12
	s_mov_b32 s9, -1
.LBB126_762:
	s_delay_alu instid0(VALU_DEP_1)
	s_and_b32 vcc_lo, exec_lo, s0
	s_mov_b32 s8, s2
	s_cbranch_vccnz .LBB126_774
; %bb.763:
	s_and_not1_b32 vcc_lo, exec_lo, s9
	s_cbranch_vccnz .LBB126_776
.LBB126_764:
	v_and_b32_e64 v0, 0xff, s7
	s_delay_alu instid0(VALU_DEP_1)
	v_cmp_gt_i16_e32 vcc_lo, 0x80, v0
	s_cbranch_vccnz .LBB126_767
; %bb.765:
	v_cmp_eq_u16_e32 vcc_lo, 0x80, v0
	s_cbranch_vccz .LBB126_768
; %bb.766:
	s_mov_b32 s1, 0
	s_mov_b32 s0, -1
	s_branch .LBB126_769
.LBB126_767:
	s_mov_b32 s1, 0
                                        ; implicit-def: $sgpr0
	s_cbranch_execnz .LBB126_770
	s_branch .LBB126_771
.LBB126_768:
	s_mov_b32 s1, -1
                                        ; implicit-def: $sgpr0
.LBB126_769:
	s_branch .LBB126_771
.LBB126_770:
	v_cmp_ne_u16_e64 s1, 0, v0
	s_mov_b32 s0, 0
.LBB126_771:
	s_delay_alu instid0(VALU_DEP_1)
	s_and_not1_b32 vcc_lo, exec_lo, s1
	s_cbranch_vccnz .LBB126_773
; %bb.772:
	v_lshrrev_b16 v0, 2, s7
	s_and_b32 s0, s7, 3
	s_delay_alu instid0(SALU_CYCLE_1) | instskip(NEXT) | instid1(SALU_CYCLE_1)
	s_clz_i32_u32 s1, s0
	s_min_u32 s1, s1, 32
	s_delay_alu instid0(VALU_DEP_1) | instskip(SKIP_3) | instid1(VALU_DEP_1)
	v_readfirstlane_b32 s9, v0
	s_sub_i32 s10, s1, 29
	s_sub_i32 s1, 30, s1
	s_lshl_b32 s10, s7, s10
	s_and_b32 s9, s9, 31
	s_and_b32 s10, s10, 3
	s_cmp_eq_u32 s9, 0
	s_cselect_b32 s1, s1, s9
	s_cselect_b32 s0, s10, s0
	s_lshl_b32 s1, s1, 23
	s_lshl_b32 s0, s0, 21
	s_add_i32 s1, s1, 0x37800000
	s_delay_alu instid0(SALU_CYCLE_1) | instskip(NEXT) | instid1(SALU_CYCLE_1)
	s_and_b32 s1, s1, 0x7f800000
	s_or_b32 s0, s1, s0
	s_delay_alu instid0(SALU_CYCLE_1)
	s_cmp_lg_u32 s0, 0
	s_cselect_b32 s0, -1, 0
.LBB126_773:
	s_delay_alu instid0(SALU_CYCLE_1)
	v_cndmask_b32_e64 v0, 0, 1, s0
	s_mov_b32 s1, -1
	global_store_b8 v[4:5], v0, off
	s_branch .LBB126_777
.LBB126_774:
	s_cbranch_execnz .LBB126_795
; %bb.775:
	s_or_b32 s8, s2, exec_lo
	s_cbranch_execz .LBB126_764
.LBB126_776:
.LBB126_777:
	s_and_not1_b32 vcc_lo, exec_lo, s1
	s_cbranch_vccnz .LBB126_1716
.LBB126_778:
	s_lshl_b32 s6, s6, 7
	v_cmp_gt_i16_e32 vcc_lo, 11, v12
	v_add_nc_u32_e32 v6, s6, v6
	s_delay_alu instid0(VALU_DEP_1) | instskip(SKIP_1) | instid1(VALU_DEP_1)
	v_ashrrev_i32_e32 v0, 31, v6
	v_add_co_u32 v4, s0, s4, v6
	v_add_co_ci_u32_e64 v5, s0, s5, v0, s0
	s_cbranch_vccnz .LBB126_787
; %bb.779:
	v_cmp_lt_i16_e32 vcc_lo, 25, v12
	s_mov_b32 s10, -1
	s_mov_b32 s9, 0
	s_mov_b32 s1, 0
	;; [unrolled: 1-line block ×3, first 2 shown]
	s_cbranch_vccz .LBB126_1002
; %bb.780:
	v_cmp_lt_i16_e32 vcc_lo, 28, v12
	s_cbranch_vccz .LBB126_959
; %bb.781:
	v_cmp_lt_i16_e32 vcc_lo, 43, v12
	;; [unrolled: 3-line block ×3, first 2 shown]
	s_cbranch_vccz .LBB126_932
; %bb.783:
	v_cmp_eq_u16_e32 vcc_lo, 46, v12
	s_mov_b32 s0, -1
	s_mov_b32 s10, 0
	s_cbranch_vccz .LBB126_932
; %bb.784:
	v_and_b32_e64 v0, 0xff, s7
	s_delay_alu instid0(VALU_DEP_1)
	v_cmp_gt_i16_e32 vcc_lo, 0x80, v0
	s_cbranch_vccnz .LBB126_798
; %bb.785:
	v_cmp_eq_u16_e32 vcc_lo, 0x80, v0
	s_cbranch_vccz .LBB126_925
; %bb.786:
	s_mov_b32 s0, 0x7f800001
	s_branch .LBB126_926
.LBB126_787:
	s_mov_b32 s1, 0
	s_cbranch_execz .LBB126_1086
; %bb.788:
	v_cmp_gt_i16_e32 vcc_lo, 5, v12
	s_mov_b32 s0, -1
	s_cbranch_vccnz .LBB126_872
; %bb.789:
	v_cmp_gt_i16_e32 vcc_lo, 8, v12
	s_cbranch_vccnz .LBB126_832
; %bb.790:
	v_cmp_gt_i16_e32 vcc_lo, 9, v12
	s_cbranch_vccnz .LBB126_819
; %bb.791:
	v_cmp_lt_i16_e32 vcc_lo, 9, v12
	s_cbranch_vccz .LBB126_806
; %bb.792:
	v_and_b32_e64 v0, 0xff, s7
	s_delay_alu instid0(VALU_DEP_1)
	v_cmp_gt_i16_e32 vcc_lo, 0x80, v0
	s_cbranch_vccnz .LBB126_797
; %bb.793:
	v_cmp_eq_u16_e32 vcc_lo, 0x80, v0
	s_cbranch_vccz .LBB126_799
; %bb.794:
	s_mov_b32 s9, 0
	s_mov_b32 s1, 0x7ff80000
	s_brev_b32 s0, 4
	s_branch .LBB126_800
.LBB126_795:
	s_trap 2
	s_sendmsg_rtn_b32 s0, sendmsg(MSG_RTN_GET_DOORBELL)
	s_mov_b32 ttmp2, m0
	s_waitcnt lgkmcnt(0)
	s_and_b32 s0, s0, 0x3ff
	s_delay_alu instid0(SALU_CYCLE_1) | instskip(NEXT) | instid1(SALU_CYCLE_1)
	s_bitset1_b32 s0, 10
	s_mov_b32 m0, s0
	s_sendmsg sendmsg(MSG_INTERRUPT)
	s_mov_b32 m0, ttmp2
.LBB126_796:                            ; =>This Inner Loop Header: Depth=1
	s_sethalt 5
	s_branch .LBB126_796
.LBB126_797:
	s_mov_b32 s10, -1
	s_mov_b32 s9, 0
                                        ; implicit-def: $sgpr0_sgpr1
	s_branch .LBB126_801
.LBB126_798:
	s_mov_b32 s11, -1
                                        ; implicit-def: $sgpr0
	s_branch .LBB126_927
.LBB126_799:
	s_mov_b32 s9, -1
                                        ; implicit-def: $sgpr0_sgpr1
.LBB126_800:
	s_mov_b32 s10, 0
.LBB126_801:
	s_delay_alu instid0(SALU_CYCLE_1)
	s_and_b32 vcc_lo, exec_lo, s10
	s_cbranch_vccz .LBB126_803
; %bb.802:
	v_cmp_ne_u16_e64 s9, 0, v0
	s_mov_b64 s[0:1], 0
.LBB126_803:
	s_delay_alu instid0(SALU_CYCLE_1) | instskip(NEXT) | instid1(VALU_DEP_2)
	v_dual_mov_b32 v0, s0 :: v_dual_mov_b32 v1, s1
	s_and_not1_b32 vcc_lo, exec_lo, s9
	s_cbranch_vccnz .LBB126_805
; %bb.804:
	v_lshrrev_b16 v0, 2, s7
	s_and_b32 s0, s7, 3
	s_lshl_b32 s11, s7, 24
	s_clz_i32_u32 s1, s0
	s_delay_alu instid0(SALU_CYCLE_1) | instskip(SKIP_4) | instid1(VALU_DEP_1)
	s_min_u32 s1, s1, 32
	v_readfirstlane_b32 s9, v0
	s_sub_i32 s10, s1, 29
	s_sub_i32 s1, 30, s1
	s_lshl_b32 s10, s7, s10
	s_and_b32 s9, s9, 31
	s_and_b32 s10, s10, 3
	s_cmp_eq_u32 s9, 0
	s_cselect_b32 s1, s1, s9
	s_cselect_b32 s0, s10, s0
	s_lshl_b32 s1, s1, 23
	s_and_b32 s9, s11, 0x80000000
	s_add_i32 s1, s1, 0x37800000
	s_lshl_b32 s0, s0, 21
	s_or_b32 s1, s9, s1
	s_delay_alu instid0(SALU_CYCLE_1) | instskip(NEXT) | instid1(SALU_CYCLE_1)
	s_or_b32 s0, s1, s0
	v_cvt_f64_f32_e32 v[0:1], s0
.LBB126_805:
	v_mov_b32_e32 v2, 0
	s_mov_b32 s0, 0
	s_delay_alu instid0(VALU_DEP_1)
	v_mov_b32_e32 v3, v2
	global_store_b128 v[4:5], v[0:3], off
.LBB126_806:
	s_and_b32 vcc_lo, exec_lo, s0
	s_cbranch_vccz .LBB126_818
; %bb.807:
	v_and_b32_e64 v1, 0xff, s7
	s_delay_alu instid0(VALU_DEP_1)
	v_cmp_gt_i16_e32 vcc_lo, 0x80, v1
	s_cbranch_vccnz .LBB126_810
; %bb.808:
	v_cmp_eq_u16_e32 vcc_lo, 0x80, v1
	s_cbranch_vccz .LBB126_811
; %bb.809:
	s_mov_b32 s0, 0
	s_mov_b32 s1, 0x7f800001
	s_branch .LBB126_812
.LBB126_810:
	s_mov_b32 s9, -1
	s_mov_b32 s0, 0
                                        ; implicit-def: $sgpr1
	s_branch .LBB126_813
.LBB126_811:
	s_mov_b32 s0, -1
                                        ; implicit-def: $sgpr1
.LBB126_812:
	s_mov_b32 s9, 0
.LBB126_813:
	v_mov_b32_e32 v0, s1
	s_and_b32 vcc_lo, exec_lo, s9
	s_cbranch_vccz .LBB126_815
; %bb.814:
	v_and_b32_e32 v0, 0xffff, v1
	v_cmp_ne_u16_e64 s0, 0, v1
.LBB126_815:
	s_delay_alu instid0(VALU_DEP_1)
	s_and_not1_b32 vcc_lo, exec_lo, s0
	s_cbranch_vccnz .LBB126_817
; %bb.816:
	v_lshrrev_b16 v0, 2, s7
	s_and_b32 s0, s7, 3
	s_lshl_b32 s11, s7, 24
	s_clz_i32_u32 s1, s0
	s_delay_alu instid0(SALU_CYCLE_1) | instskip(SKIP_4) | instid1(VALU_DEP_1)
	s_min_u32 s1, s1, 32
	v_readfirstlane_b32 s9, v0
	s_sub_i32 s10, s1, 29
	s_sub_i32 s1, 30, s1
	s_lshl_b32 s10, s7, s10
	s_and_b32 s9, s9, 31
	s_and_b32 s10, s10, 3
	s_cmp_eq_u32 s9, 0
	s_cselect_b32 s1, s1, s9
	s_cselect_b32 s0, s10, s0
	s_lshl_b32 s1, s1, 23
	s_and_b32 s9, s11, 0x80000000
	s_add_i32 s1, s1, 0x37800000
	s_lshl_b32 s0, s0, 21
	s_or_b32 s1, s9, s1
	s_delay_alu instid0(SALU_CYCLE_1) | instskip(NEXT) | instid1(SALU_CYCLE_1)
	s_or_b32 s0, s1, s0
	v_mov_b32_e32 v0, s0
.LBB126_817:
	v_mov_b32_e32 v1, 0
	global_store_b64 v[4:5], v[0:1], off
.LBB126_818:
	s_mov_b32 s0, 0
.LBB126_819:
	s_delay_alu instid0(SALU_CYCLE_1)
	s_and_not1_b32 vcc_lo, exec_lo, s0
	s_cbranch_vccnz .LBB126_831
; %bb.820:
	v_and_b32_e64 v0, 0xff, s7
	s_delay_alu instid0(VALU_DEP_1)
	v_cmp_gt_i16_e32 vcc_lo, 0x80, v0
	s_cbranch_vccnz .LBB126_823
; %bb.821:
	v_cmp_eq_u16_e32 vcc_lo, 0x80, v0
	s_cbranch_vccz .LBB126_824
; %bb.822:
	s_mov_b32 s0, 0
	s_movk_i32 s1, 0x7e00
	s_branch .LBB126_825
.LBB126_823:
	s_mov_b32 s9, -1
	s_mov_b32 s0, 0
                                        ; implicit-def: $sgpr1
	s_branch .LBB126_826
.LBB126_824:
	s_mov_b32 s0, -1
                                        ; implicit-def: $sgpr1
.LBB126_825:
	s_mov_b32 s9, 0
.LBB126_826:
	v_mov_b32_e32 v1, s1
	s_and_b32 vcc_lo, exec_lo, s9
	s_cbranch_vccz .LBB126_828
; %bb.827:
	v_and_b32_e32 v1, 0xffff, v0
	v_cmp_ne_u16_e64 s0, 0, v0
.LBB126_828:
	s_delay_alu instid0(VALU_DEP_1)
	s_and_not1_b32 vcc_lo, exec_lo, s0
	s_cbranch_vccnz .LBB126_830
; %bb.829:
	v_lshrrev_b16 v0, 2, s7
	s_and_b32 s0, s7, 3
	s_lshl_b32 s11, s7, 24
	s_clz_i32_u32 s1, s0
	s_delay_alu instid0(SALU_CYCLE_1) | instskip(SKIP_4) | instid1(VALU_DEP_1)
	s_min_u32 s1, s1, 32
	v_readfirstlane_b32 s9, v0
	s_sub_i32 s10, s1, 29
	s_sub_i32 s1, 30, s1
	s_lshl_b32 s10, s7, s10
	s_and_b32 s9, s9, 31
	s_and_b32 s10, s10, 3
	s_cmp_eq_u32 s9, 0
	s_cselect_b32 s1, s1, s9
	s_cselect_b32 s0, s10, s0
	s_lshl_b32 s1, s1, 23
	s_and_b32 s9, s11, 0x80000000
	s_add_i32 s1, s1, 0x37800000
	s_lshl_b32 s0, s0, 21
	s_or_b32 s1, s9, s1
	s_delay_alu instid0(SALU_CYCLE_1) | instskip(NEXT) | instid1(SALU_CYCLE_1)
	s_or_b32 s0, s1, s0
	v_cvt_f16_f32_e32 v0, s0
	s_delay_alu instid0(VALU_DEP_1)
	v_and_b32_e32 v1, 0xffff, v0
.LBB126_830:
	global_store_b32 v[4:5], v1, off
.LBB126_831:
	s_mov_b32 s0, 0
.LBB126_832:
	s_delay_alu instid0(SALU_CYCLE_1)
	s_and_not1_b32 vcc_lo, exec_lo, s0
	s_cbranch_vccnz .LBB126_871
; %bb.833:
	v_cmp_gt_i16_e32 vcc_lo, 6, v12
	s_mov_b32 s0, -1
	s_cbranch_vccnz .LBB126_859
; %bb.834:
	v_cmp_lt_i16_e32 vcc_lo, 6, v12
	s_cbranch_vccz .LBB126_846
; %bb.835:
	v_and_b32_e64 v0, 0xff, s7
	s_delay_alu instid0(VALU_DEP_1)
	v_cmp_gt_i16_e32 vcc_lo, 0x80, v0
	s_cbranch_vccnz .LBB126_838
; %bb.836:
	v_cmp_eq_u16_e32 vcc_lo, 0x80, v0
	s_cbranch_vccz .LBB126_839
; %bb.837:
	s_mov_b32 s9, 0
	s_mov_b32 s1, 0x7ff80000
	s_brev_b32 s0, 4
	s_branch .LBB126_840
.LBB126_838:
	s_mov_b32 s10, -1
	s_mov_b32 s9, 0
                                        ; implicit-def: $sgpr0_sgpr1
	s_branch .LBB126_841
.LBB126_839:
	s_mov_b32 s9, -1
                                        ; implicit-def: $sgpr0_sgpr1
.LBB126_840:
	s_mov_b32 s10, 0
.LBB126_841:
	s_delay_alu instid0(SALU_CYCLE_1)
	s_and_b32 vcc_lo, exec_lo, s10
	s_cbranch_vccz .LBB126_843
; %bb.842:
	v_cmp_ne_u16_e64 s9, 0, v0
	s_mov_b64 s[0:1], 0
.LBB126_843:
	s_delay_alu instid0(SALU_CYCLE_1) | instskip(NEXT) | instid1(VALU_DEP_2)
	v_dual_mov_b32 v0, s0 :: v_dual_mov_b32 v1, s1
	s_and_not1_b32 vcc_lo, exec_lo, s9
	s_cbranch_vccnz .LBB126_845
; %bb.844:
	v_lshrrev_b16 v0, 2, s7
	s_and_b32 s0, s7, 3
	s_lshl_b32 s11, s7, 24
	s_clz_i32_u32 s1, s0
	s_delay_alu instid0(SALU_CYCLE_1) | instskip(SKIP_4) | instid1(VALU_DEP_1)
	s_min_u32 s1, s1, 32
	v_readfirstlane_b32 s9, v0
	s_sub_i32 s10, s1, 29
	s_sub_i32 s1, 30, s1
	s_lshl_b32 s10, s7, s10
	s_and_b32 s9, s9, 31
	s_and_b32 s10, s10, 3
	s_cmp_eq_u32 s9, 0
	s_cselect_b32 s1, s1, s9
	s_cselect_b32 s0, s10, s0
	s_lshl_b32 s1, s1, 23
	s_and_b32 s9, s11, 0x80000000
	s_add_i32 s1, s1, 0x37800000
	s_lshl_b32 s0, s0, 21
	s_or_b32 s1, s9, s1
	s_delay_alu instid0(SALU_CYCLE_1) | instskip(NEXT) | instid1(SALU_CYCLE_1)
	s_or_b32 s0, s1, s0
	v_cvt_f64_f32_e32 v[0:1], s0
.LBB126_845:
	s_mov_b32 s0, 0
	global_store_b64 v[4:5], v[0:1], off
.LBB126_846:
	s_and_b32 vcc_lo, exec_lo, s0
	s_cbranch_vccz .LBB126_858
; %bb.847:
	v_and_b32_e64 v0, 0xff, s7
	s_delay_alu instid0(VALU_DEP_1)
	v_cmp_gt_i16_e32 vcc_lo, 0x80, v0
	s_cbranch_vccnz .LBB126_850
; %bb.848:
	v_cmp_eq_u16_e32 vcc_lo, 0x80, v0
	s_cbranch_vccz .LBB126_851
; %bb.849:
	s_mov_b32 s0, 0
	s_mov_b32 s1, 0x7f800001
	s_branch .LBB126_852
.LBB126_850:
	s_mov_b32 s9, -1
	s_mov_b32 s0, 0
                                        ; implicit-def: $sgpr1
	s_branch .LBB126_853
.LBB126_851:
	s_mov_b32 s0, -1
                                        ; implicit-def: $sgpr1
.LBB126_852:
	s_mov_b32 s9, 0
.LBB126_853:
	v_mov_b32_e32 v1, s1
	s_and_b32 vcc_lo, exec_lo, s9
	s_cbranch_vccz .LBB126_855
; %bb.854:
	v_and_b32_e32 v1, 0xffff, v0
	v_cmp_ne_u16_e64 s0, 0, v0
.LBB126_855:
	s_delay_alu instid0(VALU_DEP_1)
	s_and_not1_b32 vcc_lo, exec_lo, s0
	s_cbranch_vccnz .LBB126_857
; %bb.856:
	v_lshrrev_b16 v0, 2, s7
	s_and_b32 s0, s7, 3
	s_lshl_b32 s11, s7, 24
	s_clz_i32_u32 s1, s0
	s_delay_alu instid0(SALU_CYCLE_1) | instskip(SKIP_4) | instid1(VALU_DEP_1)
	s_min_u32 s1, s1, 32
	v_readfirstlane_b32 s9, v0
	s_sub_i32 s10, s1, 29
	s_sub_i32 s1, 30, s1
	s_lshl_b32 s10, s7, s10
	s_and_b32 s9, s9, 31
	s_and_b32 s10, s10, 3
	s_cmp_eq_u32 s9, 0
	s_cselect_b32 s1, s1, s9
	s_cselect_b32 s0, s10, s0
	s_lshl_b32 s1, s1, 23
	s_and_b32 s9, s11, 0x80000000
	s_add_i32 s1, s1, 0x37800000
	s_lshl_b32 s0, s0, 21
	s_or_b32 s1, s9, s1
	s_delay_alu instid0(SALU_CYCLE_1) | instskip(NEXT) | instid1(SALU_CYCLE_1)
	s_or_b32 s0, s1, s0
	v_mov_b32_e32 v1, s0
.LBB126_857:
	global_store_b32 v[4:5], v1, off
.LBB126_858:
	s_mov_b32 s0, 0
.LBB126_859:
	s_delay_alu instid0(SALU_CYCLE_1)
	s_and_not1_b32 vcc_lo, exec_lo, s0
	s_cbranch_vccnz .LBB126_871
; %bb.860:
	v_and_b32_e64 v0, 0xff, s7
	s_delay_alu instid0(VALU_DEP_1)
	v_cmp_gt_i16_e32 vcc_lo, 0x80, v0
	s_cbranch_vccnz .LBB126_863
; %bb.861:
	v_cmp_eq_u16_e32 vcc_lo, 0x80, v0
	s_cbranch_vccz .LBB126_864
; %bb.862:
	s_mov_b32 s0, 0
	s_movk_i32 s1, 0x7e00
	s_branch .LBB126_865
.LBB126_863:
	s_mov_b32 s9, -1
	s_mov_b32 s0, 0
                                        ; implicit-def: $sgpr1
	s_branch .LBB126_866
.LBB126_864:
	s_mov_b32 s0, -1
                                        ; implicit-def: $sgpr1
.LBB126_865:
	s_mov_b32 s9, 0
.LBB126_866:
	v_mov_b32_e32 v1, s1
	s_and_b32 vcc_lo, exec_lo, s9
	s_cbranch_vccz .LBB126_868
; %bb.867:
	v_cmp_ne_u16_e64 s0, 0, v0
	v_mov_b32_e32 v1, v0
.LBB126_868:
	s_delay_alu instid0(VALU_DEP_2)
	s_and_not1_b32 vcc_lo, exec_lo, s0
	s_cbranch_vccnz .LBB126_870
; %bb.869:
	v_lshrrev_b16 v0, 2, s7
	s_and_b32 s0, s7, 3
	s_lshl_b32 s11, s7, 24
	s_clz_i32_u32 s1, s0
	s_delay_alu instid0(SALU_CYCLE_1) | instskip(SKIP_4) | instid1(VALU_DEP_1)
	s_min_u32 s1, s1, 32
	v_readfirstlane_b32 s9, v0
	s_sub_i32 s10, s1, 29
	s_sub_i32 s1, 30, s1
	s_lshl_b32 s10, s7, s10
	s_and_b32 s9, s9, 31
	s_and_b32 s10, s10, 3
	s_cmp_eq_u32 s9, 0
	s_cselect_b32 s1, s1, s9
	s_cselect_b32 s0, s10, s0
	s_lshl_b32 s1, s1, 23
	s_and_b32 s9, s11, 0x80000000
	s_add_i32 s1, s1, 0x37800000
	s_lshl_b32 s0, s0, 21
	s_or_b32 s1, s9, s1
	s_delay_alu instid0(SALU_CYCLE_1) | instskip(NEXT) | instid1(SALU_CYCLE_1)
	s_or_b32 s0, s1, s0
	v_cvt_f16_f32_e32 v1, s0
.LBB126_870:
	global_store_b16 v[4:5], v1, off
.LBB126_871:
	s_mov_b32 s0, 0
.LBB126_872:
	s_delay_alu instid0(SALU_CYCLE_1)
	s_and_not1_b32 vcc_lo, exec_lo, s0
	s_cbranch_vccnz .LBB126_923
; %bb.873:
	v_cmp_gt_i16_e32 vcc_lo, 2, v12
	s_mov_b32 s0, -1
	s_cbranch_vccnz .LBB126_904
; %bb.874:
	v_cmp_gt_i16_e32 vcc_lo, 3, v12
	s_cbranch_vccnz .LBB126_894
; %bb.875:
	v_cmp_lt_i16_e32 vcc_lo, 3, v12
	s_cbranch_vccz .LBB126_884
; %bb.876:
	v_and_b32_e64 v0, 0xff, s7
	s_delay_alu instid0(VALU_DEP_1)
	v_cmp_gt_i16_e32 vcc_lo, 0x80, v0
	s_cbranch_vccnz .LBB126_878
; %bb.877:
	v_cmp_ne_u16_e64 s9, 0x80, v0
	s_mov_b32 s10, 0
	s_mov_b64 s[0:1], 0
	s_branch .LBB126_879
.LBB126_878:
	s_mov_b32 s10, -1
	s_mov_b32 s9, 0
                                        ; implicit-def: $sgpr0_sgpr1
.LBB126_879:
	s_and_not1_b32 vcc_lo, exec_lo, s10
	s_cbranch_vccnz .LBB126_881
; %bb.880:
	v_cmp_ne_u16_e64 s9, 0, v0
	s_mov_b64 s[0:1], 0
.LBB126_881:
	s_delay_alu instid0(SALU_CYCLE_1) | instskip(NEXT) | instid1(VALU_DEP_2)
	v_dual_mov_b32 v0, s0 :: v_dual_mov_b32 v1, s1
	s_and_not1_b32 vcc_lo, exec_lo, s9
	s_cbranch_vccnz .LBB126_883
; %bb.882:
	v_lshrrev_b16 v0, 2, s7
	s_and_b32 s0, s7, 3
	s_lshl_b32 s10, s7, 24
	s_clz_i32_u32 s1, s0
	s_delay_alu instid0(SALU_CYCLE_1) | instskip(SKIP_4) | instid1(VALU_DEP_1)
	s_min_u32 s1, s1, 32
	v_readfirstlane_b32 s9, v0
	s_sub_i32 s11, s1, 29
	s_sub_i32 s1, 30, s1
	s_lshl_b32 s11, s7, s11
	s_and_b32 s9, s9, 31
	s_and_b32 s11, s11, 3
	s_cmp_eq_u32 s9, 0
	s_cselect_b32 s1, s1, s9
	s_cselect_b32 s0, s11, s0
	s_lshl_b32 s1, s1, 23
	s_and_b32 s9, s10, 0x80000000
	s_add_i32 s1, s1, 0x37800000
	s_lshl_b32 s0, s0, 21
	s_or_b32 s1, s9, s1
	s_delay_alu instid0(SALU_CYCLE_1) | instskip(NEXT) | instid1(SALU_CYCLE_1)
	s_or_b32 s0, s1, s0
	v_trunc_f32_e32 v0, s0
	s_delay_alu instid0(VALU_DEP_1) | instskip(SKIP_1) | instid1(VALU_DEP_2)
	v_mul_f32_e64 v1, 0x2f800000, |v0|
	v_ashrrev_i32_e32 v3, 31, v0
	v_floor_f32_e32 v1, v1
	s_delay_alu instid0(VALU_DEP_1) | instskip(SKIP_1) | instid1(VALU_DEP_2)
	v_fma_f32 v2, 0xcf800000, v1, |v0|
	v_cvt_u32_f32_e32 v1, v1
	v_cvt_u32_f32_e32 v0, v2
	s_delay_alu instid0(VALU_DEP_2) | instskip(NEXT) | instid1(VALU_DEP_2)
	v_xor_b32_e32 v1, v1, v3
	v_xor_b32_e32 v0, v0, v3
	s_delay_alu instid0(VALU_DEP_1) | instskip(NEXT) | instid1(VALU_DEP_3)
	v_sub_co_u32 v0, vcc_lo, v0, v3
	v_sub_co_ci_u32_e32 v1, vcc_lo, v1, v3, vcc_lo
.LBB126_883:
	s_mov_b32 s0, 0
	global_store_b64 v[4:5], v[0:1], off
.LBB126_884:
	s_and_b32 vcc_lo, exec_lo, s0
	s_cbranch_vccz .LBB126_893
; %bb.885:
	v_and_b32_e64 v0, 0xff, s7
	s_delay_alu instid0(VALU_DEP_1)
	v_cmp_gt_i16_e32 vcc_lo, 0x80, v0
	s_cbranch_vccnz .LBB126_887
; %bb.886:
	v_cmp_ne_u16_e64 s0, 0x80, v0
	s_mov_b32 s9, 0
	s_mov_b32 s1, 0
	s_branch .LBB126_888
.LBB126_887:
	s_mov_b32 s9, -1
	s_mov_b32 s0, 0
                                        ; implicit-def: $sgpr1
.LBB126_888:
	s_and_not1_b32 vcc_lo, exec_lo, s9
	s_cbranch_vccnz .LBB126_890
; %bb.889:
	v_cmp_ne_u16_e64 s0, 0, v0
	s_mov_b32 s1, 0
.LBB126_890:
	s_delay_alu instid0(SALU_CYCLE_1) | instskip(NEXT) | instid1(VALU_DEP_2)
	v_mov_b32_e32 v0, s1
	s_and_not1_b32 vcc_lo, exec_lo, s0
	s_cbranch_vccnz .LBB126_892
; %bb.891:
	v_lshrrev_b16 v0, 2, s7
	s_and_b32 s0, s7, 3
	s_lshl_b32 s11, s7, 24
	s_clz_i32_u32 s1, s0
	s_delay_alu instid0(SALU_CYCLE_1) | instskip(SKIP_4) | instid1(VALU_DEP_1)
	s_min_u32 s1, s1, 32
	v_readfirstlane_b32 s9, v0
	s_sub_i32 s10, s1, 29
	s_sub_i32 s1, 30, s1
	s_lshl_b32 s10, s7, s10
	s_and_b32 s9, s9, 31
	s_and_b32 s10, s10, 3
	s_cmp_eq_u32 s9, 0
	s_cselect_b32 s1, s1, s9
	s_cselect_b32 s0, s10, s0
	s_lshl_b32 s1, s1, 23
	s_and_b32 s9, s11, 0x80000000
	s_add_i32 s1, s1, 0x37800000
	s_lshl_b32 s0, s0, 21
	s_or_b32 s1, s9, s1
	s_delay_alu instid0(SALU_CYCLE_1) | instskip(NEXT) | instid1(SALU_CYCLE_1)
	s_or_b32 s0, s1, s0
	v_cvt_i32_f32_e32 v0, s0
.LBB126_892:
	global_store_b32 v[4:5], v0, off
.LBB126_893:
	s_mov_b32 s0, 0
.LBB126_894:
	s_delay_alu instid0(SALU_CYCLE_1)
	s_and_not1_b32 vcc_lo, exec_lo, s0
	s_cbranch_vccnz .LBB126_903
; %bb.895:
	v_and_b32_e64 v0, 0xff, s7
	s_delay_alu instid0(VALU_DEP_1)
	v_cmp_gt_i16_e32 vcc_lo, 0x80, v0
	s_cbranch_vccnz .LBB126_897
; %bb.896:
	v_cmp_ne_u16_e64 s0, 0x80, v0
	s_mov_b32 s9, 0
	s_mov_b32 s1, 0
	s_branch .LBB126_898
.LBB126_897:
	s_mov_b32 s9, -1
	s_mov_b32 s0, 0
                                        ; implicit-def: $sgpr1
.LBB126_898:
	s_and_not1_b32 vcc_lo, exec_lo, s9
	s_cbranch_vccnz .LBB126_900
; %bb.899:
	v_cmp_ne_u16_e64 s0, 0, v0
	s_mov_b32 s1, 0
.LBB126_900:
	s_delay_alu instid0(SALU_CYCLE_1) | instskip(NEXT) | instid1(VALU_DEP_2)
	v_mov_b32_e32 v0, s1
	s_and_not1_b32 vcc_lo, exec_lo, s0
	s_cbranch_vccnz .LBB126_902
; %bb.901:
	v_lshrrev_b16 v0, 2, s7
	s_and_b32 s0, s7, 3
	s_lshl_b32 s11, s7, 24
	s_clz_i32_u32 s1, s0
	s_delay_alu instid0(SALU_CYCLE_1) | instskip(SKIP_4) | instid1(VALU_DEP_1)
	s_min_u32 s1, s1, 32
	v_readfirstlane_b32 s9, v0
	s_sub_i32 s10, s1, 29
	s_sub_i32 s1, 30, s1
	s_lshl_b32 s10, s7, s10
	s_and_b32 s9, s9, 31
	s_and_b32 s10, s10, 3
	s_cmp_eq_u32 s9, 0
	s_cselect_b32 s1, s1, s9
	s_cselect_b32 s0, s10, s0
	s_lshl_b32 s1, s1, 23
	s_and_b32 s9, s11, 0x80000000
	s_add_i32 s1, s1, 0x37800000
	s_lshl_b32 s0, s0, 21
	s_or_b32 s1, s9, s1
	s_delay_alu instid0(SALU_CYCLE_1) | instskip(NEXT) | instid1(SALU_CYCLE_1)
	s_or_b32 s0, s1, s0
	v_cvt_i32_f32_e32 v0, s0
.LBB126_902:
	global_store_b16 v[4:5], v0, off
.LBB126_903:
	s_mov_b32 s0, 0
.LBB126_904:
	s_delay_alu instid0(SALU_CYCLE_1)
	s_and_not1_b32 vcc_lo, exec_lo, s0
	s_cbranch_vccnz .LBB126_923
; %bb.905:
	v_cmp_lt_i16_e32 vcc_lo, 0, v12
	s_mov_b32 s0, 0
	s_mov_b32 s1, -1
	s_cbranch_vccz .LBB126_914
; %bb.906:
	v_and_b32_e64 v0, 0xff, s7
	s_delay_alu instid0(VALU_DEP_1)
	v_cmp_gt_i16_e32 vcc_lo, 0x80, v0
	s_cbranch_vccnz .LBB126_908
; %bb.907:
	v_cmp_ne_u16_e64 s0, 0x80, v0
	s_mov_b32 s9, 0
	s_mov_b32 s1, 0
	s_branch .LBB126_909
.LBB126_908:
	s_mov_b32 s9, -1
                                        ; implicit-def: $sgpr1
.LBB126_909:
	s_delay_alu instid0(SALU_CYCLE_1)
	s_and_not1_b32 vcc_lo, exec_lo, s9
	s_cbranch_vccnz .LBB126_911
; %bb.910:
	v_cmp_ne_u16_e64 s0, 0, v0
	s_mov_b32 s1, 0
.LBB126_911:
	s_delay_alu instid0(SALU_CYCLE_1) | instskip(NEXT) | instid1(VALU_DEP_2)
	v_mov_b32_e32 v0, s1
	s_and_not1_b32 vcc_lo, exec_lo, s0
	s_cbranch_vccnz .LBB126_913
; %bb.912:
	v_lshrrev_b16 v0, 2, s7
	s_and_b32 s0, s7, 3
	s_lshl_b32 s11, s7, 24
	s_clz_i32_u32 s1, s0
	s_delay_alu instid0(SALU_CYCLE_1) | instskip(SKIP_4) | instid1(VALU_DEP_1)
	s_min_u32 s1, s1, 32
	v_readfirstlane_b32 s9, v0
	s_sub_i32 s10, s1, 29
	s_sub_i32 s1, 30, s1
	s_lshl_b32 s10, s7, s10
	s_and_b32 s9, s9, 31
	s_and_b32 s10, s10, 3
	s_cmp_eq_u32 s9, 0
	s_cselect_b32 s1, s1, s9
	s_cselect_b32 s0, s10, s0
	s_lshl_b32 s1, s1, 23
	s_and_b32 s9, s11, 0x80000000
	s_add_i32 s1, s1, 0x37800000
	s_lshl_b32 s0, s0, 21
	s_or_b32 s1, s9, s1
	s_delay_alu instid0(SALU_CYCLE_1) | instskip(NEXT) | instid1(SALU_CYCLE_1)
	s_or_b32 s0, s1, s0
	v_cvt_i32_f32_e32 v0, s0
.LBB126_913:
	s_mov_b32 s1, 0
	global_store_b8 v[4:5], v0, off
.LBB126_914:
	s_and_b32 vcc_lo, exec_lo, s1
	s_cbranch_vccz .LBB126_923
; %bb.915:
	v_and_b32_e64 v0, 0xff, s7
	s_delay_alu instid0(VALU_DEP_1)
	v_cmp_gt_i16_e32 vcc_lo, 0x80, v0
	s_cbranch_vccnz .LBB126_917
; %bb.916:
	v_cmp_ne_u16_e64 s0, 0x80, v0
	s_mov_b32 s9, 0
	s_mov_b32 s1, 0
	s_branch .LBB126_918
.LBB126_917:
	s_mov_b32 s9, -1
	s_mov_b32 s0, 0
                                        ; implicit-def: $sgpr1
.LBB126_918:
	s_and_not1_b32 vcc_lo, exec_lo, s9
	s_cbranch_vccnz .LBB126_920
; %bb.919:
	v_cmp_ne_u16_e64 s0, 0, v0
	s_mov_b32 s1, 0
.LBB126_920:
	s_delay_alu instid0(SALU_CYCLE_1) | instskip(NEXT) | instid1(VALU_DEP_2)
	v_mov_b32_e32 v0, s1
	s_and_not1_b32 vcc_lo, exec_lo, s0
	s_cbranch_vccnz .LBB126_922
; %bb.921:
	v_lshrrev_b16 v0, 2, s7
	s_and_b32 s0, s7, 3
	s_lshl_b32 s10, s7, 24
	s_clz_i32_u32 s1, s0
	s_delay_alu instid0(SALU_CYCLE_1) | instskip(SKIP_4) | instid1(VALU_DEP_1)
	s_min_u32 s1, s1, 32
	v_readfirstlane_b32 s9, v0
	s_sub_i32 s11, s1, 29
	s_sub_i32 s1, 30, s1
	s_lshl_b32 s11, s7, s11
	s_and_b32 s9, s9, 31
	s_and_b32 s11, s11, 3
	s_cmp_eq_u32 s9, 0
	s_cselect_b32 s1, s1, s9
	s_cselect_b32 s0, s11, s0
	s_lshl_b32 s1, s1, 23
	s_and_b32 s9, s10, 0x80000000
	s_add_i32 s1, s1, 0x37800000
	s_lshl_b32 s0, s0, 21
	s_or_b32 s1, s9, s1
	s_delay_alu instid0(SALU_CYCLE_1) | instskip(NEXT) | instid1(SALU_CYCLE_1)
	s_or_b32 s0, s1, s0
	v_trunc_f32_e32 v0, s0
	s_delay_alu instid0(VALU_DEP_1) | instskip(NEXT) | instid1(VALU_DEP_1)
	v_mul_f32_e64 v1, 0x2f800000, |v0|
	v_floor_f32_e32 v1, v1
	s_delay_alu instid0(VALU_DEP_1) | instskip(SKIP_1) | instid1(VALU_DEP_2)
	v_fma_f32 v1, 0xcf800000, v1, |v0|
	v_ashrrev_i32_e32 v0, 31, v0
	v_cvt_u32_f32_e32 v1, v1
	s_delay_alu instid0(VALU_DEP_1) | instskip(NEXT) | instid1(VALU_DEP_1)
	v_xor_b32_e32 v1, v1, v0
	v_sub_nc_u32_e32 v0, v1, v0
.LBB126_922:
	global_store_b8 v[4:5], v0, off
.LBB126_923:
	s_branch .LBB126_1087
.LBB126_924:
	s_mov_b32 s16, -1
	s_mov_b32 s14, 0
                                        ; implicit-def: $sgpr0
	s_branch .LBB126_1102
.LBB126_925:
	s_mov_b32 s1, -1
                                        ; implicit-def: $sgpr0
.LBB126_926:
	s_mov_b32 s11, 0
.LBB126_927:
	s_delay_alu instid0(SALU_CYCLE_1)
	s_and_b32 vcc_lo, exec_lo, s11
	s_cbranch_vccz .LBB126_929
; %bb.928:
	v_cmp_ne_u16_e64 s1, 0, v0
	s_mov_b32 s0, 0
.LBB126_929:
	s_delay_alu instid0(VALU_DEP_1)
	s_and_not1_b32 vcc_lo, exec_lo, s1
	s_cbranch_vccnz .LBB126_931
; %bb.930:
	v_lshrrev_b16 v0, 2, s7
	s_and_b32 s0, s7, 3
	s_lshl_b32 s13, s7, 24
	s_clz_i32_u32 s1, s0
	s_delay_alu instid0(SALU_CYCLE_1) | instskip(SKIP_4) | instid1(VALU_DEP_1)
	s_min_u32 s1, s1, 32
	v_readfirstlane_b32 s11, v0
	s_sub_i32 s12, s1, 29
	s_sub_i32 s1, 30, s1
	s_lshl_b32 s12, s7, s12
	s_and_b32 s11, s11, 31
	s_and_b32 s12, s12, 3
	s_cmp_eq_u32 s11, 0
	s_cselect_b32 s1, s1, s11
	s_cselect_b32 s0, s12, s0
	s_lshl_b32 s1, s1, 23
	s_and_b32 s11, s13, 0x80000000
	s_add_i32 s1, s1, 0x37800000
	s_lshl_b32 s0, s0, 21
	s_or_b32 s1, s11, s1
	s_delay_alu instid0(SALU_CYCLE_1)
	s_or_b32 s0, s1, s0
.LBB126_931:
	s_delay_alu instid0(SALU_CYCLE_1) | instskip(NEXT) | instid1(SALU_CYCLE_1)
	s_bfe_u32 s1, s0, 0x10010
	s_add_i32 s1, s0, s1
	v_cmp_o_f32_e64 s0, s0, s0
	s_addk_i32 s1, 0x7fff
	s_delay_alu instid0(SALU_CYCLE_1) | instskip(NEXT) | instid1(VALU_DEP_1)
	s_lshr_b32 s1, s1, 16
	s_and_b32 s0, s0, exec_lo
	s_cselect_b32 s0, s1, 0x7fc0
	s_mov_b32 s1, -1
	v_mov_b32_e32 v0, s0
	s_mov_b32 s0, 0
	global_store_b32 v[4:5], v0, off
.LBB126_932:
	s_and_b32 vcc_lo, exec_lo, s10
	s_cbranch_vccz .LBB126_945
; %bb.933:
	v_cmp_eq_u16_e32 vcc_lo, 44, v12
	s_mov_b32 s0, -1
	s_cbranch_vccz .LBB126_945
; %bb.934:
	v_and_b32_e64 v0, 0xff, s7
	s_delay_alu instid0(VALU_DEP_1)
	v_cmp_gt_i16_e32 vcc_lo, 0x80, v0
	v_readfirstlane_b32 s1, v0
	s_cbranch_vccnz .LBB126_937
; %bb.935:
	s_delay_alu instid0(VALU_DEP_1) | instskip(NEXT) | instid1(VALU_DEP_1)
	v_cmp_eq_u16_e64 s0, 0x80, s1
	s_and_b32 vcc_lo, exec_lo, s0
	s_cbranch_vccz .LBB126_938
; %bb.936:
	s_mov_b32 s10, 0
	s_mov_b32 s0, 0x7f800001
	s_branch .LBB126_939
.LBB126_937:
	s_mov_b32 s11, -1
	s_mov_b32 s10, 0
                                        ; implicit-def: $sgpr0
	s_branch .LBB126_940
.LBB126_938:
	s_mov_b32 s10, -1
                                        ; implicit-def: $sgpr0
.LBB126_939:
	s_mov_b32 s11, 0
.LBB126_940:
	s_delay_alu instid0(SALU_CYCLE_1)
	s_and_b32 vcc_lo, exec_lo, s11
	s_cbranch_vccz .LBB126_950
; %bb.941:
	v_cmp_ne_u16_e64 s10, s1, 0
	s_and_b32 s0, 0xffff, s1
	s_delay_alu instid0(VALU_DEP_1)
	s_and_not1_b32 vcc_lo, exec_lo, s10
	s_cbranch_vccz .LBB126_951
.LBB126_942:
	v_mov_b32_e32 v0, 0xff
	s_bfe_u32 s1, s0, 0x80017
	s_delay_alu instid0(SALU_CYCLE_1)
	s_cmpk_eq_i32 s1, 0xff
	s_cbranch_scc1 .LBB126_944
.LBB126_943:
	s_lshr_b32 s10, s0, 23
	s_bitcmp1_b32 s0, 22
	s_cselect_b32 s11, -1, 0
	s_and_b32 s0, s0, 0x3fffff
	s_delay_alu instid0(SALU_CYCLE_1) | instskip(NEXT) | instid1(SALU_CYCLE_1)
	s_or_b32 s0, s1, s0
	s_cmp_lg_u32 s0, 0
	s_cselect_b32 s0, -1, 0
	s_delay_alu instid0(SALU_CYCLE_1) | instskip(NEXT) | instid1(SALU_CYCLE_1)
	s_and_b32 s0, s11, s0
	v_cndmask_b32_e64 v0, 0, 1, s0
	s_delay_alu instid0(VALU_DEP_1)
	v_add_nc_u32_e32 v0, s10, v0
.LBB126_944:
	s_mov_b32 s0, 0
	s_mov_b32 s1, -1
	global_store_b8 v[4:5], v0, off
.LBB126_945:
	s_mov_b32 s10, 0
.LBB126_946:
	s_delay_alu instid0(SALU_CYCLE_1)
	s_and_b32 vcc_lo, exec_lo, s10
	s_cbranch_vccz .LBB126_958
; %bb.947:
	v_cmp_eq_u16_e32 vcc_lo, 29, v12
	s_mov_b32 s0, -1
	s_cbranch_vccz .LBB126_958
; %bb.948:
	v_and_b32_e64 v0, 0xff, s7
	s_delay_alu instid0(VALU_DEP_1)
	v_cmp_gt_i16_e32 vcc_lo, 0x80, v0
	s_cbranch_vccnz .LBB126_952
; %bb.949:
	v_cmp_ne_u16_e64 s10, 0x80, v0
	s_mov_b32 s11, 0
	s_mov_b64 s[0:1], 0
	s_branch .LBB126_953
.LBB126_950:
	s_and_not1_b32 vcc_lo, exec_lo, s10
	s_cbranch_vccnz .LBB126_942
.LBB126_951:
	v_lshrrev_b16 v0, 2, s7
	s_and_b32 s0, s7, 3
	s_delay_alu instid0(SALU_CYCLE_1) | instskip(NEXT) | instid1(SALU_CYCLE_1)
	s_clz_i32_u32 s1, s0
	s_min_u32 s1, s1, 32
	s_delay_alu instid0(VALU_DEP_1) | instskip(SKIP_3) | instid1(VALU_DEP_1)
	v_readfirstlane_b32 s10, v0
	s_sub_i32 s11, s1, 29
	s_sub_i32 s1, 30, s1
	s_lshl_b32 s11, s7, s11
	s_and_b32 s10, s10, 31
	s_and_b32 s11, s11, 3
	s_cmp_eq_u32 s10, 0
	s_cselect_b32 s0, s11, s0
	s_cselect_b32 s1, s1, s10
	s_lshl_b32 s0, s0, 21
	s_lshl_b32 s1, s1, 23
	s_delay_alu instid0(SALU_CYCLE_1) | instskip(NEXT) | instid1(SALU_CYCLE_1)
	s_or_b32 s0, s1, s0
	s_add_i32 s0, s0, 0x37800000
	v_mov_b32_e32 v0, 0xff
	s_bfe_u32 s1, s0, 0x80017
	s_delay_alu instid0(SALU_CYCLE_1)
	s_cmpk_eq_i32 s1, 0xff
	s_cbranch_scc0 .LBB126_943
	s_branch .LBB126_944
.LBB126_952:
	s_mov_b32 s11, -1
	s_mov_b32 s10, 0
                                        ; implicit-def: $sgpr0_sgpr1
.LBB126_953:
	s_and_not1_b32 vcc_lo, exec_lo, s11
	s_cbranch_vccnz .LBB126_955
; %bb.954:
	v_cmp_ne_u16_e64 s10, 0, v0
	s_mov_b64 s[0:1], 0
.LBB126_955:
	s_delay_alu instid0(SALU_CYCLE_1) | instskip(NEXT) | instid1(VALU_DEP_2)
	v_dual_mov_b32 v0, s0 :: v_dual_mov_b32 v1, s1
	s_and_not1_b32 vcc_lo, exec_lo, s10
	s_cbranch_vccnz .LBB126_957
; %bb.956:
	v_lshrrev_b16 v0, 2, s7
	s_and_b32 s0, s7, 3
	s_lshl_b32 s11, s7, 24
	s_clz_i32_u32 s1, s0
	s_delay_alu instid0(SALU_CYCLE_1) | instskip(SKIP_4) | instid1(VALU_DEP_1)
	s_min_u32 s1, s1, 32
	v_readfirstlane_b32 s10, v0
	s_sub_i32 s12, s1, 29
	s_sub_i32 s1, 30, s1
	s_lshl_b32 s12, s7, s12
	s_and_b32 s10, s10, 31
	s_and_b32 s12, s12, 3
	s_cmp_eq_u32 s10, 0
	s_cselect_b32 s1, s1, s10
	s_cselect_b32 s0, s12, s0
	s_lshl_b32 s1, s1, 23
	s_and_b32 s10, s11, 0x80000000
	s_add_i32 s1, s1, 0x37800000
	s_lshl_b32 s0, s0, 21
	s_or_b32 s1, s10, s1
	s_delay_alu instid0(SALU_CYCLE_1) | instskip(NEXT) | instid1(SALU_CYCLE_1)
	s_or_b32 s0, s1, s0
	v_trunc_f32_e32 v0, s0
	s_delay_alu instid0(VALU_DEP_1) | instskip(NEXT) | instid1(VALU_DEP_1)
	v_mul_f32_e32 v1, 0x2f800000, v0
	v_floor_f32_e32 v1, v1
	s_delay_alu instid0(VALU_DEP_1) | instskip(SKIP_1) | instid1(VALU_DEP_2)
	v_fmamk_f32 v0, v1, 0xcf800000, v0
	v_cvt_u32_f32_e32 v1, v1
	v_cvt_u32_f32_e32 v0, v0
.LBB126_957:
	s_mov_b32 s0, 0
	s_mov_b32 s1, -1
	global_store_b64 v[4:5], v[0:1], off
.LBB126_958:
	s_mov_b32 s10, 0
.LBB126_959:
	s_delay_alu instid0(SALU_CYCLE_1)
	s_and_b32 vcc_lo, exec_lo, s10
	s_cbranch_vccz .LBB126_1001
; %bb.960:
	v_cmp_gt_i16_e32 vcc_lo, 27, v12
	s_mov_b32 s1, -1
	s_cbranch_vccnz .LBB126_980
; %bb.961:
	v_cmp_lt_i16_e32 vcc_lo, 27, v12
	s_cbranch_vccz .LBB126_970
; %bb.962:
	v_and_b32_e64 v0, 0xff, s7
	s_delay_alu instid0(VALU_DEP_1)
	v_cmp_gt_i16_e32 vcc_lo, 0x80, v0
	s_cbranch_vccnz .LBB126_964
; %bb.963:
	v_cmp_ne_u16_e64 s1, 0x80, v0
	s_mov_b32 s11, 0
	s_mov_b32 s10, 0
	s_branch .LBB126_965
.LBB126_964:
	s_mov_b32 s11, -1
	s_mov_b32 s1, 0
                                        ; implicit-def: $sgpr10
.LBB126_965:
	s_and_not1_b32 vcc_lo, exec_lo, s11
	s_cbranch_vccnz .LBB126_967
; %bb.966:
	v_cmp_ne_u16_e64 s1, 0, v0
	s_mov_b32 s10, 0
.LBB126_967:
	s_delay_alu instid0(SALU_CYCLE_1) | instskip(NEXT) | instid1(VALU_DEP_2)
	v_mov_b32_e32 v0, s10
	s_and_not1_b32 vcc_lo, exec_lo, s1
	s_cbranch_vccnz .LBB126_969
; %bb.968:
	v_lshrrev_b16 v0, 2, s7
	s_and_b32 s1, s7, 3
	s_lshl_b32 s13, s7, 24
	s_clz_i32_u32 s10, s1
	s_delay_alu instid0(SALU_CYCLE_1) | instskip(SKIP_4) | instid1(VALU_DEP_1)
	s_min_u32 s10, s10, 32
	v_readfirstlane_b32 s11, v0
	s_sub_i32 s12, s10, 29
	s_sub_i32 s10, 30, s10
	s_lshl_b32 s12, s7, s12
	s_and_b32 s11, s11, 31
	s_and_b32 s12, s12, 3
	s_cmp_eq_u32 s11, 0
	s_cselect_b32 s10, s10, s11
	s_cselect_b32 s1, s12, s1
	s_lshl_b32 s10, s10, 23
	s_and_b32 s11, s13, 0x80000000
	s_add_i32 s10, s10, 0x37800000
	s_lshl_b32 s1, s1, 21
	s_or_b32 s10, s11, s10
	s_delay_alu instid0(SALU_CYCLE_1) | instskip(NEXT) | instid1(SALU_CYCLE_1)
	s_or_b32 s1, s10, s1
	v_cvt_u32_f32_e32 v0, s1
.LBB126_969:
	s_mov_b32 s1, 0
	global_store_b32 v[4:5], v0, off
.LBB126_970:
	s_and_b32 vcc_lo, exec_lo, s1
	s_cbranch_vccz .LBB126_979
; %bb.971:
	v_and_b32_e64 v0, 0xff, s7
	s_delay_alu instid0(VALU_DEP_1)
	v_cmp_gt_i16_e32 vcc_lo, 0x80, v0
	s_cbranch_vccnz .LBB126_973
; %bb.972:
	v_cmp_ne_u16_e64 s1, 0x80, v0
	s_mov_b32 s11, 0
	s_mov_b32 s10, 0
	s_branch .LBB126_974
.LBB126_973:
	s_mov_b32 s11, -1
	s_mov_b32 s1, 0
                                        ; implicit-def: $sgpr10
.LBB126_974:
	s_and_not1_b32 vcc_lo, exec_lo, s11
	s_cbranch_vccnz .LBB126_976
; %bb.975:
	v_cmp_ne_u16_e64 s1, 0, v0
	s_mov_b32 s10, 0
.LBB126_976:
	s_delay_alu instid0(SALU_CYCLE_1) | instskip(NEXT) | instid1(VALU_DEP_2)
	v_mov_b32_e32 v0, s10
	s_and_not1_b32 vcc_lo, exec_lo, s1
	s_cbranch_vccnz .LBB126_978
; %bb.977:
	v_lshrrev_b16 v0, 2, s7
	s_and_b32 s1, s7, 3
	s_lshl_b32 s13, s7, 24
	s_clz_i32_u32 s10, s1
	s_delay_alu instid0(SALU_CYCLE_1) | instskip(SKIP_4) | instid1(VALU_DEP_1)
	s_min_u32 s10, s10, 32
	v_readfirstlane_b32 s11, v0
	s_sub_i32 s12, s10, 29
	s_sub_i32 s10, 30, s10
	s_lshl_b32 s12, s7, s12
	s_and_b32 s11, s11, 31
	s_and_b32 s12, s12, 3
	s_cmp_eq_u32 s11, 0
	s_cselect_b32 s10, s10, s11
	s_cselect_b32 s1, s12, s1
	s_lshl_b32 s10, s10, 23
	s_and_b32 s11, s13, 0x80000000
	s_add_i32 s10, s10, 0x37800000
	s_lshl_b32 s1, s1, 21
	s_or_b32 s10, s11, s10
	s_delay_alu instid0(SALU_CYCLE_1) | instskip(NEXT) | instid1(SALU_CYCLE_1)
	s_or_b32 s1, s10, s1
	v_cvt_u32_f32_e32 v0, s1
.LBB126_978:
	global_store_b16 v[4:5], v0, off
.LBB126_979:
	s_mov_b32 s1, 0
.LBB126_980:
	s_delay_alu instid0(SALU_CYCLE_1)
	s_and_not1_b32 vcc_lo, exec_lo, s1
	s_cbranch_vccnz .LBB126_1000
; %bb.981:
	v_and_b32_e64 v0, 0xff, s7
	s_delay_alu instid0(VALU_DEP_1)
	v_cmp_gt_i16_e32 vcc_lo, 0x80, v0
	s_cbranch_vccnz .LBB126_984
; %bb.982:
	v_cmp_eq_u16_e32 vcc_lo, 0x80, v0
	s_cbranch_vccz .LBB126_985
; %bb.983:
	s_mov_b32 s10, 0
	s_mov_b32 s1, 0x7f800001
	s_branch .LBB126_986
.LBB126_984:
	s_mov_b32 s11, -1
	s_mov_b32 s10, 0
                                        ; implicit-def: $sgpr1
	s_branch .LBB126_987
.LBB126_985:
	s_mov_b32 s10, -1
                                        ; implicit-def: $sgpr1
.LBB126_986:
	s_mov_b32 s11, 0
.LBB126_987:
	s_delay_alu instid0(SALU_CYCLE_1)
	s_and_b32 vcc_lo, exec_lo, s11
	s_cbranch_vccz .LBB126_990
; %bb.988:
	v_cmp_ne_u16_e64 s10, 0, v0
	s_mov_b32 s1, 0
	s_delay_alu instid0(VALU_DEP_1)
	s_and_not1_b32 vcc_lo, exec_lo, s10
	s_cbranch_vccz .LBB126_991
.LBB126_989:
	v_mov_b32_e32 v1, 0x80
	s_and_b32 s10, s1, 0x7fffffff
	s_delay_alu instid0(SALU_CYCLE_1)
	s_cmp_gt_u32 s10, 0x437fffff
	s_cbranch_scc0 .LBB126_992
	s_branch .LBB126_999
.LBB126_990:
	s_and_not1_b32 vcc_lo, exec_lo, s10
	s_cbranch_vccnz .LBB126_989
.LBB126_991:
	v_lshrrev_b16 v0, 2, s7
	s_and_b32 s1, s7, 3
	s_lshl_b32 s13, s7, 24
	s_clz_i32_u32 s10, s1
	s_delay_alu instid0(SALU_CYCLE_1) | instskip(SKIP_4) | instid1(VALU_DEP_1)
	s_min_u32 s10, s10, 32
	v_readfirstlane_b32 s11, v0
	s_sub_i32 s12, s10, 29
	s_sub_i32 s10, 30, s10
	s_lshl_b32 s12, s7, s12
	s_and_b32 s11, s11, 31
	s_and_b32 s12, s12, 3
	s_cmp_eq_u32 s11, 0
	s_cselect_b32 s10, s10, s11
	s_cselect_b32 s1, s12, s1
	s_lshl_b32 s10, s10, 23
	s_and_b32 s11, s13, 0x80000000
	s_add_i32 s10, s10, 0x37800000
	s_lshl_b32 s1, s1, 21
	s_or_b32 s10, s11, s10
	s_delay_alu instid0(SALU_CYCLE_1) | instskip(SKIP_2) | instid1(SALU_CYCLE_1)
	s_or_b32 s1, s10, s1
	v_mov_b32_e32 v1, 0x80
	s_and_b32 s10, s1, 0x7fffffff
	s_cmp_gt_u32 s10, 0x437fffff
	s_cbranch_scc1 .LBB126_999
.LBB126_992:
	s_cmp_gt_u32 s10, 0x3bffffff
	s_cbranch_scc0 .LBB126_994
; %bb.993:
	s_bfe_u32 s10, s1, 0x10014
	s_mov_b32 s11, 0
	s_add_i32 s10, s1, s10
	s_delay_alu instid0(SALU_CYCLE_1) | instskip(NEXT) | instid1(SALU_CYCLE_1)
	s_add_i32 s10, s10, 0x487ffff
	s_lshr_b32 s12, s10, 20
	s_mov_b32 s10, -1
	s_branch .LBB126_995
.LBB126_994:
	s_mov_b32 s11, -1
	s_mov_b32 s10, 0
                                        ; implicit-def: $sgpr12
.LBB126_995:
	v_mov_b32_e32 v0, s12
	s_and_not1_b32 vcc_lo, exec_lo, s11
                                        ; implicit-def: $sgpr11
	s_cbranch_vccnz .LBB126_997
; %bb.996:
	v_add_f32_e64 v0, 0x46000000, |s1|
	s_mov_b32 s11, 0
	s_delay_alu instid0(VALU_DEP_1) | instskip(NEXT) | instid1(VALU_DEP_1)
	v_and_b32_e32 v0, 0xff, v0
	v_cmp_ne_u32_e64 s10, 0, v0
.LBB126_997:
	v_mov_b32_e32 v1, s11
	s_delay_alu instid0(VALU_DEP_2)
	s_and_not1_b32 vcc_lo, exec_lo, s10
	s_cbranch_vccnz .LBB126_999
; %bb.998:
	s_lshr_b32 s1, s1, 24
	s_delay_alu instid0(SALU_CYCLE_1) | instskip(NEXT) | instid1(SALU_CYCLE_1)
	s_and_b32 s1, s1, 0x80
	v_or_b32_e32 v1, s1, v0
.LBB126_999:
	global_store_b8 v[4:5], v1, off
.LBB126_1000:
	s_mov_b32 s1, -1
.LBB126_1001:
	s_mov_b32 s10, 0
.LBB126_1002:
	s_delay_alu instid0(SALU_CYCLE_1)
	s_and_b32 vcc_lo, exec_lo, s10
	s_cbranch_vccz .LBB126_1070
; %bb.1003:
	v_cmp_lt_i16_e32 vcc_lo, 22, v12
	s_mov_b32 s9, -1
	s_cbranch_vccz .LBB126_1053
; %bb.1004:
	v_cmp_gt_i16_e32 vcc_lo, 24, v12
	s_mov_b32 s1, -1
	s_cbranch_vccnz .LBB126_1030
; %bb.1005:
	v_cmp_lt_i16_e32 vcc_lo, 24, v12
	s_cbranch_vccz .LBB126_1007
; %bb.1006:
	v_mov_b32_e32 v0, s7
	s_mov_b32 s1, 0
	global_store_b8 v[4:5], v0, off
.LBB126_1007:
	s_and_not1_b32 vcc_lo, exec_lo, s1
	s_cbranch_vccnz .LBB126_1029
; %bb.1008:
	v_and_b32_e64 v0, 0xff, s7
	s_delay_alu instid0(VALU_DEP_1)
	v_cmp_gt_i16_e32 vcc_lo, 0x80, v0
	s_cbranch_vccnz .LBB126_1011
; %bb.1009:
	v_cmp_eq_u16_e32 vcc_lo, 0x80, v0
	s_cbranch_vccz .LBB126_1012
; %bb.1010:
	s_mov_b32 s9, 0
	s_mov_b32 s1, 0x7f800001
	s_branch .LBB126_1013
.LBB126_1011:
	s_mov_b32 s10, -1
	s_mov_b32 s9, 0
                                        ; implicit-def: $sgpr1
	s_branch .LBB126_1014
.LBB126_1012:
                                        ; implicit-def: $sgpr1
.LBB126_1013:
	s_mov_b32 s10, 0
.LBB126_1014:
	s_delay_alu instid0(SALU_CYCLE_1)
	s_and_b32 vcc_lo, exec_lo, s10
	s_cbranch_vccz .LBB126_1019
; %bb.1015:
	v_cmp_ne_u16_e64 s9, 0, v0
	s_mov_b32 s1, 0
	s_delay_alu instid0(VALU_DEP_1)
	s_and_not1_b32 vcc_lo, exec_lo, s9
	s_cbranch_vccz .LBB126_1020
.LBB126_1016:
	s_and_b32 s9, s1, 0x7fffffff
	s_delay_alu instid0(SALU_CYCLE_1)
	s_cmp_lt_u32 s9, 0x43f00000
	s_cbranch_scc0 .LBB126_1021
.LBB126_1017:
	s_cmp_gt_u32 s9, 0x3c7fffff
	s_cbranch_scc0 .LBB126_1022
; %bb.1018:
	s_bfe_u32 s10, s1, 0x10014
	s_delay_alu instid0(SALU_CYCLE_1) | instskip(NEXT) | instid1(SALU_CYCLE_1)
	s_add_i32 s10, s1, s10
	s_add_i32 s10, s10, 0x407ffff
	s_delay_alu instid0(SALU_CYCLE_1)
	s_and_b32 s11, s10, 0xff00000
	s_lshr_b32 s10, s10, 20
	s_cmp_lg_u32 s11, 0x7f00000
	s_cselect_b32 s11, s10, 0x7e
	s_mov_b32 s10, 0
	s_branch .LBB126_1023
.LBB126_1019:
	s_and_not1_b32 vcc_lo, exec_lo, s9
	s_cbranch_vccnz .LBB126_1016
.LBB126_1020:
	v_lshrrev_b16 v0, 2, s7
	s_and_b32 s1, s7, 3
	s_lshl_b32 s12, s7, 24
	s_clz_i32_u32 s9, s1
	s_delay_alu instid0(SALU_CYCLE_1) | instskip(SKIP_4) | instid1(VALU_DEP_1)
	s_min_u32 s9, s9, 32
	v_readfirstlane_b32 s10, v0
	s_sub_i32 s11, s9, 29
	s_sub_i32 s9, 30, s9
	s_lshl_b32 s11, s7, s11
	s_and_b32 s10, s10, 31
	s_and_b32 s11, s11, 3
	s_cmp_eq_u32 s10, 0
	s_cselect_b32 s9, s9, s10
	s_cselect_b32 s1, s11, s1
	s_lshl_b32 s9, s9, 23
	s_and_b32 s10, s12, 0x80000000
	s_add_i32 s9, s9, 0x37800000
	s_lshl_b32 s1, s1, 21
	s_or_b32 s9, s10, s9
	s_delay_alu instid0(SALU_CYCLE_1) | instskip(NEXT) | instid1(SALU_CYCLE_1)
	s_or_b32 s1, s9, s1
	s_and_b32 s9, s1, 0x7fffffff
	s_delay_alu instid0(SALU_CYCLE_1)
	s_cmp_lt_u32 s9, 0x43f00000
	s_cbranch_scc1 .LBB126_1017
.LBB126_1021:
	s_mov_b32 s10, -1
                                        ; implicit-def: $vgpr0
	s_branch .LBB126_1026
.LBB126_1022:
	s_mov_b32 s10, -1
                                        ; implicit-def: $sgpr11
.LBB126_1023:
	v_mov_b32_e32 v0, s11
	s_and_not1_b32 vcc_lo, exec_lo, s10
	s_cbranch_vccnz .LBB126_1025
; %bb.1024:
	v_add_f32_e64 v0, 0x46800000, |s1|
.LBB126_1025:
	s_mov_b32 s10, 0
.LBB126_1026:
	s_delay_alu instid0(SALU_CYCLE_1)
	s_and_not1_b32 vcc_lo, exec_lo, s10
	s_cbranch_vccnz .LBB126_1028
; %bb.1027:
	s_cmp_gt_u32 s9, 0x7f800000
	s_movk_i32 s9, 0x7f
	s_delay_alu instid0(SALU_CYCLE_1) | instskip(NEXT) | instid1(SALU_CYCLE_1)
	s_cselect_b32 s9, s9, 0x7e
	v_mov_b32_e32 v0, s9
.LBB126_1028:
	s_lshr_b32 s1, s1, 24
	s_delay_alu instid0(SALU_CYCLE_1)
	s_and_b32 s1, s1, 0x80
	s_delay_alu instid0(VALU_DEP_1) | instid1(SALU_CYCLE_1)
	v_or_b32_e32 v0, s1, v0
	global_store_b8 v[4:5], v0, off
.LBB126_1029:
	s_mov_b32 s1, 0
.LBB126_1030:
	s_delay_alu instid0(SALU_CYCLE_1)
	s_and_not1_b32 vcc_lo, exec_lo, s1
	s_cbranch_vccnz .LBB126_1052
; %bb.1031:
	v_and_b32_e64 v0, 0xff, s7
	s_delay_alu instid0(VALU_DEP_1)
	v_cmp_gt_i16_e32 vcc_lo, 0x80, v0
	s_cbranch_vccnz .LBB126_1034
; %bb.1032:
	v_cmp_eq_u16_e32 vcc_lo, 0x80, v0
	s_cbranch_vccz .LBB126_1035
; %bb.1033:
	s_mov_b32 s9, 0
	s_mov_b32 s1, 0x7f800001
	s_branch .LBB126_1036
.LBB126_1034:
	s_mov_b32 s10, -1
	s_mov_b32 s9, 0
                                        ; implicit-def: $sgpr1
	s_branch .LBB126_1037
.LBB126_1035:
	s_mov_b32 s9, -1
                                        ; implicit-def: $sgpr1
.LBB126_1036:
	s_mov_b32 s10, 0
.LBB126_1037:
	s_delay_alu instid0(SALU_CYCLE_1)
	s_and_b32 vcc_lo, exec_lo, s10
	s_cbranch_vccz .LBB126_1042
; %bb.1038:
	v_cmp_ne_u16_e64 s9, 0, v0
	s_mov_b32 s1, 0
	s_delay_alu instid0(VALU_DEP_1)
	s_and_not1_b32 vcc_lo, exec_lo, s9
	s_cbranch_vccz .LBB126_1043
.LBB126_1039:
	s_and_b32 s9, s1, 0x7fffffff
	s_delay_alu instid0(SALU_CYCLE_1)
	s_cmp_lt_u32 s9, 0x47800000
	s_cbranch_scc0 .LBB126_1044
.LBB126_1040:
	s_cmp_gt_u32 s9, 0x387fffff
	s_cbranch_scc0 .LBB126_1045
; %bb.1041:
	s_bfe_u32 s10, s1, 0x10015
	s_delay_alu instid0(SALU_CYCLE_1) | instskip(NEXT) | instid1(SALU_CYCLE_1)
	s_add_i32 s10, s1, s10
	s_add_i32 s10, s10, 0x80fffff
	s_delay_alu instid0(SALU_CYCLE_1)
	s_lshr_b32 s11, s10, 21
	s_mov_b32 s10, 0
	s_branch .LBB126_1046
.LBB126_1042:
	s_and_not1_b32 vcc_lo, exec_lo, s9
	s_cbranch_vccnz .LBB126_1039
.LBB126_1043:
	v_lshrrev_b16 v0, 2, s7
	s_and_b32 s1, s7, 3
	s_lshl_b32 s12, s7, 24
	s_clz_i32_u32 s9, s1
	s_delay_alu instid0(SALU_CYCLE_1) | instskip(SKIP_4) | instid1(VALU_DEP_1)
	s_min_u32 s9, s9, 32
	v_readfirstlane_b32 s10, v0
	s_sub_i32 s11, s9, 29
	s_sub_i32 s9, 30, s9
	s_lshl_b32 s11, s7, s11
	s_and_b32 s10, s10, 31
	s_and_b32 s11, s11, 3
	s_cmp_eq_u32 s10, 0
	s_cselect_b32 s9, s9, s10
	s_cselect_b32 s1, s11, s1
	s_lshl_b32 s9, s9, 23
	s_and_b32 s10, s12, 0x80000000
	s_add_i32 s9, s9, 0x37800000
	s_lshl_b32 s1, s1, 21
	s_or_b32 s9, s10, s9
	s_delay_alu instid0(SALU_CYCLE_1) | instskip(NEXT) | instid1(SALU_CYCLE_1)
	s_or_b32 s1, s9, s1
	s_and_b32 s9, s1, 0x7fffffff
	s_delay_alu instid0(SALU_CYCLE_1)
	s_cmp_lt_u32 s9, 0x47800000
	s_cbranch_scc1 .LBB126_1040
.LBB126_1044:
	s_mov_b32 s10, -1
                                        ; implicit-def: $vgpr0
	s_branch .LBB126_1049
.LBB126_1045:
	s_mov_b32 s10, -1
                                        ; implicit-def: $sgpr11
.LBB126_1046:
	v_mov_b32_e32 v0, s11
	s_and_not1_b32 vcc_lo, exec_lo, s10
	s_cbranch_vccnz .LBB126_1048
; %bb.1047:
	v_add_f32_e64 v0, 0x43000000, |s1|
.LBB126_1048:
	s_mov_b32 s10, 0
.LBB126_1049:
	s_delay_alu instid0(SALU_CYCLE_1)
	s_and_not1_b32 vcc_lo, exec_lo, s10
	s_cbranch_vccnz .LBB126_1051
; %bb.1050:
	s_cmp_gt_u32 s9, 0x7f800000
	s_movk_i32 s9, 0x7f
	s_delay_alu instid0(SALU_CYCLE_1) | instskip(NEXT) | instid1(SALU_CYCLE_1)
	s_cselect_b32 s9, s9, 0x7c
	v_mov_b32_e32 v0, s9
.LBB126_1051:
	s_lshr_b32 s1, s1, 24
	s_delay_alu instid0(SALU_CYCLE_1)
	s_and_b32 s1, s1, 0x80
	s_delay_alu instid0(VALU_DEP_1) | instid1(SALU_CYCLE_1)
	v_or_b32_e32 v0, s1, v0
	global_store_b8 v[4:5], v0, off
.LBB126_1052:
	s_mov_b32 s9, 0
	s_mov_b32 s1, -1
.LBB126_1053:
	s_and_not1_b32 vcc_lo, exec_lo, s9
	s_mov_b32 s9, 0
	s_cbranch_vccnz .LBB126_1070
; %bb.1054:
	v_cmp_lt_i16_e32 vcc_lo, 14, v12
	s_mov_b32 s9, -1
	s_cbranch_vccz .LBB126_1068
; %bb.1055:
	v_cmp_eq_u16_e32 vcc_lo, 15, v12
	s_mov_b32 s0, -1
	s_cbranch_vccz .LBB126_1067
; %bb.1056:
	v_and_b32_e64 v0, 0xff, s7
	s_delay_alu instid0(VALU_DEP_1)
	v_cmp_gt_i16_e32 vcc_lo, 0x80, v0
	s_cbranch_vccnz .LBB126_1059
; %bb.1057:
	v_cmp_eq_u16_e32 vcc_lo, 0x80, v0
	s_cbranch_vccz .LBB126_1060
; %bb.1058:
	s_mov_b32 s1, 0
	s_mov_b32 s0, 0x7f800001
	s_branch .LBB126_1061
.LBB126_1059:
	s_mov_b32 s1, 0
                                        ; implicit-def: $sgpr0
	s_branch .LBB126_1062
.LBB126_1060:
	s_mov_b32 s1, -1
                                        ; implicit-def: $sgpr0
.LBB126_1061:
	s_mov_b32 s9, 0
.LBB126_1062:
	s_delay_alu instid0(SALU_CYCLE_1)
	s_and_b32 vcc_lo, exec_lo, s9
	s_cbranch_vccz .LBB126_1064
; %bb.1063:
	v_cmp_ne_u16_e64 s1, 0, v0
	s_mov_b32 s0, 0
.LBB126_1064:
	s_delay_alu instid0(VALU_DEP_1)
	s_and_not1_b32 vcc_lo, exec_lo, s1
	s_cbranch_vccnz .LBB126_1066
; %bb.1065:
	v_lshrrev_b16 v0, 2, s7
	s_and_b32 s0, s7, 3
	s_lshl_b32 s11, s7, 24
	s_clz_i32_u32 s1, s0
	s_delay_alu instid0(SALU_CYCLE_1) | instskip(SKIP_4) | instid1(VALU_DEP_1)
	s_min_u32 s1, s1, 32
	v_readfirstlane_b32 s9, v0
	s_sub_i32 s10, s1, 29
	s_sub_i32 s1, 30, s1
	s_lshl_b32 s10, s7, s10
	s_and_b32 s9, s9, 31
	s_and_b32 s10, s10, 3
	s_cmp_eq_u32 s9, 0
	s_cselect_b32 s1, s1, s9
	s_cselect_b32 s0, s10, s0
	s_lshl_b32 s1, s1, 23
	s_and_b32 s9, s11, 0x80000000
	s_add_i32 s1, s1, 0x37800000
	s_lshl_b32 s0, s0, 21
	s_or_b32 s1, s9, s1
	s_delay_alu instid0(SALU_CYCLE_1)
	s_or_b32 s0, s1, s0
.LBB126_1066:
	s_delay_alu instid0(SALU_CYCLE_1) | instskip(NEXT) | instid1(SALU_CYCLE_1)
	s_bfe_u32 s1, s0, 0x10010
	s_add_i32 s1, s0, s1
	v_cmp_o_f32_e64 s0, s0, s0
	s_addk_i32 s1, 0x7fff
	s_delay_alu instid0(SALU_CYCLE_1) | instskip(NEXT) | instid1(VALU_DEP_1)
	s_lshr_b32 s1, s1, 16
	s_and_b32 s0, s0, exec_lo
	s_cselect_b32 s0, s1, 0x7fc0
	s_mov_b32 s1, -1
	v_mov_b32_e32 v0, s0
	s_mov_b32 s0, 0
	global_store_b16 v[4:5], v0, off
.LBB126_1067:
	s_mov_b32 s9, 0
.LBB126_1068:
	s_delay_alu instid0(SALU_CYCLE_1)
	s_and_b32 vcc_lo, exec_lo, s9
	s_mov_b32 s9, 0
	s_cbranch_vccz .LBB126_1070
; %bb.1069:
	v_cmp_ne_u16_e64 s0, 11, v12
	s_mov_b32 s9, -1
.LBB126_1070:
	s_delay_alu instid0(VALU_DEP_1)
	s_and_b32 vcc_lo, exec_lo, s0
	s_cbranch_vccnz .LBB126_1083
; %bb.1071:
	s_and_not1_b32 vcc_lo, exec_lo, s9
	s_cbranch_vccnz .LBB126_1085
.LBB126_1072:
	v_and_b32_e64 v0, 0xff, s7
	s_delay_alu instid0(VALU_DEP_1)
	v_cmp_gt_i16_e32 vcc_lo, 0x80, v0
	s_cbranch_vccnz .LBB126_1075
; %bb.1073:
	v_cmp_eq_u16_e32 vcc_lo, 0x80, v0
	s_cbranch_vccz .LBB126_1076
; %bb.1074:
	s_mov_b32 s1, 0
	s_mov_b32 s0, -1
	s_branch .LBB126_1077
.LBB126_1075:
	s_mov_b32 s9, -1
	s_mov_b32 s1, 0
                                        ; implicit-def: $sgpr0
	s_branch .LBB126_1078
.LBB126_1076:
	s_mov_b32 s1, -1
                                        ; implicit-def: $sgpr0
.LBB126_1077:
	s_mov_b32 s9, 0
.LBB126_1078:
	s_delay_alu instid0(SALU_CYCLE_1)
	s_and_b32 vcc_lo, exec_lo, s9
	s_cbranch_vccz .LBB126_1080
; %bb.1079:
	v_cmp_ne_u16_e64 s1, 0, v0
	s_mov_b32 s0, 0
.LBB126_1080:
	s_delay_alu instid0(VALU_DEP_1)
	s_and_not1_b32 vcc_lo, exec_lo, s1
	s_cbranch_vccnz .LBB126_1082
; %bb.1081:
	v_lshrrev_b16 v0, 2, s7
	s_and_b32 s0, s7, 3
	s_delay_alu instid0(SALU_CYCLE_1) | instskip(NEXT) | instid1(SALU_CYCLE_1)
	s_clz_i32_u32 s1, s0
	s_min_u32 s1, s1, 32
	s_delay_alu instid0(VALU_DEP_1) | instskip(SKIP_3) | instid1(VALU_DEP_1)
	v_readfirstlane_b32 s9, v0
	s_sub_i32 s10, s1, 29
	s_sub_i32 s1, 30, s1
	s_lshl_b32 s10, s7, s10
	s_and_b32 s9, s9, 31
	s_and_b32 s10, s10, 3
	s_cmp_eq_u32 s9, 0
	s_cselect_b32 s1, s1, s9
	s_cselect_b32 s0, s10, s0
	s_lshl_b32 s1, s1, 23
	s_lshl_b32 s0, s0, 21
	s_add_i32 s1, s1, 0x37800000
	s_delay_alu instid0(SALU_CYCLE_1) | instskip(NEXT) | instid1(SALU_CYCLE_1)
	s_and_b32 s1, s1, 0x7f800000
	s_or_b32 s0, s1, s0
	s_delay_alu instid0(SALU_CYCLE_1)
	s_cmp_lg_u32 s0, 0
	s_cselect_b32 s0, -1, 0
.LBB126_1082:
	s_delay_alu instid0(SALU_CYCLE_1)
	v_cndmask_b32_e64 v0, 0, 1, s0
	s_mov_b32 s1, -1
	global_store_b8 v[4:5], v0, off
	s_branch .LBB126_1086
.LBB126_1083:
	s_cbranch_execnz .LBB126_1097
; %bb.1084:
	s_or_b32 s8, s8, exec_lo
	s_cbranch_execz .LBB126_1072
.LBB126_1085:
.LBB126_1086:
	s_and_not1_b32 vcc_lo, exec_lo, s1
	s_cbranch_vccnz .LBB126_1716
.LBB126_1087:
	v_add_nc_u32_e32 v6, s6, v6
	v_cmp_gt_i16_e32 vcc_lo, 11, v12
	s_delay_alu instid0(VALU_DEP_2) | instskip(SKIP_1) | instid1(VALU_DEP_1)
	v_ashrrev_i32_e32 v0, 31, v6
	v_add_co_u32 v4, s0, s4, v6
	v_add_co_ci_u32_e64 v5, s0, s5, v0, s0
	s_cbranch_vccnz .LBB126_1096
; %bb.1088:
	v_cmp_lt_i16_e32 vcc_lo, 25, v12
	s_mov_b32 s10, -1
	s_mov_b32 s9, 0
	s_mov_b32 s1, 0
	;; [unrolled: 1-line block ×3, first 2 shown]
	s_cbranch_vccz .LBB126_1486
; %bb.1089:
	v_cmp_lt_i16_e32 vcc_lo, 28, v12
	s_cbranch_vccz .LBB126_1443
; %bb.1090:
	v_cmp_lt_i16_e32 vcc_lo, 43, v12
	;; [unrolled: 3-line block ×3, first 2 shown]
	s_cbranch_vccz .LBB126_1416
; %bb.1092:
	v_cmp_eq_u16_e32 vcc_lo, 46, v12
	s_mov_b32 s0, -1
	s_mov_b32 s10, 0
	s_cbranch_vccz .LBB126_1416
; %bb.1093:
	v_and_b32_e64 v0, 0xff, s7
	s_delay_alu instid0(VALU_DEP_1)
	v_cmp_gt_i16_e32 vcc_lo, 0x80, v0
	s_cbranch_vccnz .LBB126_1099
; %bb.1094:
	v_cmp_eq_u16_e32 vcc_lo, 0x80, v0
	s_cbranch_vccz .LBB126_1409
; %bb.1095:
	s_mov_b32 s0, 0x7f800001
	s_branch .LBB126_1410
.LBB126_1096:
	s_mov_b32 s0, -1
	s_mov_b32 s1, 0
	s_branch .LBB126_1570
.LBB126_1097:
	s_trap 2
	s_sendmsg_rtn_b32 s0, sendmsg(MSG_RTN_GET_DOORBELL)
	s_mov_b32 ttmp2, m0
	s_waitcnt lgkmcnt(0)
	s_and_b32 s0, s0, 0x3ff
	s_delay_alu instid0(SALU_CYCLE_1) | instskip(NEXT) | instid1(SALU_CYCLE_1)
	s_bitset1_b32 s0, 10
	s_mov_b32 m0, s0
	s_sendmsg sendmsg(MSG_INTERRUPT)
	s_mov_b32 m0, ttmp2
.LBB126_1098:                           ; =>This Inner Loop Header: Depth=1
	s_sethalt 5
	s_branch .LBB126_1098
.LBB126_1099:
	s_mov_b32 s11, -1
                                        ; implicit-def: $sgpr0
	s_branch .LBB126_1411
.LBB126_1100:
                                        ; implicit-def: $sgpr0
.LBB126_1101:
	s_mov_b32 s16, 0
.LBB126_1102:
	s_delay_alu instid0(SALU_CYCLE_1)
	s_and_b32 vcc_lo, exec_lo, s16
	s_cbranch_vccz .LBB126_1104
; %bb.1103:
	v_cmp_ne_u16_e64 s14, 0, v0
	s_mov_b32 s0, 0
.LBB126_1104:
	s_delay_alu instid0(VALU_DEP_1)
	s_and_not1_b32 vcc_lo, exec_lo, s14
	s_cbranch_vccnz .LBB126_1106
; %bb.1105:
	s_mov_b32 s0, s2
.LBB126_1106:
	s_delay_alu instid0(SALU_CYCLE_1) | instskip(NEXT) | instid1(SALU_CYCLE_1)
	s_bfe_u32 s14, s0, 0x10010
	s_add_i32 s14, s0, s14
	v_cmp_o_f32_e64 s0, s0, s0
	s_addk_i32 s14, 0x7fff
	s_delay_alu instid0(SALU_CYCLE_1) | instskip(NEXT) | instid1(VALU_DEP_1)
	s_lshr_b32 s14, s14, 16
	s_and_b32 s0, s0, exec_lo
	s_cselect_b32 s0, s14, 0x7fc0
	s_mov_b32 s14, 0
	v_mov_b32_e32 v0, s0
	s_mov_b32 s0, -1
	global_store_b32 v[10:11], v0, off
.LBB126_1107:
	s_and_b32 vcc_lo, exec_lo, s1
	s_cbranch_vccz .LBB126_1120
; %bb.1108:
	v_cmp_eq_u16_e32 vcc_lo, 44, v12
	s_mov_b32 s14, -1
	s_cbranch_vccz .LBB126_1120
; %bb.1109:
	v_and_b32_e64 v0, 0xff, s7
	s_delay_alu instid0(VALU_DEP_1)
	v_cmp_gt_i16_e32 vcc_lo, 0x80, v0
	v_readfirstlane_b32 s1, v0
	s_cbranch_vccnz .LBB126_1112
; %bb.1110:
	s_delay_alu instid0(VALU_DEP_1) | instskip(NEXT) | instid1(VALU_DEP_1)
	v_cmp_eq_u16_e64 s0, 0x80, s1
	s_and_b32 vcc_lo, exec_lo, s0
	s_cbranch_vccz .LBB126_1113
; %bb.1111:
	s_mov_b32 s14, 0
	s_mov_b32 s0, 0x7f800001
	s_branch .LBB126_1114
.LBB126_1112:
	s_mov_b32 s16, -1
	s_mov_b32 s14, 0
                                        ; implicit-def: $sgpr0
	s_branch .LBB126_1115
.LBB126_1113:
                                        ; implicit-def: $sgpr0
.LBB126_1114:
	s_mov_b32 s16, 0
.LBB126_1115:
	s_delay_alu instid0(SALU_CYCLE_1)
	s_and_b32 vcc_lo, exec_lo, s16
	s_cbranch_vccz .LBB126_1125
; %bb.1116:
	v_cmp_ne_u16_e64 s14, s1, 0
	s_and_b32 s0, 0xffff, s1
	s_delay_alu instid0(VALU_DEP_1)
	s_and_not1_b32 vcc_lo, exec_lo, s14
	s_cbranch_vccz .LBB126_1126
.LBB126_1117:
	v_mov_b32_e32 v0, 0xff
	s_bfe_u32 s1, s0, 0x80017
	s_delay_alu instid0(SALU_CYCLE_1)
	s_cmpk_eq_i32 s1, 0xff
	s_cbranch_scc1 .LBB126_1119
.LBB126_1118:
	s_lshr_b32 s14, s0, 23
	s_bitcmp1_b32 s0, 22
	s_cselect_b32 s16, -1, 0
	s_and_b32 s0, s0, 0x3fffff
	s_delay_alu instid0(SALU_CYCLE_1) | instskip(NEXT) | instid1(SALU_CYCLE_1)
	s_or_b32 s0, s1, s0
	s_cmp_lg_u32 s0, 0
	s_cselect_b32 s0, -1, 0
	s_delay_alu instid0(SALU_CYCLE_1) | instskip(NEXT) | instid1(SALU_CYCLE_1)
	s_and_b32 s0, s16, s0
	v_cndmask_b32_e64 v0, 0, 1, s0
	s_delay_alu instid0(VALU_DEP_1)
	v_add_nc_u32_e32 v0, s14, v0
.LBB126_1119:
	s_mov_b32 s0, -1
	s_mov_b32 s14, 0
	global_store_b8 v[10:11], v0, off
.LBB126_1120:
	s_mov_b32 s1, 0
.LBB126_1121:
	s_delay_alu instid0(SALU_CYCLE_1)
	s_and_b32 vcc_lo, exec_lo, s1
	s_cbranch_vccz .LBB126_1133
; %bb.1122:
	v_cmp_eq_u16_e32 vcc_lo, 29, v12
	s_mov_b32 s14, -1
	s_cbranch_vccz .LBB126_1133
; %bb.1123:
	v_and_b32_e64 v0, 0xff, s7
	s_delay_alu instid0(VALU_DEP_1)
	v_cmp_gt_i16_e32 vcc_lo, 0x80, v0
	s_cbranch_vccnz .LBB126_1127
; %bb.1124:
	v_cmp_ne_u16_e64 s14, 0x80, v0
	s_mov_b32 s16, 0
	s_mov_b64 s[0:1], 0
	s_branch .LBB126_1128
.LBB126_1125:
	s_and_not1_b32 vcc_lo, exec_lo, s14
	s_cbranch_vccnz .LBB126_1117
.LBB126_1126:
	s_mov_b32 s0, s10
	v_mov_b32_e32 v0, 0xff
	s_bfe_u32 s1, s0, 0x80017
	s_delay_alu instid0(SALU_CYCLE_1)
	s_cmpk_eq_i32 s1, 0xff
	s_cbranch_scc0 .LBB126_1118
	s_branch .LBB126_1119
.LBB126_1127:
	s_mov_b32 s16, -1
	s_mov_b32 s14, 0
                                        ; implicit-def: $sgpr0_sgpr1
.LBB126_1128:
	s_and_not1_b32 vcc_lo, exec_lo, s16
	s_cbranch_vccnz .LBB126_1130
; %bb.1129:
	v_cmp_ne_u16_e64 s14, 0, v0
	s_mov_b64 s[0:1], 0
.LBB126_1130:
	s_delay_alu instid0(SALU_CYCLE_1) | instskip(NEXT) | instid1(VALU_DEP_2)
	v_dual_mov_b32 v0, s0 :: v_dual_mov_b32 v1, s1
	s_and_not1_b32 vcc_lo, exec_lo, s14
	s_cbranch_vccnz .LBB126_1132
; %bb.1131:
	v_dual_mov_b32 v0, v8 :: v_dual_mov_b32 v1, v9
.LBB126_1132:
	s_mov_b32 s0, -1
	s_mov_b32 s14, 0
	global_store_b64 v[10:11], v[0:1], off
.LBB126_1133:
	s_mov_b32 s1, 0
.LBB126_1134:
	s_delay_alu instid0(SALU_CYCLE_1)
	s_and_b32 vcc_lo, exec_lo, s1
	s_cbranch_vccz .LBB126_1176
; %bb.1135:
	v_cmp_gt_i16_e32 vcc_lo, 27, v12
	s_mov_b32 s0, -1
	s_cbranch_vccnz .LBB126_1155
; %bb.1136:
	v_cmp_lt_i16_e32 vcc_lo, 27, v12
	s_cbranch_vccz .LBB126_1145
; %bb.1137:
	v_and_b32_e64 v0, 0xff, s7
	s_delay_alu instid0(VALU_DEP_1)
	v_cmp_gt_i16_e32 vcc_lo, 0x80, v0
	s_cbranch_vccnz .LBB126_1139
; %bb.1138:
	v_cmp_ne_u16_e64 s0, 0x80, v0
	s_mov_b32 s16, 0
	s_mov_b32 s1, 0
	s_branch .LBB126_1140
.LBB126_1139:
	s_mov_b32 s16, -1
	s_mov_b32 s0, 0
                                        ; implicit-def: $sgpr1
.LBB126_1140:
	s_and_not1_b32 vcc_lo, exec_lo, s16
	s_cbranch_vccnz .LBB126_1142
; %bb.1141:
	v_cmp_ne_u16_e64 s0, 0, v0
	s_mov_b32 s1, 0
.LBB126_1142:
	s_delay_alu instid0(SALU_CYCLE_1) | instskip(NEXT) | instid1(VALU_DEP_2)
	v_mov_b32_e32 v0, s1
	s_and_not1_b32 vcc_lo, exec_lo, s0
	s_cbranch_vccnz .LBB126_1144
; %bb.1143:
	v_mov_b32_e32 v0, v16
.LBB126_1144:
	s_mov_b32 s0, 0
	global_store_b32 v[10:11], v0, off
.LBB126_1145:
	s_and_b32 vcc_lo, exec_lo, s0
	s_cbranch_vccz .LBB126_1154
; %bb.1146:
	v_and_b32_e64 v0, 0xff, s7
	s_delay_alu instid0(VALU_DEP_1)
	v_cmp_gt_i16_e32 vcc_lo, 0x80, v0
	s_cbranch_vccnz .LBB126_1148
; %bb.1147:
	v_cmp_ne_u16_e64 s0, 0x80, v0
	s_mov_b32 s16, 0
	s_mov_b32 s1, 0
	s_branch .LBB126_1149
.LBB126_1148:
	s_mov_b32 s16, -1
	s_mov_b32 s0, 0
                                        ; implicit-def: $sgpr1
.LBB126_1149:
	s_and_not1_b32 vcc_lo, exec_lo, s16
	s_cbranch_vccnz .LBB126_1151
; %bb.1150:
	v_cmp_ne_u16_e64 s0, 0, v0
	s_mov_b32 s1, 0
.LBB126_1151:
	s_delay_alu instid0(SALU_CYCLE_1) | instskip(NEXT) | instid1(VALU_DEP_2)
	v_mov_b32_e32 v0, s1
	s_and_not1_b32 vcc_lo, exec_lo, s0
	s_cbranch_vccnz .LBB126_1153
; %bb.1152:
	v_mov_b32_e32 v0, v16
.LBB126_1153:
	global_store_b16 v[10:11], v0, off
.LBB126_1154:
	s_mov_b32 s0, 0
.LBB126_1155:
	s_delay_alu instid0(SALU_CYCLE_1)
	s_and_not1_b32 vcc_lo, exec_lo, s0
	s_cbranch_vccnz .LBB126_1175
; %bb.1156:
	v_and_b32_e64 v0, 0xff, s7
	s_delay_alu instid0(VALU_DEP_1)
	v_cmp_gt_i16_e32 vcc_lo, 0x80, v0
	s_cbranch_vccnz .LBB126_1159
; %bb.1157:
	v_cmp_eq_u16_e32 vcc_lo, 0x80, v0
	s_cbranch_vccz .LBB126_1160
; %bb.1158:
	s_mov_b32 s1, 0
	s_mov_b32 s0, 0x7f800001
	s_branch .LBB126_1161
.LBB126_1159:
	s_mov_b32 s16, -1
	s_mov_b32 s1, 0
                                        ; implicit-def: $sgpr0
	s_branch .LBB126_1162
.LBB126_1160:
	s_mov_b32 s1, -1
                                        ; implicit-def: $sgpr0
.LBB126_1161:
	s_mov_b32 s16, 0
.LBB126_1162:
	s_delay_alu instid0(SALU_CYCLE_1)
	s_and_b32 vcc_lo, exec_lo, s16
	s_cbranch_vccz .LBB126_1165
; %bb.1163:
	v_cmp_ne_u16_e64 s1, 0, v0
	s_mov_b32 s0, 0
	s_delay_alu instid0(VALU_DEP_1)
	s_and_not1_b32 vcc_lo, exec_lo, s1
	s_cbranch_vccz .LBB126_1166
.LBB126_1164:
	v_mov_b32_e32 v1, 0x80
	s_and_b32 s1, s0, 0x7fffffff
	s_delay_alu instid0(SALU_CYCLE_1)
	s_cmp_gt_u32 s1, 0x437fffff
	s_cbranch_scc0 .LBB126_1167
	s_branch .LBB126_1174
.LBB126_1165:
	s_and_not1_b32 vcc_lo, exec_lo, s1
	s_cbranch_vccnz .LBB126_1164
.LBB126_1166:
	s_mov_b32 s0, s2
	v_mov_b32_e32 v1, 0x80
	s_and_b32 s1, s0, 0x7fffffff
	s_delay_alu instid0(SALU_CYCLE_1)
	s_cmp_gt_u32 s1, 0x437fffff
	s_cbranch_scc1 .LBB126_1174
.LBB126_1167:
	s_cmp_lt_u32 s1, 0x3c000000
	s_cbranch_scc1 .LBB126_1169
; %bb.1168:
	s_bfe_u32 s1, s0, 0x10014
	s_mov_b32 s16, 0
	s_add_i32 s1, s0, s1
	s_delay_alu instid0(SALU_CYCLE_1) | instskip(NEXT) | instid1(SALU_CYCLE_1)
	s_add_i32 s1, s1, 0x487ffff
	s_lshr_b32 s17, s1, 20
	s_mov_b32 s1, -1
	s_branch .LBB126_1170
.LBB126_1169:
	s_mov_b32 s16, -1
	s_mov_b32 s1, 0
                                        ; implicit-def: $sgpr17
.LBB126_1170:
	v_mov_b32_e32 v0, s17
	s_and_not1_b32 vcc_lo, exec_lo, s16
                                        ; implicit-def: $sgpr16
	s_cbranch_vccnz .LBB126_1172
; %bb.1171:
	v_add_f32_e64 v0, 0x46000000, |s0|
	s_mov_b32 s16, 0
	s_delay_alu instid0(VALU_DEP_1) | instskip(NEXT) | instid1(VALU_DEP_1)
	v_and_b32_e32 v0, 0xff, v0
	v_cmp_ne_u32_e64 s1, 0, v0
.LBB126_1172:
	v_mov_b32_e32 v1, s16
	s_delay_alu instid0(VALU_DEP_2)
	s_and_not1_b32 vcc_lo, exec_lo, s1
	s_cbranch_vccnz .LBB126_1174
; %bb.1173:
	s_lshr_b32 s0, s0, 24
	s_delay_alu instid0(SALU_CYCLE_1) | instskip(NEXT) | instid1(SALU_CYCLE_1)
	s_and_b32 s0, s0, 0x80
	v_or_b32_e32 v1, s0, v0
.LBB126_1174:
	global_store_b8 v[10:11], v1, off
.LBB126_1175:
	s_mov_b32 s0, -1
.LBB126_1176:
	s_mov_b32 s1, 0
.LBB126_1177:
	s_delay_alu instid0(SALU_CYCLE_1)
	s_and_b32 vcc_lo, exec_lo, s1
	s_cbranch_vccz .LBB126_1256
; %bb.1178:
	v_cmp_lt_i16_e32 vcc_lo, 22, v12
	s_mov_b32 s1, -1
	s_cbranch_vccz .LBB126_1228
; %bb.1179:
	v_cmp_gt_i16_e32 vcc_lo, 24, v12
	s_mov_b32 s0, -1
	s_cbranch_vccnz .LBB126_1205
; %bb.1180:
	v_cmp_lt_i16_e32 vcc_lo, 24, v12
	s_cbranch_vccz .LBB126_1182
; %bb.1181:
	v_mov_b32_e32 v0, s7
	s_mov_b32 s0, 0
	global_store_b8 v[10:11], v0, off
.LBB126_1182:
	s_and_not1_b32 vcc_lo, exec_lo, s0
	s_cbranch_vccnz .LBB126_1204
; %bb.1183:
	v_and_b32_e64 v0, 0xff, s7
	s_delay_alu instid0(VALU_DEP_1)
	v_cmp_gt_i16_e32 vcc_lo, 0x80, v0
	s_cbranch_vccnz .LBB126_1186
; %bb.1184:
	v_cmp_eq_u16_e32 vcc_lo, 0x80, v0
	s_cbranch_vccz .LBB126_1187
; %bb.1185:
	s_mov_b32 s1, 0
	s_mov_b32 s0, 0x7f800001
	s_branch .LBB126_1188
.LBB126_1186:
	s_mov_b32 s16, -1
	s_mov_b32 s1, 0
                                        ; implicit-def: $sgpr0
	s_branch .LBB126_1189
.LBB126_1187:
                                        ; implicit-def: $sgpr0
.LBB126_1188:
	s_mov_b32 s16, 0
.LBB126_1189:
	s_delay_alu instid0(SALU_CYCLE_1)
	s_and_b32 vcc_lo, exec_lo, s16
	s_cbranch_vccz .LBB126_1194
; %bb.1190:
	v_cmp_ne_u16_e64 s1, 0, v0
	s_mov_b32 s0, 0
	s_delay_alu instid0(VALU_DEP_1)
	s_and_not1_b32 vcc_lo, exec_lo, s1
	s_cbranch_vccz .LBB126_1195
.LBB126_1191:
	s_and_b32 s1, s0, 0x7fffffff
	s_delay_alu instid0(SALU_CYCLE_1)
	s_cmp_gt_u32 s1, 0x43efffff
	s_cbranch_scc1 .LBB126_1196
.LBB126_1192:
	s_cmp_lt_u32 s1, 0x3c800000
	s_cbranch_scc1 .LBB126_1197
; %bb.1193:
	s_bfe_u32 s16, s0, 0x10014
	s_delay_alu instid0(SALU_CYCLE_1) | instskip(NEXT) | instid1(SALU_CYCLE_1)
	s_add_i32 s16, s0, s16
	s_add_i32 s16, s16, 0x407ffff
	s_delay_alu instid0(SALU_CYCLE_1)
	s_and_b32 s17, s16, 0xff00000
	s_lshr_b32 s16, s16, 20
	s_cmp_lg_u32 s17, 0x7f00000
	s_cselect_b32 s17, s16, 0x7e
	s_mov_b32 s16, 0
	s_branch .LBB126_1198
.LBB126_1194:
	s_and_not1_b32 vcc_lo, exec_lo, s1
	s_cbranch_vccnz .LBB126_1191
.LBB126_1195:
	s_mov_b32 s0, s2
	s_delay_alu instid0(SALU_CYCLE_1) | instskip(NEXT) | instid1(SALU_CYCLE_1)
	s_and_b32 s1, s0, 0x7fffffff
	s_cmp_gt_u32 s1, 0x43efffff
	s_cbranch_scc0 .LBB126_1192
.LBB126_1196:
	s_mov_b32 s16, -1
                                        ; implicit-def: $vgpr0
	s_branch .LBB126_1201
.LBB126_1197:
	s_mov_b32 s16, -1
                                        ; implicit-def: $sgpr17
.LBB126_1198:
	v_mov_b32_e32 v0, s17
	s_and_not1_b32 vcc_lo, exec_lo, s16
	s_cbranch_vccnz .LBB126_1200
; %bb.1199:
	v_add_f32_e64 v0, 0x46800000, |s0|
.LBB126_1200:
	s_mov_b32 s16, 0
.LBB126_1201:
	s_delay_alu instid0(SALU_CYCLE_1)
	s_and_not1_b32 vcc_lo, exec_lo, s16
	s_cbranch_vccnz .LBB126_1203
; %bb.1202:
	s_cmp_gt_u32 s1, 0x7f800000
	s_movk_i32 s1, 0x7f
	s_delay_alu instid0(SALU_CYCLE_1) | instskip(NEXT) | instid1(SALU_CYCLE_1)
	s_cselect_b32 s1, s1, 0x7e
	v_mov_b32_e32 v0, s1
.LBB126_1203:
	s_lshr_b32 s0, s0, 24
	s_delay_alu instid0(SALU_CYCLE_1)
	s_and_b32 s0, s0, 0x80
	s_delay_alu instid0(VALU_DEP_1) | instid1(SALU_CYCLE_1)
	v_or_b32_e32 v0, s0, v0
	global_store_b8 v[10:11], v0, off
.LBB126_1204:
	s_mov_b32 s0, 0
.LBB126_1205:
	s_delay_alu instid0(SALU_CYCLE_1)
	s_and_not1_b32 vcc_lo, exec_lo, s0
	s_cbranch_vccnz .LBB126_1227
; %bb.1206:
	v_and_b32_e64 v0, 0xff, s7
	s_delay_alu instid0(VALU_DEP_1)
	v_cmp_gt_i16_e32 vcc_lo, 0x80, v0
	s_cbranch_vccnz .LBB126_1209
; %bb.1207:
	v_cmp_eq_u16_e32 vcc_lo, 0x80, v0
	s_cbranch_vccz .LBB126_1210
; %bb.1208:
	s_mov_b32 s1, 0
	s_mov_b32 s0, 0x7f800001
	s_branch .LBB126_1211
.LBB126_1209:
	s_mov_b32 s16, -1
	s_mov_b32 s1, 0
                                        ; implicit-def: $sgpr0
	s_branch .LBB126_1212
.LBB126_1210:
	s_mov_b32 s1, -1
                                        ; implicit-def: $sgpr0
.LBB126_1211:
	s_mov_b32 s16, 0
.LBB126_1212:
	s_delay_alu instid0(SALU_CYCLE_1)
	s_and_b32 vcc_lo, exec_lo, s16
	s_cbranch_vccz .LBB126_1217
; %bb.1213:
	v_cmp_ne_u16_e64 s1, 0, v0
	s_mov_b32 s0, 0
	s_delay_alu instid0(VALU_DEP_1)
	s_and_not1_b32 vcc_lo, exec_lo, s1
	s_cbranch_vccz .LBB126_1218
.LBB126_1214:
	s_and_b32 s1, s0, 0x7fffffff
	s_delay_alu instid0(SALU_CYCLE_1)
	s_cmp_gt_u32 s1, 0x477fffff
	s_cbranch_scc1 .LBB126_1219
.LBB126_1215:
	s_cmp_lt_u32 s1, 0x38800000
	s_cbranch_scc1 .LBB126_1220
; %bb.1216:
	s_bfe_u32 s16, s0, 0x10015
	s_delay_alu instid0(SALU_CYCLE_1) | instskip(NEXT) | instid1(SALU_CYCLE_1)
	s_add_i32 s16, s0, s16
	s_add_i32 s16, s16, 0x80fffff
	s_delay_alu instid0(SALU_CYCLE_1)
	s_lshr_b32 s17, s16, 21
	s_mov_b32 s16, 0
	s_branch .LBB126_1221
.LBB126_1217:
	s_and_not1_b32 vcc_lo, exec_lo, s1
	s_cbranch_vccnz .LBB126_1214
.LBB126_1218:
	s_mov_b32 s0, s2
	s_delay_alu instid0(SALU_CYCLE_1) | instskip(NEXT) | instid1(SALU_CYCLE_1)
	s_and_b32 s1, s0, 0x7fffffff
	s_cmp_gt_u32 s1, 0x477fffff
	s_cbranch_scc0 .LBB126_1215
.LBB126_1219:
	s_mov_b32 s16, -1
                                        ; implicit-def: $vgpr0
	s_branch .LBB126_1224
.LBB126_1220:
	s_mov_b32 s16, -1
                                        ; implicit-def: $sgpr17
.LBB126_1221:
	v_mov_b32_e32 v0, s17
	s_and_not1_b32 vcc_lo, exec_lo, s16
	s_cbranch_vccnz .LBB126_1223
; %bb.1222:
	v_add_f32_e64 v0, 0x43000000, |s0|
.LBB126_1223:
	s_mov_b32 s16, 0
.LBB126_1224:
	s_delay_alu instid0(SALU_CYCLE_1)
	s_and_not1_b32 vcc_lo, exec_lo, s16
	s_cbranch_vccnz .LBB126_1226
; %bb.1225:
	s_cmp_gt_u32 s1, 0x7f800000
	s_movk_i32 s1, 0x7f
	s_delay_alu instid0(SALU_CYCLE_1) | instskip(NEXT) | instid1(SALU_CYCLE_1)
	s_cselect_b32 s1, s1, 0x7c
	v_mov_b32_e32 v0, s1
.LBB126_1226:
	s_lshr_b32 s0, s0, 24
	s_delay_alu instid0(SALU_CYCLE_1)
	s_and_b32 s0, s0, 0x80
	s_delay_alu instid0(VALU_DEP_1) | instid1(SALU_CYCLE_1)
	v_or_b32_e32 v0, s0, v0
	global_store_b8 v[10:11], v0, off
.LBB126_1227:
	s_mov_b32 s1, 0
	s_mov_b32 s0, -1
.LBB126_1228:
	s_and_not1_b32 vcc_lo, exec_lo, s1
	s_cbranch_vccnz .LBB126_1256
; %bb.1229:
	v_cmp_lt_i16_e32 vcc_lo, 14, v12
	s_mov_b32 s1, -1
	s_cbranch_vccz .LBB126_1243
; %bb.1230:
	v_cmp_eq_u16_e32 vcc_lo, 15, v12
	s_mov_b32 s14, -1
	s_cbranch_vccz .LBB126_1242
; %bb.1231:
	v_and_b32_e64 v0, 0xff, s7
	s_delay_alu instid0(VALU_DEP_1)
	v_cmp_gt_i16_e32 vcc_lo, 0x80, v0
	s_cbranch_vccnz .LBB126_1234
; %bb.1232:
	v_cmp_eq_u16_e32 vcc_lo, 0x80, v0
	s_cbranch_vccz .LBB126_1235
; %bb.1233:
	s_mov_b32 s1, 0
	s_mov_b32 s0, 0x7f800001
	s_branch .LBB126_1236
.LBB126_1234:
	s_mov_b32 s1, 0
                                        ; implicit-def: $sgpr0
	s_branch .LBB126_1237
.LBB126_1235:
                                        ; implicit-def: $sgpr0
.LBB126_1236:
	s_mov_b32 s14, 0
.LBB126_1237:
	s_delay_alu instid0(SALU_CYCLE_1)
	s_and_b32 vcc_lo, exec_lo, s14
	s_cbranch_vccz .LBB126_1239
; %bb.1238:
	v_cmp_ne_u16_e64 s1, 0, v0
	s_mov_b32 s0, 0
.LBB126_1239:
	s_delay_alu instid0(VALU_DEP_1)
	s_and_not1_b32 vcc_lo, exec_lo, s1
	s_cbranch_vccnz .LBB126_1241
; %bb.1240:
	s_mov_b32 s0, s2
.LBB126_1241:
	s_delay_alu instid0(SALU_CYCLE_1) | instskip(SKIP_4) | instid1(SALU_CYCLE_1)
	s_bfe_u32 s1, s0, 0x10010
	s_mov_b32 s14, 0
	s_add_i32 s1, s0, s1
	v_cmp_o_f32_e64 s0, s0, s0
	s_addk_i32 s1, 0x7fff
	s_lshr_b32 s1, s1, 16
	s_delay_alu instid0(VALU_DEP_1) | instskip(SKIP_1) | instid1(SALU_CYCLE_1)
	s_and_b32 s0, s0, exec_lo
	s_cselect_b32 s0, s1, 0x7fc0
	v_mov_b32_e32 v0, s0
	s_mov_b32 s0, -1
	global_store_b16 v[10:11], v0, off
.LBB126_1242:
	s_mov_b32 s1, 0
.LBB126_1243:
	s_delay_alu instid0(SALU_CYCLE_1)
	s_and_b32 vcc_lo, exec_lo, s1
	s_cbranch_vccz .LBB126_1256
; %bb.1244:
	v_cmp_eq_u16_e32 vcc_lo, 11, v12
	s_mov_b32 s14, -1
	s_cbranch_vccz .LBB126_1256
; %bb.1245:
	v_and_b32_e64 v0, 0xff, s7
	s_delay_alu instid0(VALU_DEP_1)
	v_cmp_gt_i16_e32 vcc_lo, 0x80, v0
	s_cbranch_vccnz .LBB126_1248
; %bb.1246:
	v_cmp_eq_u16_e32 vcc_lo, 0x80, v0
	s_cbranch_vccz .LBB126_1249
; %bb.1247:
	s_mov_b32 s1, 0
	s_mov_b32 s0, -1
	s_branch .LBB126_1250
.LBB126_1248:
	s_mov_b32 s1, 0
                                        ; implicit-def: $sgpr0
	s_branch .LBB126_1251
.LBB126_1249:
	s_mov_b32 s1, -1
                                        ; implicit-def: $sgpr0
.LBB126_1250:
	s_mov_b32 s14, 0
.LBB126_1251:
	s_delay_alu instid0(SALU_CYCLE_1)
	s_and_b32 vcc_lo, exec_lo, s14
	s_cbranch_vccz .LBB126_1253
; %bb.1252:
	v_cmp_ne_u16_e64 s1, 0, v0
	s_mov_b32 s0, 0
.LBB126_1253:
	s_delay_alu instid0(VALU_DEP_1)
	s_and_not1_b32 vcc_lo, exec_lo, s1
	s_cbranch_vccnz .LBB126_1255
; %bb.1254:
	s_mov_b32 s0, s9
.LBB126_1255:
	s_delay_alu instid0(SALU_CYCLE_1)
	v_cndmask_b32_e64 v0, 0, 1, s0
	s_mov_b32 s0, -1
	s_mov_b32 s14, 0
	global_store_b8 v[10:11], v0, off
.LBB126_1256:
	s_branch .LBB126_340
.LBB126_1257:
	v_cmp_gt_i16_e32 vcc_lo, 5, v12
	s_mov_b32 s0, -1
	s_cbranch_vccnz .LBB126_1338
; %bb.1258:
	v_cmp_gt_i16_e32 vcc_lo, 8, v12
	s_cbranch_vccnz .LBB126_1298
; %bb.1259:
	v_cmp_gt_i16_e32 vcc_lo, 9, v12
	s_cbranch_vccnz .LBB126_1285
; %bb.1260:
	v_cmp_lt_i16_e32 vcc_lo, 9, v12
	s_cbranch_vccz .LBB126_1272
; %bb.1261:
	v_and_b32_e64 v0, 0xff, s7
	s_delay_alu instid0(VALU_DEP_1)
	v_cmp_gt_i16_e32 vcc_lo, 0x80, v0
	s_cbranch_vccnz .LBB126_1264
; %bb.1262:
	v_cmp_eq_u16_e32 vcc_lo, 0x80, v0
	s_cbranch_vccz .LBB126_1265
; %bb.1263:
	s_mov_b32 s16, 0
	s_mov_b32 s1, 0x7ff80000
	s_brev_b32 s0, 4
	s_branch .LBB126_1266
.LBB126_1264:
	s_mov_b32 s17, -1
	s_mov_b32 s16, 0
                                        ; implicit-def: $sgpr0_sgpr1
	s_branch .LBB126_1267
.LBB126_1265:
	s_mov_b32 s16, -1
                                        ; implicit-def: $sgpr0_sgpr1
.LBB126_1266:
	s_mov_b32 s17, 0
.LBB126_1267:
	s_delay_alu instid0(SALU_CYCLE_1)
	s_and_b32 vcc_lo, exec_lo, s17
	s_cbranch_vccz .LBB126_1269
; %bb.1268:
	v_cmp_ne_u16_e64 s16, 0, v0
	s_mov_b64 s[0:1], 0
.LBB126_1269:
	s_delay_alu instid0(SALU_CYCLE_1) | instskip(NEXT) | instid1(VALU_DEP_2)
	v_dual_mov_b32 v0, s0 :: v_dual_mov_b32 v1, s1
	s_and_not1_b32 vcc_lo, exec_lo, s16
	s_cbranch_vccnz .LBB126_1271
; %bb.1270:
	v_dual_mov_b32 v0, v6 :: v_dual_mov_b32 v1, v7
.LBB126_1271:
	v_mov_b32_e32 v2, 0
	s_mov_b32 s0, 0
	s_delay_alu instid0(VALU_DEP_1)
	v_mov_b32_e32 v3, v2
	global_store_b128 v[10:11], v[0:3], off
.LBB126_1272:
	s_and_b32 vcc_lo, exec_lo, s0
	s_cbranch_vccz .LBB126_1284
; %bb.1273:
	v_and_b32_e64 v1, 0xff, s7
	s_delay_alu instid0(VALU_DEP_1)
	v_cmp_gt_i16_e32 vcc_lo, 0x80, v1
	s_cbranch_vccnz .LBB126_1276
; %bb.1274:
	v_cmp_eq_u16_e32 vcc_lo, 0x80, v1
	s_cbranch_vccz .LBB126_1277
; %bb.1275:
	s_mov_b32 s0, 0
	s_mov_b32 s1, 0x7f800001
	s_branch .LBB126_1278
.LBB126_1276:
	s_mov_b32 s16, -1
	s_mov_b32 s0, 0
                                        ; implicit-def: $sgpr1
	s_branch .LBB126_1279
.LBB126_1277:
	s_mov_b32 s0, -1
                                        ; implicit-def: $sgpr1
.LBB126_1278:
	s_mov_b32 s16, 0
.LBB126_1279:
	v_mov_b32_e32 v0, s1
	s_and_b32 vcc_lo, exec_lo, s16
	s_cbranch_vccz .LBB126_1281
; %bb.1280:
	v_and_b32_e32 v0, 0xffff, v1
	v_cmp_ne_u16_e64 s0, 0, v1
.LBB126_1281:
	s_delay_alu instid0(VALU_DEP_1)
	s_and_not1_b32 vcc_lo, exec_lo, s0
	s_cbranch_vccnz .LBB126_1283
; %bb.1282:
	v_mov_b32_e32 v0, s2
.LBB126_1283:
	v_mov_b32_e32 v1, 0
	global_store_b64 v[10:11], v[0:1], off
.LBB126_1284:
	s_mov_b32 s0, 0
.LBB126_1285:
	s_delay_alu instid0(SALU_CYCLE_1)
	s_and_not1_b32 vcc_lo, exec_lo, s0
	s_cbranch_vccnz .LBB126_1297
; %bb.1286:
	v_and_b32_e64 v0, 0xff, s7
	s_delay_alu instid0(VALU_DEP_1)
	v_cmp_gt_i16_e32 vcc_lo, 0x80, v0
	s_cbranch_vccnz .LBB126_1289
; %bb.1287:
	v_cmp_eq_u16_e32 vcc_lo, 0x80, v0
	s_cbranch_vccz .LBB126_1290
; %bb.1288:
	s_mov_b32 s0, 0
	s_movk_i32 s1, 0x7e00
	s_branch .LBB126_1291
.LBB126_1289:
	s_mov_b32 s16, -1
	s_mov_b32 s0, 0
                                        ; implicit-def: $sgpr1
	s_branch .LBB126_1292
.LBB126_1290:
	s_mov_b32 s0, -1
                                        ; implicit-def: $sgpr1
.LBB126_1291:
	s_mov_b32 s16, 0
.LBB126_1292:
	v_mov_b32_e32 v1, s1
	s_and_b32 vcc_lo, exec_lo, s16
	s_cbranch_vccz .LBB126_1294
; %bb.1293:
	v_and_b32_e32 v1, 0xffff, v0
	v_cmp_ne_u16_e64 s0, 0, v0
.LBB126_1294:
	s_delay_alu instid0(VALU_DEP_1)
	s_and_not1_b32 vcc_lo, exec_lo, s0
	s_cbranch_vccnz .LBB126_1296
; %bb.1295:
	v_mov_b32_e32 v1, v15
.LBB126_1296:
	global_store_b32 v[10:11], v1, off
.LBB126_1297:
	s_mov_b32 s0, 0
.LBB126_1298:
	s_delay_alu instid0(SALU_CYCLE_1)
	s_and_not1_b32 vcc_lo, exec_lo, s0
	s_cbranch_vccnz .LBB126_1337
; %bb.1299:
	v_cmp_gt_i16_e32 vcc_lo, 6, v12
	s_mov_b32 s0, -1
	s_cbranch_vccnz .LBB126_1325
; %bb.1300:
	v_cmp_lt_i16_e32 vcc_lo, 6, v12
	s_cbranch_vccz .LBB126_1312
; %bb.1301:
	v_and_b32_e64 v0, 0xff, s7
	s_delay_alu instid0(VALU_DEP_1)
	v_cmp_gt_i16_e32 vcc_lo, 0x80, v0
	s_cbranch_vccnz .LBB126_1304
; %bb.1302:
	v_cmp_eq_u16_e32 vcc_lo, 0x80, v0
	s_cbranch_vccz .LBB126_1305
; %bb.1303:
	s_mov_b32 s16, 0
	s_mov_b32 s1, 0x7ff80000
	s_brev_b32 s0, 4
	s_branch .LBB126_1306
.LBB126_1304:
	s_mov_b32 s17, -1
	s_mov_b32 s16, 0
                                        ; implicit-def: $sgpr0_sgpr1
	s_branch .LBB126_1307
.LBB126_1305:
	s_mov_b32 s16, -1
                                        ; implicit-def: $sgpr0_sgpr1
.LBB126_1306:
	s_mov_b32 s17, 0
.LBB126_1307:
	s_delay_alu instid0(SALU_CYCLE_1)
	s_and_b32 vcc_lo, exec_lo, s17
	s_cbranch_vccz .LBB126_1309
; %bb.1308:
	v_cmp_ne_u16_e64 s16, 0, v0
	s_mov_b64 s[0:1], 0
.LBB126_1309:
	s_delay_alu instid0(SALU_CYCLE_1) | instskip(NEXT) | instid1(VALU_DEP_2)
	v_dual_mov_b32 v0, s0 :: v_dual_mov_b32 v1, s1
	s_and_not1_b32 vcc_lo, exec_lo, s16
	s_cbranch_vccnz .LBB126_1311
; %bb.1310:
	v_dual_mov_b32 v0, v6 :: v_dual_mov_b32 v1, v7
.LBB126_1311:
	s_mov_b32 s0, 0
	global_store_b64 v[10:11], v[0:1], off
.LBB126_1312:
	s_and_b32 vcc_lo, exec_lo, s0
	s_cbranch_vccz .LBB126_1324
; %bb.1313:
	v_and_b32_e64 v0, 0xff, s7
	s_delay_alu instid0(VALU_DEP_1)
	v_cmp_gt_i16_e32 vcc_lo, 0x80, v0
	s_cbranch_vccnz .LBB126_1316
; %bb.1314:
	v_cmp_eq_u16_e32 vcc_lo, 0x80, v0
	s_cbranch_vccz .LBB126_1317
; %bb.1315:
	s_mov_b32 s1, 0
	s_mov_b32 s0, 0x7f800001
	s_branch .LBB126_1318
.LBB126_1316:
	s_mov_b32 s16, -1
	s_mov_b32 s1, 0
                                        ; implicit-def: $sgpr0
	s_branch .LBB126_1319
.LBB126_1317:
	s_mov_b32 s1, -1
                                        ; implicit-def: $sgpr0
.LBB126_1318:
	s_mov_b32 s16, 0
.LBB126_1319:
	s_delay_alu instid0(SALU_CYCLE_1)
	s_and_b32 vcc_lo, exec_lo, s16
	s_cbranch_vccz .LBB126_1321
; %bb.1320:
	v_cmp_ne_u16_e64 s1, 0, v0
	s_mov_b32 s0, 0
.LBB126_1321:
	s_delay_alu instid0(VALU_DEP_1)
	s_and_not1_b32 vcc_lo, exec_lo, s1
	s_cbranch_vccnz .LBB126_1323
; %bb.1322:
	s_mov_b32 s0, s2
.LBB126_1323:
	s_delay_alu instid0(SALU_CYCLE_1)
	v_mov_b32_e32 v0, s0
	global_store_b32 v[10:11], v0, off
.LBB126_1324:
	s_mov_b32 s0, 0
.LBB126_1325:
	s_delay_alu instid0(SALU_CYCLE_1)
	s_and_not1_b32 vcc_lo, exec_lo, s0
	s_cbranch_vccnz .LBB126_1337
; %bb.1326:
	v_and_b32_e64 v0, 0xff, s7
	s_delay_alu instid0(VALU_DEP_1)
	v_cmp_gt_i16_e32 vcc_lo, 0x80, v0
	s_cbranch_vccnz .LBB126_1329
; %bb.1327:
	v_cmp_eq_u16_e32 vcc_lo, 0x80, v0
	s_cbranch_vccz .LBB126_1330
; %bb.1328:
	s_mov_b32 s0, 0
	s_movk_i32 s1, 0x7e00
	s_branch .LBB126_1331
.LBB126_1329:
	s_mov_b32 s16, -1
	s_mov_b32 s0, 0
                                        ; implicit-def: $sgpr1
	s_branch .LBB126_1332
.LBB126_1330:
	s_mov_b32 s0, -1
                                        ; implicit-def: $sgpr1
.LBB126_1331:
	s_mov_b32 s16, 0
.LBB126_1332:
	v_mov_b32_e32 v1, s1
	s_and_b32 vcc_lo, exec_lo, s16
	s_cbranch_vccz .LBB126_1334
; %bb.1333:
	v_cmp_ne_u16_e64 s0, 0, v0
	v_mov_b32_e32 v1, v0
.LBB126_1334:
	s_delay_alu instid0(VALU_DEP_2)
	s_and_not1_b32 vcc_lo, exec_lo, s0
	s_cbranch_vccnz .LBB126_1336
; %bb.1335:
	v_mov_b32_e32 v1, v14
.LBB126_1336:
	global_store_b16 v[10:11], v1, off
.LBB126_1337:
	s_mov_b32 s0, 0
.LBB126_1338:
	s_delay_alu instid0(SALU_CYCLE_1)
	s_and_not1_b32 vcc_lo, exec_lo, s0
	s_cbranch_vccnz .LBB126_1389
; %bb.1339:
	v_cmp_gt_i16_e32 vcc_lo, 2, v12
	s_mov_b32 s0, -1
	s_cbranch_vccnz .LBB126_1370
; %bb.1340:
	v_cmp_gt_i16_e32 vcc_lo, 3, v12
	s_cbranch_vccnz .LBB126_1360
; %bb.1341:
	v_cmp_lt_i16_e32 vcc_lo, 3, v12
	s_cbranch_vccz .LBB126_1350
; %bb.1342:
	v_and_b32_e64 v0, 0xff, s7
	s_delay_alu instid0(VALU_DEP_1)
	v_cmp_gt_i16_e32 vcc_lo, 0x80, v0
	s_cbranch_vccnz .LBB126_1344
; %bb.1343:
	v_cmp_ne_u16_e64 s16, 0x80, v0
	s_mov_b32 s17, 0
	s_mov_b64 s[0:1], 0
	s_branch .LBB126_1345
.LBB126_1344:
	s_mov_b32 s17, -1
	s_mov_b32 s16, 0
                                        ; implicit-def: $sgpr0_sgpr1
.LBB126_1345:
	s_and_not1_b32 vcc_lo, exec_lo, s17
	s_cbranch_vccnz .LBB126_1347
; %bb.1346:
	v_cmp_ne_u16_e64 s16, 0, v0
	s_mov_b64 s[0:1], 0
.LBB126_1347:
	s_delay_alu instid0(SALU_CYCLE_1) | instskip(NEXT) | instid1(VALU_DEP_2)
	v_dual_mov_b32 v0, s0 :: v_dual_mov_b32 v1, s1
	s_and_not1_b32 vcc_lo, exec_lo, s16
	s_cbranch_vccnz .LBB126_1349
; %bb.1348:
	v_dual_mov_b32 v0, v4 :: v_dual_mov_b32 v1, v5
.LBB126_1349:
	s_mov_b32 s0, 0
	global_store_b64 v[10:11], v[0:1], off
.LBB126_1350:
	s_and_b32 vcc_lo, exec_lo, s0
	s_cbranch_vccz .LBB126_1359
; %bb.1351:
	v_and_b32_e64 v0, 0xff, s7
	s_delay_alu instid0(VALU_DEP_1)
	v_cmp_gt_i16_e32 vcc_lo, 0x80, v0
	s_cbranch_vccnz .LBB126_1353
; %bb.1352:
	v_cmp_ne_u16_e64 s0, 0x80, v0
	s_mov_b32 s16, 0
	s_mov_b32 s1, 0
	s_branch .LBB126_1354
.LBB126_1353:
	s_mov_b32 s16, -1
	s_mov_b32 s0, 0
                                        ; implicit-def: $sgpr1
.LBB126_1354:
	s_and_not1_b32 vcc_lo, exec_lo, s16
	s_cbranch_vccnz .LBB126_1356
; %bb.1355:
	v_cmp_ne_u16_e64 s0, 0, v0
	s_mov_b32 s1, 0
.LBB126_1356:
	s_delay_alu instid0(SALU_CYCLE_1) | instskip(NEXT) | instid1(VALU_DEP_2)
	v_mov_b32_e32 v0, s1
	s_and_not1_b32 vcc_lo, exec_lo, s0
	s_cbranch_vccnz .LBB126_1358
; %bb.1357:
	v_mov_b32_e32 v0, v13
.LBB126_1358:
	global_store_b32 v[10:11], v0, off
.LBB126_1359:
	s_mov_b32 s0, 0
.LBB126_1360:
	s_delay_alu instid0(SALU_CYCLE_1)
	s_and_not1_b32 vcc_lo, exec_lo, s0
	s_cbranch_vccnz .LBB126_1369
; %bb.1361:
	v_and_b32_e64 v0, 0xff, s7
	s_delay_alu instid0(VALU_DEP_1)
	v_cmp_gt_i16_e32 vcc_lo, 0x80, v0
	s_cbranch_vccnz .LBB126_1363
; %bb.1362:
	v_cmp_ne_u16_e64 s0, 0x80, v0
	s_mov_b32 s16, 0
	s_mov_b32 s1, 0
	s_branch .LBB126_1364
.LBB126_1363:
	s_mov_b32 s16, -1
	s_mov_b32 s0, 0
                                        ; implicit-def: $sgpr1
.LBB126_1364:
	s_and_not1_b32 vcc_lo, exec_lo, s16
	s_cbranch_vccnz .LBB126_1366
; %bb.1365:
	v_cmp_ne_u16_e64 s0, 0, v0
	s_mov_b32 s1, 0
.LBB126_1366:
	s_delay_alu instid0(SALU_CYCLE_1) | instskip(NEXT) | instid1(VALU_DEP_2)
	v_mov_b32_e32 v0, s1
	s_and_not1_b32 vcc_lo, exec_lo, s0
	s_cbranch_vccnz .LBB126_1368
; %bb.1367:
	v_mov_b32_e32 v0, v13
.LBB126_1368:
	global_store_b16 v[10:11], v0, off
.LBB126_1369:
	s_mov_b32 s0, 0
.LBB126_1370:
	s_delay_alu instid0(SALU_CYCLE_1)
	s_and_not1_b32 vcc_lo, exec_lo, s0
	s_cbranch_vccnz .LBB126_1389
; %bb.1371:
	v_cmp_lt_i16_e32 vcc_lo, 0, v12
	s_mov_b32 s0, 0
	s_mov_b32 s1, -1
	s_cbranch_vccz .LBB126_1380
; %bb.1372:
	v_and_b32_e64 v0, 0xff, s7
	s_delay_alu instid0(VALU_DEP_1)
	v_cmp_gt_i16_e32 vcc_lo, 0x80, v0
	s_cbranch_vccnz .LBB126_1374
; %bb.1373:
	v_cmp_ne_u16_e64 s0, 0x80, v0
	s_mov_b32 s16, 0
	s_mov_b32 s1, 0
	s_branch .LBB126_1375
.LBB126_1374:
	s_mov_b32 s16, -1
                                        ; implicit-def: $sgpr1
.LBB126_1375:
	s_delay_alu instid0(SALU_CYCLE_1)
	s_and_not1_b32 vcc_lo, exec_lo, s16
	s_cbranch_vccnz .LBB126_1377
; %bb.1376:
	v_cmp_ne_u16_e64 s0, 0, v0
	s_mov_b32 s1, 0
.LBB126_1377:
	s_delay_alu instid0(SALU_CYCLE_1) | instskip(NEXT) | instid1(VALU_DEP_2)
	v_mov_b32_e32 v0, s1
	s_and_not1_b32 vcc_lo, exec_lo, s0
	s_cbranch_vccnz .LBB126_1379
; %bb.1378:
	v_mov_b32_e32 v0, v13
.LBB126_1379:
	s_mov_b32 s1, 0
	global_store_b8 v[10:11], v0, off
.LBB126_1380:
	s_and_b32 vcc_lo, exec_lo, s1
	s_cbranch_vccz .LBB126_1389
; %bb.1381:
	v_and_b32_e64 v0, 0xff, s7
	s_delay_alu instid0(VALU_DEP_1)
	v_cmp_gt_i16_e32 vcc_lo, 0x80, v0
	s_cbranch_vccnz .LBB126_1383
; %bb.1382:
	v_cmp_ne_u16_e64 s0, 0x80, v0
	s_mov_b32 s16, 0
	s_mov_b32 s1, 0
	s_branch .LBB126_1384
.LBB126_1383:
	s_mov_b32 s16, -1
	s_mov_b32 s0, 0
                                        ; implicit-def: $sgpr1
.LBB126_1384:
	s_and_not1_b32 vcc_lo, exec_lo, s16
	s_cbranch_vccnz .LBB126_1386
; %bb.1385:
	v_cmp_ne_u16_e64 s0, 0, v0
	s_mov_b32 s1, 0
.LBB126_1386:
	s_delay_alu instid0(SALU_CYCLE_1) | instskip(NEXT) | instid1(VALU_DEP_2)
	v_mov_b32_e32 v0, s1
	s_and_not1_b32 vcc_lo, exec_lo, s0
	s_cbranch_vccnz .LBB126_1388
; %bb.1387:
	v_mov_b32_e32 v0, v4
.LBB126_1388:
	global_store_b8 v[10:11], v0, off
.LBB126_1389:
	s_branch .LBB126_341
.LBB126_1390:
	s_mov_b32 s0, 0
                                        ; implicit-def: $vgpr17
.LBB126_1391:
	s_and_not1_b32 s1, s12, exec_lo
	s_and_b32 s14, s14, exec_lo
	s_or_not1_b32 s0, s0, exec_lo
	s_or_b32 s14, s1, s14
.LBB126_1392:
	s_or_b32 exec_lo, exec_lo, s15
	s_mov_b32 s1, 0
	s_mov_b32 s16, 0
                                        ; implicit-def: $vgpr10_vgpr11
	s_and_saveexec_b32 s15, s0
	s_cbranch_execz .LBB126_2472
; %bb.1393:
	s_mov_b32 s18, -1
	s_mov_b32 s17, s14
	s_mov_b32 s16, exec_lo
	v_cmpx_gt_i32_e64 s11, v17
	s_cbranch_execz .LBB126_2160
; %bb.1394:
	v_mul_lo_u32 v0, v17, s6
	v_cmp_gt_i16_e32 vcc_lo, 11, v12
	s_delay_alu instid0(VALU_DEP_2) | instskip(SKIP_1) | instid1(VALU_DEP_1)
	v_ashrrev_i32_e32 v1, 31, v0
	v_add_co_u32 v10, s0, s4, v0
	v_add_co_ci_u32_e64 v11, s0, s5, v1, s0
	s_cbranch_vccnz .LBB126_1403
; %bb.1395:
	v_cmp_lt_i16_e32 vcc_lo, 25, v12
	s_cbranch_vccz .LBB126_1404
; %bb.1396:
	v_cmp_lt_i16_e32 vcc_lo, 28, v12
	s_cbranch_vccz .LBB126_1405
	;; [unrolled: 3-line block ×4, first 2 shown]
; %bb.1399:
	v_cmp_eq_u16_e32 vcc_lo, 46, v12
	s_mov_b32 s17, -1
	s_mov_b32 s0, 0
	s_cbranch_vccz .LBB126_1872
; %bb.1400:
	v_and_b32_e64 v0, 0xff, s7
	s_delay_alu instid0(VALU_DEP_1)
	v_cmp_gt_i16_e32 vcc_lo, 0x80, v0
	s_cbranch_vccnz .LBB126_1408
; %bb.1401:
	v_cmp_eq_u16_e32 vcc_lo, 0x80, v0
	s_cbranch_vccz .LBB126_1865
; %bb.1402:
	s_mov_b32 s17, 0
	s_mov_b32 s0, 0x7f800001
	s_branch .LBB126_1866
.LBB126_1403:
	s_mov_b32 s1, -1
	s_mov_b32 s0, 0
	s_mov_b32 s17, s14
	s_branch .LBB126_2022
.LBB126_1404:
	s_mov_b32 s1, -1
	s_mov_b32 s0, 0
	s_mov_b32 s17, s14
	s_branch .LBB126_1942
.LBB126_1405:
	s_mov_b32 s1, -1
	s_mov_b32 s0, 0
	s_mov_b32 s17, s14
	s_branch .LBB126_1899
.LBB126_1406:
	s_mov_b32 s1, -1
	s_mov_b32 s0, 0
	s_mov_b32 s17, s14
	s_branch .LBB126_1886
.LBB126_1407:
	s_mov_b32 s1, -1
	s_mov_b32 s0, 0
	s_mov_b32 s17, s14
	s_branch .LBB126_1872
.LBB126_1408:
	s_mov_b32 s17, 0
                                        ; implicit-def: $sgpr0
	s_branch .LBB126_1867
.LBB126_1409:
	s_mov_b32 s1, -1
                                        ; implicit-def: $sgpr0
.LBB126_1410:
	s_mov_b32 s11, 0
.LBB126_1411:
	s_delay_alu instid0(SALU_CYCLE_1)
	s_and_b32 vcc_lo, exec_lo, s11
	s_cbranch_vccz .LBB126_1413
; %bb.1412:
	v_cmp_ne_u16_e64 s1, 0, v0
	s_mov_b32 s0, 0
.LBB126_1413:
	s_delay_alu instid0(VALU_DEP_1)
	s_and_not1_b32 vcc_lo, exec_lo, s1
	s_cbranch_vccnz .LBB126_1415
; %bb.1414:
	v_lshrrev_b16 v0, 2, s7
	s_and_b32 s0, s7, 3
	s_lshl_b32 s13, s7, 24
	s_clz_i32_u32 s1, s0
	s_delay_alu instid0(SALU_CYCLE_1) | instskip(SKIP_4) | instid1(VALU_DEP_1)
	s_min_u32 s1, s1, 32
	v_readfirstlane_b32 s11, v0
	s_sub_i32 s12, s1, 29
	s_sub_i32 s1, 30, s1
	s_lshl_b32 s12, s7, s12
	s_and_b32 s11, s11, 31
	s_and_b32 s12, s12, 3
	s_cmp_eq_u32 s11, 0
	s_cselect_b32 s1, s1, s11
	s_cselect_b32 s0, s12, s0
	s_lshl_b32 s1, s1, 23
	s_and_b32 s11, s13, 0x80000000
	s_add_i32 s1, s1, 0x37800000
	s_lshl_b32 s0, s0, 21
	s_or_b32 s1, s11, s1
	s_delay_alu instid0(SALU_CYCLE_1)
	s_or_b32 s0, s1, s0
.LBB126_1415:
	s_delay_alu instid0(SALU_CYCLE_1) | instskip(NEXT) | instid1(SALU_CYCLE_1)
	s_bfe_u32 s1, s0, 0x10010
	s_add_i32 s1, s0, s1
	v_cmp_o_f32_e64 s0, s0, s0
	s_addk_i32 s1, 0x7fff
	s_delay_alu instid0(SALU_CYCLE_1) | instskip(NEXT) | instid1(VALU_DEP_1)
	s_lshr_b32 s1, s1, 16
	s_and_b32 s0, s0, exec_lo
	s_cselect_b32 s0, s1, 0x7fc0
	s_mov_b32 s1, -1
	v_mov_b32_e32 v0, s0
	s_mov_b32 s0, 0
	global_store_b32 v[4:5], v0, off
.LBB126_1416:
	s_and_b32 vcc_lo, exec_lo, s10
	s_cbranch_vccz .LBB126_1429
; %bb.1417:
	v_cmp_eq_u16_e32 vcc_lo, 44, v12
	s_mov_b32 s0, -1
	s_cbranch_vccz .LBB126_1429
; %bb.1418:
	v_and_b32_e64 v0, 0xff, s7
	s_delay_alu instid0(VALU_DEP_1)
	v_cmp_gt_i16_e32 vcc_lo, 0x80, v0
	v_readfirstlane_b32 s1, v0
	s_cbranch_vccnz .LBB126_1421
; %bb.1419:
	s_delay_alu instid0(VALU_DEP_1) | instskip(NEXT) | instid1(VALU_DEP_1)
	v_cmp_eq_u16_e64 s0, 0x80, s1
	s_and_b32 vcc_lo, exec_lo, s0
	s_cbranch_vccz .LBB126_1422
; %bb.1420:
	s_mov_b32 s10, 0
	s_mov_b32 s0, 0x7f800001
	s_branch .LBB126_1423
.LBB126_1421:
	s_mov_b32 s11, -1
	s_mov_b32 s10, 0
                                        ; implicit-def: $sgpr0
	s_branch .LBB126_1424
.LBB126_1422:
	s_mov_b32 s10, -1
                                        ; implicit-def: $sgpr0
.LBB126_1423:
	s_mov_b32 s11, 0
.LBB126_1424:
	s_delay_alu instid0(SALU_CYCLE_1)
	s_and_b32 vcc_lo, exec_lo, s11
	s_cbranch_vccz .LBB126_1434
; %bb.1425:
	v_cmp_ne_u16_e64 s10, s1, 0
	s_and_b32 s0, 0xffff, s1
	s_delay_alu instid0(VALU_DEP_1)
	s_and_not1_b32 vcc_lo, exec_lo, s10
	s_cbranch_vccz .LBB126_1435
.LBB126_1426:
	v_mov_b32_e32 v0, 0xff
	s_bfe_u32 s1, s0, 0x80017
	s_delay_alu instid0(SALU_CYCLE_1)
	s_cmpk_eq_i32 s1, 0xff
	s_cbranch_scc1 .LBB126_1428
.LBB126_1427:
	s_lshr_b32 s10, s0, 23
	s_bitcmp1_b32 s0, 22
	s_cselect_b32 s11, -1, 0
	s_and_b32 s0, s0, 0x3fffff
	s_delay_alu instid0(SALU_CYCLE_1) | instskip(NEXT) | instid1(SALU_CYCLE_1)
	s_or_b32 s0, s1, s0
	s_cmp_lg_u32 s0, 0
	s_cselect_b32 s0, -1, 0
	s_delay_alu instid0(SALU_CYCLE_1) | instskip(NEXT) | instid1(SALU_CYCLE_1)
	s_and_b32 s0, s11, s0
	v_cndmask_b32_e64 v0, 0, 1, s0
	s_delay_alu instid0(VALU_DEP_1)
	v_add_nc_u32_e32 v0, s10, v0
.LBB126_1428:
	s_mov_b32 s0, 0
	s_mov_b32 s1, -1
	global_store_b8 v[4:5], v0, off
.LBB126_1429:
	s_mov_b32 s10, 0
.LBB126_1430:
	s_delay_alu instid0(SALU_CYCLE_1)
	s_and_b32 vcc_lo, exec_lo, s10
	s_cbranch_vccz .LBB126_1442
; %bb.1431:
	v_cmp_eq_u16_e32 vcc_lo, 29, v12
	s_mov_b32 s0, -1
	s_cbranch_vccz .LBB126_1442
; %bb.1432:
	v_and_b32_e64 v0, 0xff, s7
	s_delay_alu instid0(VALU_DEP_1)
	v_cmp_gt_i16_e32 vcc_lo, 0x80, v0
	s_cbranch_vccnz .LBB126_1436
; %bb.1433:
	v_cmp_ne_u16_e64 s10, 0x80, v0
	s_mov_b32 s11, 0
	s_mov_b64 s[0:1], 0
	s_branch .LBB126_1437
.LBB126_1434:
	s_and_not1_b32 vcc_lo, exec_lo, s10
	s_cbranch_vccnz .LBB126_1426
.LBB126_1435:
	v_lshrrev_b16 v0, 2, s7
	s_and_b32 s0, s7, 3
	s_delay_alu instid0(SALU_CYCLE_1) | instskip(NEXT) | instid1(SALU_CYCLE_1)
	s_clz_i32_u32 s1, s0
	s_min_u32 s1, s1, 32
	s_delay_alu instid0(VALU_DEP_1) | instskip(SKIP_3) | instid1(VALU_DEP_1)
	v_readfirstlane_b32 s10, v0
	s_sub_i32 s11, s1, 29
	s_sub_i32 s1, 30, s1
	s_lshl_b32 s11, s7, s11
	s_and_b32 s10, s10, 31
	s_and_b32 s11, s11, 3
	s_cmp_eq_u32 s10, 0
	s_cselect_b32 s0, s11, s0
	s_cselect_b32 s1, s1, s10
	s_lshl_b32 s0, s0, 21
	s_lshl_b32 s1, s1, 23
	s_delay_alu instid0(SALU_CYCLE_1) | instskip(NEXT) | instid1(SALU_CYCLE_1)
	s_or_b32 s0, s1, s0
	s_add_i32 s0, s0, 0x37800000
	v_mov_b32_e32 v0, 0xff
	s_bfe_u32 s1, s0, 0x80017
	s_delay_alu instid0(SALU_CYCLE_1)
	s_cmpk_eq_i32 s1, 0xff
	s_cbranch_scc0 .LBB126_1427
	s_branch .LBB126_1428
.LBB126_1436:
	s_mov_b32 s11, -1
	s_mov_b32 s10, 0
                                        ; implicit-def: $sgpr0_sgpr1
.LBB126_1437:
	s_and_not1_b32 vcc_lo, exec_lo, s11
	s_cbranch_vccnz .LBB126_1439
; %bb.1438:
	v_cmp_ne_u16_e64 s10, 0, v0
	s_mov_b64 s[0:1], 0
.LBB126_1439:
	s_delay_alu instid0(SALU_CYCLE_1) | instskip(NEXT) | instid1(VALU_DEP_2)
	v_dual_mov_b32 v0, s0 :: v_dual_mov_b32 v1, s1
	s_and_not1_b32 vcc_lo, exec_lo, s10
	s_cbranch_vccnz .LBB126_1441
; %bb.1440:
	v_lshrrev_b16 v0, 2, s7
	s_and_b32 s0, s7, 3
	s_lshl_b32 s11, s7, 24
	s_clz_i32_u32 s1, s0
	s_delay_alu instid0(SALU_CYCLE_1) | instskip(SKIP_4) | instid1(VALU_DEP_1)
	s_min_u32 s1, s1, 32
	v_readfirstlane_b32 s10, v0
	s_sub_i32 s12, s1, 29
	s_sub_i32 s1, 30, s1
	s_lshl_b32 s12, s7, s12
	s_and_b32 s10, s10, 31
	s_and_b32 s12, s12, 3
	s_cmp_eq_u32 s10, 0
	s_cselect_b32 s1, s1, s10
	s_cselect_b32 s0, s12, s0
	s_lshl_b32 s1, s1, 23
	s_and_b32 s10, s11, 0x80000000
	s_add_i32 s1, s1, 0x37800000
	s_lshl_b32 s0, s0, 21
	s_or_b32 s1, s10, s1
	s_delay_alu instid0(SALU_CYCLE_1) | instskip(NEXT) | instid1(SALU_CYCLE_1)
	s_or_b32 s0, s1, s0
	v_trunc_f32_e32 v0, s0
	s_delay_alu instid0(VALU_DEP_1) | instskip(NEXT) | instid1(VALU_DEP_1)
	v_mul_f32_e32 v1, 0x2f800000, v0
	v_floor_f32_e32 v1, v1
	s_delay_alu instid0(VALU_DEP_1) | instskip(SKIP_1) | instid1(VALU_DEP_2)
	v_fmamk_f32 v0, v1, 0xcf800000, v0
	v_cvt_u32_f32_e32 v1, v1
	v_cvt_u32_f32_e32 v0, v0
.LBB126_1441:
	s_mov_b32 s0, 0
	s_mov_b32 s1, -1
	global_store_b64 v[4:5], v[0:1], off
.LBB126_1442:
	s_mov_b32 s10, 0
.LBB126_1443:
	s_delay_alu instid0(SALU_CYCLE_1)
	s_and_b32 vcc_lo, exec_lo, s10
	s_cbranch_vccz .LBB126_1485
; %bb.1444:
	v_cmp_gt_i16_e32 vcc_lo, 27, v12
	s_mov_b32 s1, -1
	s_cbranch_vccnz .LBB126_1464
; %bb.1445:
	v_cmp_lt_i16_e32 vcc_lo, 27, v12
	s_cbranch_vccz .LBB126_1454
; %bb.1446:
	v_and_b32_e64 v0, 0xff, s7
	s_delay_alu instid0(VALU_DEP_1)
	v_cmp_gt_i16_e32 vcc_lo, 0x80, v0
	s_cbranch_vccnz .LBB126_1448
; %bb.1447:
	v_cmp_ne_u16_e64 s1, 0x80, v0
	s_mov_b32 s11, 0
	s_mov_b32 s10, 0
	s_branch .LBB126_1449
.LBB126_1448:
	s_mov_b32 s11, -1
	s_mov_b32 s1, 0
                                        ; implicit-def: $sgpr10
.LBB126_1449:
	s_and_not1_b32 vcc_lo, exec_lo, s11
	s_cbranch_vccnz .LBB126_1451
; %bb.1450:
	v_cmp_ne_u16_e64 s1, 0, v0
	s_mov_b32 s10, 0
.LBB126_1451:
	s_delay_alu instid0(SALU_CYCLE_1) | instskip(NEXT) | instid1(VALU_DEP_2)
	v_mov_b32_e32 v0, s10
	s_and_not1_b32 vcc_lo, exec_lo, s1
	s_cbranch_vccnz .LBB126_1453
; %bb.1452:
	v_lshrrev_b16 v0, 2, s7
	s_and_b32 s1, s7, 3
	s_lshl_b32 s13, s7, 24
	s_clz_i32_u32 s10, s1
	s_delay_alu instid0(SALU_CYCLE_1) | instskip(SKIP_4) | instid1(VALU_DEP_1)
	s_min_u32 s10, s10, 32
	v_readfirstlane_b32 s11, v0
	s_sub_i32 s12, s10, 29
	s_sub_i32 s10, 30, s10
	s_lshl_b32 s12, s7, s12
	s_and_b32 s11, s11, 31
	s_and_b32 s12, s12, 3
	s_cmp_eq_u32 s11, 0
	s_cselect_b32 s10, s10, s11
	s_cselect_b32 s1, s12, s1
	s_lshl_b32 s10, s10, 23
	s_and_b32 s11, s13, 0x80000000
	s_add_i32 s10, s10, 0x37800000
	s_lshl_b32 s1, s1, 21
	s_or_b32 s10, s11, s10
	s_delay_alu instid0(SALU_CYCLE_1) | instskip(NEXT) | instid1(SALU_CYCLE_1)
	s_or_b32 s1, s10, s1
	v_cvt_u32_f32_e32 v0, s1
.LBB126_1453:
	s_mov_b32 s1, 0
	global_store_b32 v[4:5], v0, off
.LBB126_1454:
	s_and_b32 vcc_lo, exec_lo, s1
	s_cbranch_vccz .LBB126_1463
; %bb.1455:
	v_and_b32_e64 v0, 0xff, s7
	s_delay_alu instid0(VALU_DEP_1)
	v_cmp_gt_i16_e32 vcc_lo, 0x80, v0
	s_cbranch_vccnz .LBB126_1457
; %bb.1456:
	v_cmp_ne_u16_e64 s1, 0x80, v0
	s_mov_b32 s11, 0
	s_mov_b32 s10, 0
	s_branch .LBB126_1458
.LBB126_1457:
	s_mov_b32 s11, -1
	s_mov_b32 s1, 0
                                        ; implicit-def: $sgpr10
.LBB126_1458:
	s_and_not1_b32 vcc_lo, exec_lo, s11
	s_cbranch_vccnz .LBB126_1460
; %bb.1459:
	v_cmp_ne_u16_e64 s1, 0, v0
	s_mov_b32 s10, 0
.LBB126_1460:
	s_delay_alu instid0(SALU_CYCLE_1) | instskip(NEXT) | instid1(VALU_DEP_2)
	v_mov_b32_e32 v0, s10
	s_and_not1_b32 vcc_lo, exec_lo, s1
	s_cbranch_vccnz .LBB126_1462
; %bb.1461:
	v_lshrrev_b16 v0, 2, s7
	s_and_b32 s1, s7, 3
	s_lshl_b32 s13, s7, 24
	s_clz_i32_u32 s10, s1
	s_delay_alu instid0(SALU_CYCLE_1) | instskip(SKIP_4) | instid1(VALU_DEP_1)
	s_min_u32 s10, s10, 32
	v_readfirstlane_b32 s11, v0
	s_sub_i32 s12, s10, 29
	s_sub_i32 s10, 30, s10
	s_lshl_b32 s12, s7, s12
	s_and_b32 s11, s11, 31
	s_and_b32 s12, s12, 3
	s_cmp_eq_u32 s11, 0
	s_cselect_b32 s10, s10, s11
	s_cselect_b32 s1, s12, s1
	s_lshl_b32 s10, s10, 23
	s_and_b32 s11, s13, 0x80000000
	s_add_i32 s10, s10, 0x37800000
	s_lshl_b32 s1, s1, 21
	s_or_b32 s10, s11, s10
	s_delay_alu instid0(SALU_CYCLE_1) | instskip(NEXT) | instid1(SALU_CYCLE_1)
	s_or_b32 s1, s10, s1
	v_cvt_u32_f32_e32 v0, s1
.LBB126_1462:
	global_store_b16 v[4:5], v0, off
.LBB126_1463:
	s_mov_b32 s1, 0
.LBB126_1464:
	s_delay_alu instid0(SALU_CYCLE_1)
	s_and_not1_b32 vcc_lo, exec_lo, s1
	s_cbranch_vccnz .LBB126_1484
; %bb.1465:
	v_and_b32_e64 v0, 0xff, s7
	s_delay_alu instid0(VALU_DEP_1)
	v_cmp_gt_i16_e32 vcc_lo, 0x80, v0
	s_cbranch_vccnz .LBB126_1468
; %bb.1466:
	v_cmp_eq_u16_e32 vcc_lo, 0x80, v0
	s_cbranch_vccz .LBB126_1469
; %bb.1467:
	s_mov_b32 s10, 0
	s_mov_b32 s1, 0x7f800001
	s_branch .LBB126_1470
.LBB126_1468:
	s_mov_b32 s11, -1
	s_mov_b32 s10, 0
                                        ; implicit-def: $sgpr1
	s_branch .LBB126_1471
.LBB126_1469:
	s_mov_b32 s10, -1
                                        ; implicit-def: $sgpr1
.LBB126_1470:
	s_mov_b32 s11, 0
.LBB126_1471:
	s_delay_alu instid0(SALU_CYCLE_1)
	s_and_b32 vcc_lo, exec_lo, s11
	s_cbranch_vccz .LBB126_1474
; %bb.1472:
	v_cmp_ne_u16_e64 s10, 0, v0
	s_mov_b32 s1, 0
	s_delay_alu instid0(VALU_DEP_1)
	s_and_not1_b32 vcc_lo, exec_lo, s10
	s_cbranch_vccz .LBB126_1475
.LBB126_1473:
	v_mov_b32_e32 v1, 0x80
	s_and_b32 s10, s1, 0x7fffffff
	s_delay_alu instid0(SALU_CYCLE_1)
	s_cmp_gt_u32 s10, 0x437fffff
	s_cbranch_scc0 .LBB126_1476
	s_branch .LBB126_1483
.LBB126_1474:
	s_and_not1_b32 vcc_lo, exec_lo, s10
	s_cbranch_vccnz .LBB126_1473
.LBB126_1475:
	v_lshrrev_b16 v0, 2, s7
	s_and_b32 s1, s7, 3
	s_lshl_b32 s13, s7, 24
	s_clz_i32_u32 s10, s1
	s_delay_alu instid0(SALU_CYCLE_1) | instskip(SKIP_4) | instid1(VALU_DEP_1)
	s_min_u32 s10, s10, 32
	v_readfirstlane_b32 s11, v0
	s_sub_i32 s12, s10, 29
	s_sub_i32 s10, 30, s10
	s_lshl_b32 s12, s7, s12
	s_and_b32 s11, s11, 31
	s_and_b32 s12, s12, 3
	s_cmp_eq_u32 s11, 0
	s_cselect_b32 s10, s10, s11
	s_cselect_b32 s1, s12, s1
	s_lshl_b32 s10, s10, 23
	s_and_b32 s11, s13, 0x80000000
	s_add_i32 s10, s10, 0x37800000
	s_lshl_b32 s1, s1, 21
	s_or_b32 s10, s11, s10
	s_delay_alu instid0(SALU_CYCLE_1) | instskip(SKIP_2) | instid1(SALU_CYCLE_1)
	s_or_b32 s1, s10, s1
	v_mov_b32_e32 v1, 0x80
	s_and_b32 s10, s1, 0x7fffffff
	s_cmp_gt_u32 s10, 0x437fffff
	s_cbranch_scc1 .LBB126_1483
.LBB126_1476:
	s_cmp_gt_u32 s10, 0x3bffffff
	s_cbranch_scc0 .LBB126_1478
; %bb.1477:
	s_bfe_u32 s10, s1, 0x10014
	s_mov_b32 s11, 0
	s_add_i32 s10, s1, s10
	s_delay_alu instid0(SALU_CYCLE_1) | instskip(NEXT) | instid1(SALU_CYCLE_1)
	s_add_i32 s10, s10, 0x487ffff
	s_lshr_b32 s12, s10, 20
	s_mov_b32 s10, -1
	s_branch .LBB126_1479
.LBB126_1478:
	s_mov_b32 s11, -1
	s_mov_b32 s10, 0
                                        ; implicit-def: $sgpr12
.LBB126_1479:
	v_mov_b32_e32 v0, s12
	s_and_not1_b32 vcc_lo, exec_lo, s11
                                        ; implicit-def: $sgpr11
	s_cbranch_vccnz .LBB126_1481
; %bb.1480:
	v_add_f32_e64 v0, 0x46000000, |s1|
	s_mov_b32 s11, 0
	s_delay_alu instid0(VALU_DEP_1) | instskip(NEXT) | instid1(VALU_DEP_1)
	v_and_b32_e32 v0, 0xff, v0
	v_cmp_ne_u32_e64 s10, 0, v0
.LBB126_1481:
	v_mov_b32_e32 v1, s11
	s_delay_alu instid0(VALU_DEP_2)
	s_and_not1_b32 vcc_lo, exec_lo, s10
	s_cbranch_vccnz .LBB126_1483
; %bb.1482:
	s_lshr_b32 s1, s1, 24
	s_delay_alu instid0(SALU_CYCLE_1) | instskip(NEXT) | instid1(SALU_CYCLE_1)
	s_and_b32 s1, s1, 0x80
	v_or_b32_e32 v1, s1, v0
.LBB126_1483:
	global_store_b8 v[4:5], v1, off
.LBB126_1484:
	s_mov_b32 s1, -1
.LBB126_1485:
	s_mov_b32 s10, 0
.LBB126_1486:
	s_delay_alu instid0(SALU_CYCLE_1)
	s_and_b32 vcc_lo, exec_lo, s10
	s_cbranch_vccz .LBB126_1554
; %bb.1487:
	v_cmp_lt_i16_e32 vcc_lo, 22, v12
	s_mov_b32 s9, -1
	s_cbranch_vccz .LBB126_1537
; %bb.1488:
	v_cmp_gt_i16_e32 vcc_lo, 24, v12
	s_mov_b32 s1, -1
	s_cbranch_vccnz .LBB126_1514
; %bb.1489:
	v_cmp_lt_i16_e32 vcc_lo, 24, v12
	s_cbranch_vccz .LBB126_1491
; %bb.1490:
	v_mov_b32_e32 v0, s7
	s_mov_b32 s1, 0
	global_store_b8 v[4:5], v0, off
.LBB126_1491:
	s_and_not1_b32 vcc_lo, exec_lo, s1
	s_cbranch_vccnz .LBB126_1513
; %bb.1492:
	v_and_b32_e64 v0, 0xff, s7
	s_delay_alu instid0(VALU_DEP_1)
	v_cmp_gt_i16_e32 vcc_lo, 0x80, v0
	s_cbranch_vccnz .LBB126_1495
; %bb.1493:
	v_cmp_eq_u16_e32 vcc_lo, 0x80, v0
	s_cbranch_vccz .LBB126_1496
; %bb.1494:
	s_mov_b32 s9, 0
	s_mov_b32 s1, 0x7f800001
	s_branch .LBB126_1497
.LBB126_1495:
	s_mov_b32 s10, -1
	s_mov_b32 s9, 0
                                        ; implicit-def: $sgpr1
	s_branch .LBB126_1498
.LBB126_1496:
                                        ; implicit-def: $sgpr1
.LBB126_1497:
	s_mov_b32 s10, 0
.LBB126_1498:
	s_delay_alu instid0(SALU_CYCLE_1)
	s_and_b32 vcc_lo, exec_lo, s10
	s_cbranch_vccz .LBB126_1503
; %bb.1499:
	v_cmp_ne_u16_e64 s9, 0, v0
	s_mov_b32 s1, 0
	s_delay_alu instid0(VALU_DEP_1)
	s_and_not1_b32 vcc_lo, exec_lo, s9
	s_cbranch_vccz .LBB126_1504
.LBB126_1500:
	s_and_b32 s9, s1, 0x7fffffff
	s_delay_alu instid0(SALU_CYCLE_1)
	s_cmp_lt_u32 s9, 0x43f00000
	s_cbranch_scc0 .LBB126_1505
.LBB126_1501:
	s_cmp_gt_u32 s9, 0x3c7fffff
	s_cbranch_scc0 .LBB126_1506
; %bb.1502:
	s_bfe_u32 s10, s1, 0x10014
	s_delay_alu instid0(SALU_CYCLE_1) | instskip(NEXT) | instid1(SALU_CYCLE_1)
	s_add_i32 s10, s1, s10
	s_add_i32 s10, s10, 0x407ffff
	s_delay_alu instid0(SALU_CYCLE_1)
	s_and_b32 s11, s10, 0xff00000
	s_lshr_b32 s10, s10, 20
	s_cmp_lg_u32 s11, 0x7f00000
	s_cselect_b32 s11, s10, 0x7e
	s_mov_b32 s10, 0
	s_branch .LBB126_1507
.LBB126_1503:
	s_and_not1_b32 vcc_lo, exec_lo, s9
	s_cbranch_vccnz .LBB126_1500
.LBB126_1504:
	v_lshrrev_b16 v0, 2, s7
	s_and_b32 s1, s7, 3
	s_lshl_b32 s12, s7, 24
	s_clz_i32_u32 s9, s1
	s_delay_alu instid0(SALU_CYCLE_1) | instskip(SKIP_4) | instid1(VALU_DEP_1)
	s_min_u32 s9, s9, 32
	v_readfirstlane_b32 s10, v0
	s_sub_i32 s11, s9, 29
	s_sub_i32 s9, 30, s9
	s_lshl_b32 s11, s7, s11
	s_and_b32 s10, s10, 31
	s_and_b32 s11, s11, 3
	s_cmp_eq_u32 s10, 0
	s_cselect_b32 s9, s9, s10
	s_cselect_b32 s1, s11, s1
	s_lshl_b32 s9, s9, 23
	s_and_b32 s10, s12, 0x80000000
	s_add_i32 s9, s9, 0x37800000
	s_lshl_b32 s1, s1, 21
	s_or_b32 s9, s10, s9
	s_delay_alu instid0(SALU_CYCLE_1) | instskip(NEXT) | instid1(SALU_CYCLE_1)
	s_or_b32 s1, s9, s1
	s_and_b32 s9, s1, 0x7fffffff
	s_delay_alu instid0(SALU_CYCLE_1)
	s_cmp_lt_u32 s9, 0x43f00000
	s_cbranch_scc1 .LBB126_1501
.LBB126_1505:
	s_mov_b32 s10, -1
                                        ; implicit-def: $vgpr0
	s_branch .LBB126_1510
.LBB126_1506:
	s_mov_b32 s10, -1
                                        ; implicit-def: $sgpr11
.LBB126_1507:
	v_mov_b32_e32 v0, s11
	s_and_not1_b32 vcc_lo, exec_lo, s10
	s_cbranch_vccnz .LBB126_1509
; %bb.1508:
	v_add_f32_e64 v0, 0x46800000, |s1|
.LBB126_1509:
	s_mov_b32 s10, 0
.LBB126_1510:
	s_delay_alu instid0(SALU_CYCLE_1)
	s_and_not1_b32 vcc_lo, exec_lo, s10
	s_cbranch_vccnz .LBB126_1512
; %bb.1511:
	s_cmp_gt_u32 s9, 0x7f800000
	s_movk_i32 s9, 0x7f
	s_delay_alu instid0(SALU_CYCLE_1) | instskip(NEXT) | instid1(SALU_CYCLE_1)
	s_cselect_b32 s9, s9, 0x7e
	v_mov_b32_e32 v0, s9
.LBB126_1512:
	s_lshr_b32 s1, s1, 24
	s_delay_alu instid0(SALU_CYCLE_1)
	s_and_b32 s1, s1, 0x80
	s_delay_alu instid0(VALU_DEP_1) | instid1(SALU_CYCLE_1)
	v_or_b32_e32 v0, s1, v0
	global_store_b8 v[4:5], v0, off
.LBB126_1513:
	s_mov_b32 s1, 0
.LBB126_1514:
	s_delay_alu instid0(SALU_CYCLE_1)
	s_and_not1_b32 vcc_lo, exec_lo, s1
	s_cbranch_vccnz .LBB126_1536
; %bb.1515:
	v_and_b32_e64 v0, 0xff, s7
	s_delay_alu instid0(VALU_DEP_1)
	v_cmp_gt_i16_e32 vcc_lo, 0x80, v0
	s_cbranch_vccnz .LBB126_1518
; %bb.1516:
	v_cmp_eq_u16_e32 vcc_lo, 0x80, v0
	s_cbranch_vccz .LBB126_1519
; %bb.1517:
	s_mov_b32 s9, 0
	s_mov_b32 s1, 0x7f800001
	s_branch .LBB126_1520
.LBB126_1518:
	s_mov_b32 s10, -1
	s_mov_b32 s9, 0
                                        ; implicit-def: $sgpr1
	s_branch .LBB126_1521
.LBB126_1519:
	s_mov_b32 s9, -1
                                        ; implicit-def: $sgpr1
.LBB126_1520:
	s_mov_b32 s10, 0
.LBB126_1521:
	s_delay_alu instid0(SALU_CYCLE_1)
	s_and_b32 vcc_lo, exec_lo, s10
	s_cbranch_vccz .LBB126_1526
; %bb.1522:
	v_cmp_ne_u16_e64 s9, 0, v0
	s_mov_b32 s1, 0
	s_delay_alu instid0(VALU_DEP_1)
	s_and_not1_b32 vcc_lo, exec_lo, s9
	s_cbranch_vccz .LBB126_1527
.LBB126_1523:
	s_and_b32 s9, s1, 0x7fffffff
	s_delay_alu instid0(SALU_CYCLE_1)
	s_cmp_lt_u32 s9, 0x47800000
	s_cbranch_scc0 .LBB126_1528
.LBB126_1524:
	s_cmp_gt_u32 s9, 0x387fffff
	s_cbranch_scc0 .LBB126_1529
; %bb.1525:
	s_bfe_u32 s10, s1, 0x10015
	s_delay_alu instid0(SALU_CYCLE_1) | instskip(NEXT) | instid1(SALU_CYCLE_1)
	s_add_i32 s10, s1, s10
	s_add_i32 s10, s10, 0x80fffff
	s_delay_alu instid0(SALU_CYCLE_1)
	s_lshr_b32 s11, s10, 21
	s_mov_b32 s10, 0
	s_branch .LBB126_1530
.LBB126_1526:
	s_and_not1_b32 vcc_lo, exec_lo, s9
	s_cbranch_vccnz .LBB126_1523
.LBB126_1527:
	v_lshrrev_b16 v0, 2, s7
	s_and_b32 s1, s7, 3
	s_lshl_b32 s12, s7, 24
	s_clz_i32_u32 s9, s1
	s_delay_alu instid0(SALU_CYCLE_1) | instskip(SKIP_4) | instid1(VALU_DEP_1)
	s_min_u32 s9, s9, 32
	v_readfirstlane_b32 s10, v0
	s_sub_i32 s11, s9, 29
	s_sub_i32 s9, 30, s9
	s_lshl_b32 s11, s7, s11
	s_and_b32 s10, s10, 31
	s_and_b32 s11, s11, 3
	s_cmp_eq_u32 s10, 0
	s_cselect_b32 s9, s9, s10
	s_cselect_b32 s1, s11, s1
	s_lshl_b32 s9, s9, 23
	s_and_b32 s10, s12, 0x80000000
	s_add_i32 s9, s9, 0x37800000
	s_lshl_b32 s1, s1, 21
	s_or_b32 s9, s10, s9
	s_delay_alu instid0(SALU_CYCLE_1) | instskip(NEXT) | instid1(SALU_CYCLE_1)
	s_or_b32 s1, s9, s1
	s_and_b32 s9, s1, 0x7fffffff
	s_delay_alu instid0(SALU_CYCLE_1)
	s_cmp_lt_u32 s9, 0x47800000
	s_cbranch_scc1 .LBB126_1524
.LBB126_1528:
	s_mov_b32 s10, -1
                                        ; implicit-def: $vgpr0
	s_branch .LBB126_1533
.LBB126_1529:
	s_mov_b32 s10, -1
                                        ; implicit-def: $sgpr11
.LBB126_1530:
	v_mov_b32_e32 v0, s11
	s_and_not1_b32 vcc_lo, exec_lo, s10
	s_cbranch_vccnz .LBB126_1532
; %bb.1531:
	v_add_f32_e64 v0, 0x43000000, |s1|
.LBB126_1532:
	s_mov_b32 s10, 0
.LBB126_1533:
	s_delay_alu instid0(SALU_CYCLE_1)
	s_and_not1_b32 vcc_lo, exec_lo, s10
	s_cbranch_vccnz .LBB126_1535
; %bb.1534:
	s_cmp_gt_u32 s9, 0x7f800000
	s_movk_i32 s9, 0x7f
	s_delay_alu instid0(SALU_CYCLE_1) | instskip(NEXT) | instid1(SALU_CYCLE_1)
	s_cselect_b32 s9, s9, 0x7c
	v_mov_b32_e32 v0, s9
.LBB126_1535:
	s_lshr_b32 s1, s1, 24
	s_delay_alu instid0(SALU_CYCLE_1)
	s_and_b32 s1, s1, 0x80
	s_delay_alu instid0(VALU_DEP_1) | instid1(SALU_CYCLE_1)
	v_or_b32_e32 v0, s1, v0
	global_store_b8 v[4:5], v0, off
.LBB126_1536:
	s_mov_b32 s9, 0
	s_mov_b32 s1, -1
.LBB126_1537:
	s_and_not1_b32 vcc_lo, exec_lo, s9
	s_mov_b32 s9, 0
	s_cbranch_vccnz .LBB126_1554
; %bb.1538:
	v_cmp_lt_i16_e32 vcc_lo, 14, v12
	s_mov_b32 s9, -1
	s_cbranch_vccz .LBB126_1552
; %bb.1539:
	v_cmp_eq_u16_e32 vcc_lo, 15, v12
	s_mov_b32 s0, -1
	s_cbranch_vccz .LBB126_1551
; %bb.1540:
	v_and_b32_e64 v0, 0xff, s7
	s_delay_alu instid0(VALU_DEP_1)
	v_cmp_gt_i16_e32 vcc_lo, 0x80, v0
	s_cbranch_vccnz .LBB126_1543
; %bb.1541:
	v_cmp_eq_u16_e32 vcc_lo, 0x80, v0
	s_cbranch_vccz .LBB126_1544
; %bb.1542:
	s_mov_b32 s1, 0
	s_mov_b32 s0, 0x7f800001
	s_branch .LBB126_1545
.LBB126_1543:
	s_mov_b32 s1, 0
                                        ; implicit-def: $sgpr0
	s_branch .LBB126_1546
.LBB126_1544:
	s_mov_b32 s1, -1
                                        ; implicit-def: $sgpr0
.LBB126_1545:
	s_mov_b32 s9, 0
.LBB126_1546:
	s_delay_alu instid0(SALU_CYCLE_1)
	s_and_b32 vcc_lo, exec_lo, s9
	s_cbranch_vccz .LBB126_1548
; %bb.1547:
	v_cmp_ne_u16_e64 s1, 0, v0
	s_mov_b32 s0, 0
.LBB126_1548:
	s_delay_alu instid0(VALU_DEP_1)
	s_and_not1_b32 vcc_lo, exec_lo, s1
	s_cbranch_vccnz .LBB126_1550
; %bb.1549:
	v_lshrrev_b16 v0, 2, s7
	s_and_b32 s0, s7, 3
	s_lshl_b32 s11, s7, 24
	s_clz_i32_u32 s1, s0
	s_delay_alu instid0(SALU_CYCLE_1) | instskip(SKIP_4) | instid1(VALU_DEP_1)
	s_min_u32 s1, s1, 32
	v_readfirstlane_b32 s9, v0
	s_sub_i32 s10, s1, 29
	s_sub_i32 s1, 30, s1
	s_lshl_b32 s10, s7, s10
	s_and_b32 s9, s9, 31
	s_and_b32 s10, s10, 3
	s_cmp_eq_u32 s9, 0
	s_cselect_b32 s1, s1, s9
	s_cselect_b32 s0, s10, s0
	s_lshl_b32 s1, s1, 23
	s_and_b32 s9, s11, 0x80000000
	s_add_i32 s1, s1, 0x37800000
	s_lshl_b32 s0, s0, 21
	s_or_b32 s1, s9, s1
	s_delay_alu instid0(SALU_CYCLE_1)
	s_or_b32 s0, s1, s0
.LBB126_1550:
	s_delay_alu instid0(SALU_CYCLE_1) | instskip(NEXT) | instid1(SALU_CYCLE_1)
	s_bfe_u32 s1, s0, 0x10010
	s_add_i32 s1, s0, s1
	v_cmp_o_f32_e64 s0, s0, s0
	s_addk_i32 s1, 0x7fff
	s_delay_alu instid0(SALU_CYCLE_1) | instskip(NEXT) | instid1(VALU_DEP_1)
	s_lshr_b32 s1, s1, 16
	s_and_b32 s0, s0, exec_lo
	s_cselect_b32 s0, s1, 0x7fc0
	s_mov_b32 s1, -1
	v_mov_b32_e32 v0, s0
	s_mov_b32 s0, 0
	global_store_b16 v[4:5], v0, off
.LBB126_1551:
	s_mov_b32 s9, 0
.LBB126_1552:
	s_delay_alu instid0(SALU_CYCLE_1)
	s_and_b32 vcc_lo, exec_lo, s9
	s_mov_b32 s9, 0
	s_cbranch_vccz .LBB126_1554
; %bb.1553:
	v_cmp_ne_u16_e64 s0, 11, v12
	s_mov_b32 s9, -1
.LBB126_1554:
	s_delay_alu instid0(VALU_DEP_1)
	s_and_b32 vcc_lo, exec_lo, s0
	s_cbranch_vccnz .LBB126_1567
; %bb.1555:
	s_and_not1_b32 vcc_lo, exec_lo, s9
	s_cbranch_vccnz .LBB126_1569
.LBB126_1556:
	v_and_b32_e64 v0, 0xff, s7
	s_delay_alu instid0(VALU_DEP_1)
	v_cmp_gt_i16_e32 vcc_lo, 0x80, v0
	s_cbranch_vccnz .LBB126_1559
; %bb.1557:
	v_cmp_eq_u16_e32 vcc_lo, 0x80, v0
	s_cbranch_vccz .LBB126_1560
; %bb.1558:
	s_mov_b32 s1, 0
	s_mov_b32 s0, -1
	s_branch .LBB126_1561
.LBB126_1559:
	s_mov_b32 s9, -1
	s_mov_b32 s1, 0
                                        ; implicit-def: $sgpr0
	s_branch .LBB126_1562
.LBB126_1560:
	s_mov_b32 s1, -1
                                        ; implicit-def: $sgpr0
.LBB126_1561:
	s_mov_b32 s9, 0
.LBB126_1562:
	s_delay_alu instid0(SALU_CYCLE_1)
	s_and_b32 vcc_lo, exec_lo, s9
	s_cbranch_vccz .LBB126_1564
; %bb.1563:
	v_cmp_ne_u16_e64 s1, 0, v0
	s_mov_b32 s0, 0
.LBB126_1564:
	s_delay_alu instid0(VALU_DEP_1)
	s_and_not1_b32 vcc_lo, exec_lo, s1
	s_cbranch_vccnz .LBB126_1566
; %bb.1565:
	v_lshrrev_b16 v0, 2, s7
	s_and_b32 s0, s7, 3
	s_delay_alu instid0(SALU_CYCLE_1) | instskip(NEXT) | instid1(SALU_CYCLE_1)
	s_clz_i32_u32 s1, s0
	s_min_u32 s1, s1, 32
	s_delay_alu instid0(VALU_DEP_1) | instskip(SKIP_3) | instid1(VALU_DEP_1)
	v_readfirstlane_b32 s9, v0
	s_sub_i32 s10, s1, 29
	s_sub_i32 s1, 30, s1
	s_lshl_b32 s10, s7, s10
	s_and_b32 s9, s9, 31
	s_and_b32 s10, s10, 3
	s_cmp_eq_u32 s9, 0
	s_cselect_b32 s1, s1, s9
	s_cselect_b32 s0, s10, s0
	s_lshl_b32 s1, s1, 23
	s_lshl_b32 s0, s0, 21
	s_add_i32 s1, s1, 0x37800000
	s_delay_alu instid0(SALU_CYCLE_1) | instskip(NEXT) | instid1(SALU_CYCLE_1)
	s_and_b32 s1, s1, 0x7f800000
	s_or_b32 s0, s1, s0
	s_delay_alu instid0(SALU_CYCLE_1)
	s_cmp_lg_u32 s0, 0
	s_cselect_b32 s0, -1, 0
.LBB126_1566:
	s_delay_alu instid0(SALU_CYCLE_1)
	v_cndmask_b32_e64 v0, 0, 1, s0
	s_mov_b32 s1, -1
	s_mov_b32 s0, 0
	global_store_b8 v[4:5], v0, off
	s_branch .LBB126_1570
.LBB126_1567:
	s_cbranch_execnz .LBB126_1579
; %bb.1568:
	s_or_b32 s8, s8, exec_lo
	s_cbranch_execz .LBB126_1556
.LBB126_1569:
	s_mov_b32 s0, 0
.LBB126_1570:
	s_delay_alu instid0(SALU_CYCLE_1)
	s_and_b32 vcc_lo, exec_lo, s0
	s_cbranch_vccz .LBB126_1706
; %bb.1571:
	v_cmp_gt_i16_e32 vcc_lo, 5, v12
	s_mov_b32 s0, -1
	s_cbranch_vccnz .LBB126_1654
; %bb.1572:
	v_cmp_gt_i16_e32 vcc_lo, 8, v12
	s_cbranch_vccnz .LBB126_1614
; %bb.1573:
	v_cmp_gt_i16_e32 vcc_lo, 9, v12
	s_cbranch_vccnz .LBB126_1601
; %bb.1574:
	v_cmp_lt_i16_e32 vcc_lo, 9, v12
	s_cbranch_vccz .LBB126_1588
; %bb.1575:
	v_and_b32_e64 v0, 0xff, s7
	s_delay_alu instid0(VALU_DEP_1)
	v_cmp_gt_i16_e32 vcc_lo, 0x80, v0
	s_cbranch_vccnz .LBB126_1578
; %bb.1576:
	v_cmp_eq_u16_e32 vcc_lo, 0x80, v0
	s_cbranch_vccz .LBB126_1581
; %bb.1577:
	s_mov_b32 s9, 0
	s_mov_b32 s1, 0x7ff80000
	s_brev_b32 s0, 4
	s_branch .LBB126_1582
.LBB126_1578:
	s_mov_b32 s10, -1
	s_mov_b32 s9, 0
                                        ; implicit-def: $sgpr0_sgpr1
	s_branch .LBB126_1583
.LBB126_1579:
	s_trap 2
	s_sendmsg_rtn_b32 s0, sendmsg(MSG_RTN_GET_DOORBELL)
	s_mov_b32 ttmp2, m0
	s_waitcnt lgkmcnt(0)
	s_and_b32 s0, s0, 0x3ff
	s_delay_alu instid0(SALU_CYCLE_1) | instskip(NEXT) | instid1(SALU_CYCLE_1)
	s_bitset1_b32 s0, 10
	s_mov_b32 m0, s0
	s_sendmsg sendmsg(MSG_INTERRUPT)
	s_mov_b32 m0, ttmp2
.LBB126_1580:                           ; =>This Inner Loop Header: Depth=1
	s_sethalt 5
	s_branch .LBB126_1580
.LBB126_1581:
	s_mov_b32 s9, -1
                                        ; implicit-def: $sgpr0_sgpr1
.LBB126_1582:
	s_mov_b32 s10, 0
.LBB126_1583:
	s_delay_alu instid0(SALU_CYCLE_1)
	s_and_b32 vcc_lo, exec_lo, s10
	s_cbranch_vccz .LBB126_1585
; %bb.1584:
	v_cmp_ne_u16_e64 s9, 0, v0
	s_mov_b64 s[0:1], 0
.LBB126_1585:
	s_delay_alu instid0(SALU_CYCLE_1) | instskip(NEXT) | instid1(VALU_DEP_2)
	v_dual_mov_b32 v0, s0 :: v_dual_mov_b32 v1, s1
	s_and_not1_b32 vcc_lo, exec_lo, s9
	s_cbranch_vccnz .LBB126_1587
; %bb.1586:
	v_lshrrev_b16 v0, 2, s7
	s_and_b32 s0, s7, 3
	s_lshl_b32 s11, s7, 24
	s_clz_i32_u32 s1, s0
	s_delay_alu instid0(SALU_CYCLE_1) | instskip(SKIP_4) | instid1(VALU_DEP_1)
	s_min_u32 s1, s1, 32
	v_readfirstlane_b32 s9, v0
	s_sub_i32 s10, s1, 29
	s_sub_i32 s1, 30, s1
	s_lshl_b32 s10, s7, s10
	s_and_b32 s9, s9, 31
	s_and_b32 s10, s10, 3
	s_cmp_eq_u32 s9, 0
	s_cselect_b32 s1, s1, s9
	s_cselect_b32 s0, s10, s0
	s_lshl_b32 s1, s1, 23
	s_and_b32 s9, s11, 0x80000000
	s_add_i32 s1, s1, 0x37800000
	s_lshl_b32 s0, s0, 21
	s_or_b32 s1, s9, s1
	s_delay_alu instid0(SALU_CYCLE_1) | instskip(NEXT) | instid1(SALU_CYCLE_1)
	s_or_b32 s0, s1, s0
	v_cvt_f64_f32_e32 v[0:1], s0
.LBB126_1587:
	v_mov_b32_e32 v2, 0
	s_mov_b32 s0, 0
	s_delay_alu instid0(VALU_DEP_1)
	v_mov_b32_e32 v3, v2
	global_store_b128 v[4:5], v[0:3], off
.LBB126_1588:
	s_and_b32 vcc_lo, exec_lo, s0
	s_cbranch_vccz .LBB126_1600
; %bb.1589:
	v_and_b32_e64 v1, 0xff, s7
	s_delay_alu instid0(VALU_DEP_1)
	v_cmp_gt_i16_e32 vcc_lo, 0x80, v1
	s_cbranch_vccnz .LBB126_1592
; %bb.1590:
	v_cmp_eq_u16_e32 vcc_lo, 0x80, v1
	s_cbranch_vccz .LBB126_1593
; %bb.1591:
	s_mov_b32 s0, 0
	s_mov_b32 s1, 0x7f800001
	s_branch .LBB126_1594
.LBB126_1592:
	s_mov_b32 s9, -1
	s_mov_b32 s0, 0
                                        ; implicit-def: $sgpr1
	s_branch .LBB126_1595
.LBB126_1593:
	s_mov_b32 s0, -1
                                        ; implicit-def: $sgpr1
.LBB126_1594:
	s_mov_b32 s9, 0
.LBB126_1595:
	v_mov_b32_e32 v0, s1
	s_and_b32 vcc_lo, exec_lo, s9
	s_cbranch_vccz .LBB126_1597
; %bb.1596:
	v_and_b32_e32 v0, 0xffff, v1
	v_cmp_ne_u16_e64 s0, 0, v1
.LBB126_1597:
	s_delay_alu instid0(VALU_DEP_1)
	s_and_not1_b32 vcc_lo, exec_lo, s0
	s_cbranch_vccnz .LBB126_1599
; %bb.1598:
	v_lshrrev_b16 v0, 2, s7
	s_and_b32 s0, s7, 3
	s_lshl_b32 s11, s7, 24
	s_clz_i32_u32 s1, s0
	s_delay_alu instid0(SALU_CYCLE_1) | instskip(SKIP_4) | instid1(VALU_DEP_1)
	s_min_u32 s1, s1, 32
	v_readfirstlane_b32 s9, v0
	s_sub_i32 s10, s1, 29
	s_sub_i32 s1, 30, s1
	s_lshl_b32 s10, s7, s10
	s_and_b32 s9, s9, 31
	s_and_b32 s10, s10, 3
	s_cmp_eq_u32 s9, 0
	s_cselect_b32 s1, s1, s9
	s_cselect_b32 s0, s10, s0
	s_lshl_b32 s1, s1, 23
	s_and_b32 s9, s11, 0x80000000
	s_add_i32 s1, s1, 0x37800000
	s_lshl_b32 s0, s0, 21
	s_or_b32 s1, s9, s1
	s_delay_alu instid0(SALU_CYCLE_1) | instskip(NEXT) | instid1(SALU_CYCLE_1)
	s_or_b32 s0, s1, s0
	v_mov_b32_e32 v0, s0
.LBB126_1599:
	v_mov_b32_e32 v1, 0
	global_store_b64 v[4:5], v[0:1], off
.LBB126_1600:
	s_mov_b32 s0, 0
.LBB126_1601:
	s_delay_alu instid0(SALU_CYCLE_1)
	s_and_not1_b32 vcc_lo, exec_lo, s0
	s_cbranch_vccnz .LBB126_1613
; %bb.1602:
	v_and_b32_e64 v0, 0xff, s7
	s_delay_alu instid0(VALU_DEP_1)
	v_cmp_gt_i16_e32 vcc_lo, 0x80, v0
	s_cbranch_vccnz .LBB126_1605
; %bb.1603:
	v_cmp_eq_u16_e32 vcc_lo, 0x80, v0
	s_cbranch_vccz .LBB126_1606
; %bb.1604:
	s_mov_b32 s0, 0
	s_movk_i32 s1, 0x7e00
	s_branch .LBB126_1607
.LBB126_1605:
	s_mov_b32 s9, -1
	s_mov_b32 s0, 0
                                        ; implicit-def: $sgpr1
	s_branch .LBB126_1608
.LBB126_1606:
	s_mov_b32 s0, -1
                                        ; implicit-def: $sgpr1
.LBB126_1607:
	s_mov_b32 s9, 0
.LBB126_1608:
	v_mov_b32_e32 v1, s1
	s_and_b32 vcc_lo, exec_lo, s9
	s_cbranch_vccz .LBB126_1610
; %bb.1609:
	v_and_b32_e32 v1, 0xffff, v0
	v_cmp_ne_u16_e64 s0, 0, v0
.LBB126_1610:
	s_delay_alu instid0(VALU_DEP_1)
	s_and_not1_b32 vcc_lo, exec_lo, s0
	s_cbranch_vccnz .LBB126_1612
; %bb.1611:
	v_lshrrev_b16 v0, 2, s7
	s_and_b32 s0, s7, 3
	s_lshl_b32 s11, s7, 24
	s_clz_i32_u32 s1, s0
	s_delay_alu instid0(SALU_CYCLE_1) | instskip(SKIP_4) | instid1(VALU_DEP_1)
	s_min_u32 s1, s1, 32
	v_readfirstlane_b32 s9, v0
	s_sub_i32 s10, s1, 29
	s_sub_i32 s1, 30, s1
	s_lshl_b32 s10, s7, s10
	s_and_b32 s9, s9, 31
	s_and_b32 s10, s10, 3
	s_cmp_eq_u32 s9, 0
	s_cselect_b32 s1, s1, s9
	s_cselect_b32 s0, s10, s0
	s_lshl_b32 s1, s1, 23
	s_and_b32 s9, s11, 0x80000000
	s_add_i32 s1, s1, 0x37800000
	s_lshl_b32 s0, s0, 21
	s_or_b32 s1, s9, s1
	s_delay_alu instid0(SALU_CYCLE_1) | instskip(NEXT) | instid1(SALU_CYCLE_1)
	s_or_b32 s0, s1, s0
	v_cvt_f16_f32_e32 v0, s0
	s_delay_alu instid0(VALU_DEP_1)
	v_and_b32_e32 v1, 0xffff, v0
.LBB126_1612:
	global_store_b32 v[4:5], v1, off
.LBB126_1613:
	s_mov_b32 s0, 0
.LBB126_1614:
	s_delay_alu instid0(SALU_CYCLE_1)
	s_and_not1_b32 vcc_lo, exec_lo, s0
	s_cbranch_vccnz .LBB126_1653
; %bb.1615:
	v_cmp_gt_i16_e32 vcc_lo, 6, v12
	s_mov_b32 s0, -1
	s_cbranch_vccnz .LBB126_1641
; %bb.1616:
	v_cmp_lt_i16_e32 vcc_lo, 6, v12
	s_cbranch_vccz .LBB126_1628
; %bb.1617:
	v_and_b32_e64 v0, 0xff, s7
	s_delay_alu instid0(VALU_DEP_1)
	v_cmp_gt_i16_e32 vcc_lo, 0x80, v0
	s_cbranch_vccnz .LBB126_1620
; %bb.1618:
	v_cmp_eq_u16_e32 vcc_lo, 0x80, v0
	s_cbranch_vccz .LBB126_1621
; %bb.1619:
	s_mov_b32 s9, 0
	s_mov_b32 s1, 0x7ff80000
	s_brev_b32 s0, 4
	s_branch .LBB126_1622
.LBB126_1620:
	s_mov_b32 s10, -1
	s_mov_b32 s9, 0
                                        ; implicit-def: $sgpr0_sgpr1
	s_branch .LBB126_1623
.LBB126_1621:
	s_mov_b32 s9, -1
                                        ; implicit-def: $sgpr0_sgpr1
.LBB126_1622:
	s_mov_b32 s10, 0
.LBB126_1623:
	s_delay_alu instid0(SALU_CYCLE_1)
	s_and_b32 vcc_lo, exec_lo, s10
	s_cbranch_vccz .LBB126_1625
; %bb.1624:
	v_cmp_ne_u16_e64 s9, 0, v0
	s_mov_b64 s[0:1], 0
.LBB126_1625:
	s_delay_alu instid0(SALU_CYCLE_1) | instskip(NEXT) | instid1(VALU_DEP_2)
	v_dual_mov_b32 v0, s0 :: v_dual_mov_b32 v1, s1
	s_and_not1_b32 vcc_lo, exec_lo, s9
	s_cbranch_vccnz .LBB126_1627
; %bb.1626:
	v_lshrrev_b16 v0, 2, s7
	s_and_b32 s0, s7, 3
	s_lshl_b32 s11, s7, 24
	s_clz_i32_u32 s1, s0
	s_delay_alu instid0(SALU_CYCLE_1) | instskip(SKIP_4) | instid1(VALU_DEP_1)
	s_min_u32 s1, s1, 32
	v_readfirstlane_b32 s9, v0
	s_sub_i32 s10, s1, 29
	s_sub_i32 s1, 30, s1
	s_lshl_b32 s10, s7, s10
	s_and_b32 s9, s9, 31
	s_and_b32 s10, s10, 3
	s_cmp_eq_u32 s9, 0
	s_cselect_b32 s1, s1, s9
	s_cselect_b32 s0, s10, s0
	s_lshl_b32 s1, s1, 23
	s_and_b32 s9, s11, 0x80000000
	s_add_i32 s1, s1, 0x37800000
	s_lshl_b32 s0, s0, 21
	s_or_b32 s1, s9, s1
	s_delay_alu instid0(SALU_CYCLE_1) | instskip(NEXT) | instid1(SALU_CYCLE_1)
	s_or_b32 s0, s1, s0
	v_cvt_f64_f32_e32 v[0:1], s0
.LBB126_1627:
	s_mov_b32 s0, 0
	global_store_b64 v[4:5], v[0:1], off
.LBB126_1628:
	s_and_b32 vcc_lo, exec_lo, s0
	s_cbranch_vccz .LBB126_1640
; %bb.1629:
	v_and_b32_e64 v0, 0xff, s7
	s_delay_alu instid0(VALU_DEP_1)
	v_cmp_gt_i16_e32 vcc_lo, 0x80, v0
	s_cbranch_vccnz .LBB126_1632
; %bb.1630:
	v_cmp_eq_u16_e32 vcc_lo, 0x80, v0
	s_cbranch_vccz .LBB126_1633
; %bb.1631:
	s_mov_b32 s0, 0
	s_mov_b32 s1, 0x7f800001
	s_branch .LBB126_1634
.LBB126_1632:
	s_mov_b32 s9, -1
	s_mov_b32 s0, 0
                                        ; implicit-def: $sgpr1
	s_branch .LBB126_1635
.LBB126_1633:
	s_mov_b32 s0, -1
                                        ; implicit-def: $sgpr1
.LBB126_1634:
	s_mov_b32 s9, 0
.LBB126_1635:
	v_mov_b32_e32 v1, s1
	s_and_b32 vcc_lo, exec_lo, s9
	s_cbranch_vccz .LBB126_1637
; %bb.1636:
	v_and_b32_e32 v1, 0xffff, v0
	v_cmp_ne_u16_e64 s0, 0, v0
.LBB126_1637:
	s_delay_alu instid0(VALU_DEP_1)
	s_and_not1_b32 vcc_lo, exec_lo, s0
	s_cbranch_vccnz .LBB126_1639
; %bb.1638:
	v_lshrrev_b16 v0, 2, s7
	s_and_b32 s0, s7, 3
	s_lshl_b32 s11, s7, 24
	s_clz_i32_u32 s1, s0
	s_delay_alu instid0(SALU_CYCLE_1) | instskip(SKIP_4) | instid1(VALU_DEP_1)
	s_min_u32 s1, s1, 32
	v_readfirstlane_b32 s9, v0
	s_sub_i32 s10, s1, 29
	s_sub_i32 s1, 30, s1
	s_lshl_b32 s10, s7, s10
	s_and_b32 s9, s9, 31
	s_and_b32 s10, s10, 3
	s_cmp_eq_u32 s9, 0
	s_cselect_b32 s1, s1, s9
	s_cselect_b32 s0, s10, s0
	s_lshl_b32 s1, s1, 23
	s_and_b32 s9, s11, 0x80000000
	s_add_i32 s1, s1, 0x37800000
	s_lshl_b32 s0, s0, 21
	s_or_b32 s1, s9, s1
	s_delay_alu instid0(SALU_CYCLE_1) | instskip(NEXT) | instid1(SALU_CYCLE_1)
	s_or_b32 s0, s1, s0
	v_mov_b32_e32 v1, s0
.LBB126_1639:
	global_store_b32 v[4:5], v1, off
.LBB126_1640:
	s_mov_b32 s0, 0
.LBB126_1641:
	s_delay_alu instid0(SALU_CYCLE_1)
	s_and_not1_b32 vcc_lo, exec_lo, s0
	s_cbranch_vccnz .LBB126_1653
; %bb.1642:
	v_and_b32_e64 v0, 0xff, s7
	s_delay_alu instid0(VALU_DEP_1)
	v_cmp_gt_i16_e32 vcc_lo, 0x80, v0
	s_cbranch_vccnz .LBB126_1645
; %bb.1643:
	v_cmp_eq_u16_e32 vcc_lo, 0x80, v0
	s_cbranch_vccz .LBB126_1646
; %bb.1644:
	s_mov_b32 s0, 0
	s_movk_i32 s1, 0x7e00
	s_branch .LBB126_1647
.LBB126_1645:
	s_mov_b32 s9, -1
	s_mov_b32 s0, 0
                                        ; implicit-def: $sgpr1
	s_branch .LBB126_1648
.LBB126_1646:
	s_mov_b32 s0, -1
                                        ; implicit-def: $sgpr1
.LBB126_1647:
	s_mov_b32 s9, 0
.LBB126_1648:
	v_mov_b32_e32 v1, s1
	s_and_b32 vcc_lo, exec_lo, s9
	s_cbranch_vccz .LBB126_1650
; %bb.1649:
	v_cmp_ne_u16_e64 s0, 0, v0
	v_mov_b32_e32 v1, v0
.LBB126_1650:
	s_delay_alu instid0(VALU_DEP_2)
	s_and_not1_b32 vcc_lo, exec_lo, s0
	s_cbranch_vccnz .LBB126_1652
; %bb.1651:
	v_lshrrev_b16 v0, 2, s7
	s_and_b32 s0, s7, 3
	s_lshl_b32 s11, s7, 24
	s_clz_i32_u32 s1, s0
	s_delay_alu instid0(SALU_CYCLE_1) | instskip(SKIP_4) | instid1(VALU_DEP_1)
	s_min_u32 s1, s1, 32
	v_readfirstlane_b32 s9, v0
	s_sub_i32 s10, s1, 29
	s_sub_i32 s1, 30, s1
	s_lshl_b32 s10, s7, s10
	s_and_b32 s9, s9, 31
	s_and_b32 s10, s10, 3
	s_cmp_eq_u32 s9, 0
	s_cselect_b32 s1, s1, s9
	s_cselect_b32 s0, s10, s0
	s_lshl_b32 s1, s1, 23
	s_and_b32 s9, s11, 0x80000000
	s_add_i32 s1, s1, 0x37800000
	s_lshl_b32 s0, s0, 21
	s_or_b32 s1, s9, s1
	s_delay_alu instid0(SALU_CYCLE_1) | instskip(NEXT) | instid1(SALU_CYCLE_1)
	s_or_b32 s0, s1, s0
	v_cvt_f16_f32_e32 v1, s0
.LBB126_1652:
	global_store_b16 v[4:5], v1, off
.LBB126_1653:
	s_mov_b32 s0, 0
.LBB126_1654:
	s_delay_alu instid0(SALU_CYCLE_1)
	s_and_not1_b32 vcc_lo, exec_lo, s0
	s_cbranch_vccnz .LBB126_1705
; %bb.1655:
	v_cmp_gt_i16_e32 vcc_lo, 2, v12
	s_mov_b32 s0, -1
	s_cbranch_vccnz .LBB126_1686
; %bb.1656:
	v_cmp_gt_i16_e32 vcc_lo, 3, v12
	s_cbranch_vccnz .LBB126_1676
; %bb.1657:
	v_cmp_lt_i16_e32 vcc_lo, 3, v12
	s_cbranch_vccz .LBB126_1666
; %bb.1658:
	v_and_b32_e64 v0, 0xff, s7
	s_delay_alu instid0(VALU_DEP_1)
	v_cmp_gt_i16_e32 vcc_lo, 0x80, v0
	s_cbranch_vccnz .LBB126_1660
; %bb.1659:
	v_cmp_ne_u16_e64 s9, 0x80, v0
	s_mov_b32 s10, 0
	s_mov_b64 s[0:1], 0
	s_branch .LBB126_1661
.LBB126_1660:
	s_mov_b32 s10, -1
	s_mov_b32 s9, 0
                                        ; implicit-def: $sgpr0_sgpr1
.LBB126_1661:
	s_and_not1_b32 vcc_lo, exec_lo, s10
	s_cbranch_vccnz .LBB126_1663
; %bb.1662:
	v_cmp_ne_u16_e64 s9, 0, v0
	s_mov_b64 s[0:1], 0
.LBB126_1663:
	s_delay_alu instid0(SALU_CYCLE_1) | instskip(NEXT) | instid1(VALU_DEP_2)
	v_dual_mov_b32 v0, s0 :: v_dual_mov_b32 v1, s1
	s_and_not1_b32 vcc_lo, exec_lo, s9
	s_cbranch_vccnz .LBB126_1665
; %bb.1664:
	v_lshrrev_b16 v0, 2, s7
	s_and_b32 s0, s7, 3
	s_lshl_b32 s10, s7, 24
	s_clz_i32_u32 s1, s0
	s_delay_alu instid0(SALU_CYCLE_1) | instskip(SKIP_4) | instid1(VALU_DEP_1)
	s_min_u32 s1, s1, 32
	v_readfirstlane_b32 s9, v0
	s_sub_i32 s11, s1, 29
	s_sub_i32 s1, 30, s1
	s_lshl_b32 s11, s7, s11
	s_and_b32 s9, s9, 31
	s_and_b32 s11, s11, 3
	s_cmp_eq_u32 s9, 0
	s_cselect_b32 s1, s1, s9
	s_cselect_b32 s0, s11, s0
	s_lshl_b32 s1, s1, 23
	s_and_b32 s9, s10, 0x80000000
	s_add_i32 s1, s1, 0x37800000
	s_lshl_b32 s0, s0, 21
	s_or_b32 s1, s9, s1
	s_delay_alu instid0(SALU_CYCLE_1) | instskip(NEXT) | instid1(SALU_CYCLE_1)
	s_or_b32 s0, s1, s0
	v_trunc_f32_e32 v0, s0
	s_delay_alu instid0(VALU_DEP_1) | instskip(SKIP_1) | instid1(VALU_DEP_2)
	v_mul_f32_e64 v1, 0x2f800000, |v0|
	v_ashrrev_i32_e32 v3, 31, v0
	v_floor_f32_e32 v1, v1
	s_delay_alu instid0(VALU_DEP_1) | instskip(SKIP_1) | instid1(VALU_DEP_2)
	v_fma_f32 v2, 0xcf800000, v1, |v0|
	v_cvt_u32_f32_e32 v1, v1
	v_cvt_u32_f32_e32 v0, v2
	s_delay_alu instid0(VALU_DEP_2) | instskip(NEXT) | instid1(VALU_DEP_2)
	v_xor_b32_e32 v1, v1, v3
	v_xor_b32_e32 v0, v0, v3
	s_delay_alu instid0(VALU_DEP_1) | instskip(NEXT) | instid1(VALU_DEP_3)
	v_sub_co_u32 v0, vcc_lo, v0, v3
	v_sub_co_ci_u32_e32 v1, vcc_lo, v1, v3, vcc_lo
.LBB126_1665:
	s_mov_b32 s0, 0
	global_store_b64 v[4:5], v[0:1], off
.LBB126_1666:
	s_and_b32 vcc_lo, exec_lo, s0
	s_cbranch_vccz .LBB126_1675
; %bb.1667:
	v_and_b32_e64 v0, 0xff, s7
	s_delay_alu instid0(VALU_DEP_1)
	v_cmp_gt_i16_e32 vcc_lo, 0x80, v0
	s_cbranch_vccnz .LBB126_1669
; %bb.1668:
	v_cmp_ne_u16_e64 s0, 0x80, v0
	s_mov_b32 s9, 0
	s_mov_b32 s1, 0
	s_branch .LBB126_1670
.LBB126_1669:
	s_mov_b32 s9, -1
	s_mov_b32 s0, 0
                                        ; implicit-def: $sgpr1
.LBB126_1670:
	s_and_not1_b32 vcc_lo, exec_lo, s9
	s_cbranch_vccnz .LBB126_1672
; %bb.1671:
	v_cmp_ne_u16_e64 s0, 0, v0
	s_mov_b32 s1, 0
.LBB126_1672:
	s_delay_alu instid0(SALU_CYCLE_1) | instskip(NEXT) | instid1(VALU_DEP_2)
	v_mov_b32_e32 v0, s1
	s_and_not1_b32 vcc_lo, exec_lo, s0
	s_cbranch_vccnz .LBB126_1674
; %bb.1673:
	v_lshrrev_b16 v0, 2, s7
	s_and_b32 s0, s7, 3
	s_lshl_b32 s11, s7, 24
	s_clz_i32_u32 s1, s0
	s_delay_alu instid0(SALU_CYCLE_1) | instskip(SKIP_4) | instid1(VALU_DEP_1)
	s_min_u32 s1, s1, 32
	v_readfirstlane_b32 s9, v0
	s_sub_i32 s10, s1, 29
	s_sub_i32 s1, 30, s1
	s_lshl_b32 s10, s7, s10
	s_and_b32 s9, s9, 31
	s_and_b32 s10, s10, 3
	s_cmp_eq_u32 s9, 0
	s_cselect_b32 s1, s1, s9
	s_cselect_b32 s0, s10, s0
	s_lshl_b32 s1, s1, 23
	s_and_b32 s9, s11, 0x80000000
	s_add_i32 s1, s1, 0x37800000
	s_lshl_b32 s0, s0, 21
	s_or_b32 s1, s9, s1
	s_delay_alu instid0(SALU_CYCLE_1) | instskip(NEXT) | instid1(SALU_CYCLE_1)
	s_or_b32 s0, s1, s0
	v_cvt_i32_f32_e32 v0, s0
.LBB126_1674:
	global_store_b32 v[4:5], v0, off
.LBB126_1675:
	s_mov_b32 s0, 0
.LBB126_1676:
	s_delay_alu instid0(SALU_CYCLE_1)
	s_and_not1_b32 vcc_lo, exec_lo, s0
	s_cbranch_vccnz .LBB126_1685
; %bb.1677:
	v_and_b32_e64 v0, 0xff, s7
	s_delay_alu instid0(VALU_DEP_1)
	v_cmp_gt_i16_e32 vcc_lo, 0x80, v0
	s_cbranch_vccnz .LBB126_1679
; %bb.1678:
	v_cmp_ne_u16_e64 s0, 0x80, v0
	s_mov_b32 s9, 0
	s_mov_b32 s1, 0
	s_branch .LBB126_1680
.LBB126_1679:
	s_mov_b32 s9, -1
	s_mov_b32 s0, 0
                                        ; implicit-def: $sgpr1
.LBB126_1680:
	s_and_not1_b32 vcc_lo, exec_lo, s9
	s_cbranch_vccnz .LBB126_1682
; %bb.1681:
	v_cmp_ne_u16_e64 s0, 0, v0
	s_mov_b32 s1, 0
.LBB126_1682:
	s_delay_alu instid0(SALU_CYCLE_1) | instskip(NEXT) | instid1(VALU_DEP_2)
	v_mov_b32_e32 v0, s1
	s_and_not1_b32 vcc_lo, exec_lo, s0
	s_cbranch_vccnz .LBB126_1684
; %bb.1683:
	v_lshrrev_b16 v0, 2, s7
	s_and_b32 s0, s7, 3
	s_lshl_b32 s11, s7, 24
	s_clz_i32_u32 s1, s0
	s_delay_alu instid0(SALU_CYCLE_1) | instskip(SKIP_4) | instid1(VALU_DEP_1)
	s_min_u32 s1, s1, 32
	v_readfirstlane_b32 s9, v0
	s_sub_i32 s10, s1, 29
	s_sub_i32 s1, 30, s1
	s_lshl_b32 s10, s7, s10
	s_and_b32 s9, s9, 31
	s_and_b32 s10, s10, 3
	s_cmp_eq_u32 s9, 0
	s_cselect_b32 s1, s1, s9
	s_cselect_b32 s0, s10, s0
	s_lshl_b32 s1, s1, 23
	s_and_b32 s9, s11, 0x80000000
	s_add_i32 s1, s1, 0x37800000
	s_lshl_b32 s0, s0, 21
	s_or_b32 s1, s9, s1
	s_delay_alu instid0(SALU_CYCLE_1) | instskip(NEXT) | instid1(SALU_CYCLE_1)
	s_or_b32 s0, s1, s0
	v_cvt_i32_f32_e32 v0, s0
.LBB126_1684:
	global_store_b16 v[4:5], v0, off
.LBB126_1685:
	s_mov_b32 s0, 0
.LBB126_1686:
	s_delay_alu instid0(SALU_CYCLE_1)
	s_and_not1_b32 vcc_lo, exec_lo, s0
	s_cbranch_vccnz .LBB126_1705
; %bb.1687:
	v_cmp_lt_i16_e32 vcc_lo, 0, v12
	s_mov_b32 s0, 0
	s_mov_b32 s1, -1
	s_cbranch_vccz .LBB126_1696
; %bb.1688:
	v_and_b32_e64 v0, 0xff, s7
	s_delay_alu instid0(VALU_DEP_1)
	v_cmp_gt_i16_e32 vcc_lo, 0x80, v0
	s_cbranch_vccnz .LBB126_1690
; %bb.1689:
	v_cmp_ne_u16_e64 s0, 0x80, v0
	s_mov_b32 s9, 0
	s_mov_b32 s1, 0
	s_branch .LBB126_1691
.LBB126_1690:
	s_mov_b32 s9, -1
                                        ; implicit-def: $sgpr1
.LBB126_1691:
	s_delay_alu instid0(SALU_CYCLE_1)
	s_and_not1_b32 vcc_lo, exec_lo, s9
	s_cbranch_vccnz .LBB126_1693
; %bb.1692:
	v_cmp_ne_u16_e64 s0, 0, v0
	s_mov_b32 s1, 0
.LBB126_1693:
	s_delay_alu instid0(SALU_CYCLE_1) | instskip(NEXT) | instid1(VALU_DEP_2)
	v_mov_b32_e32 v0, s1
	s_and_not1_b32 vcc_lo, exec_lo, s0
	s_cbranch_vccnz .LBB126_1695
; %bb.1694:
	v_lshrrev_b16 v0, 2, s7
	s_and_b32 s0, s7, 3
	s_lshl_b32 s11, s7, 24
	s_clz_i32_u32 s1, s0
	s_delay_alu instid0(SALU_CYCLE_1) | instskip(SKIP_4) | instid1(VALU_DEP_1)
	s_min_u32 s1, s1, 32
	v_readfirstlane_b32 s9, v0
	s_sub_i32 s10, s1, 29
	s_sub_i32 s1, 30, s1
	s_lshl_b32 s10, s7, s10
	s_and_b32 s9, s9, 31
	s_and_b32 s10, s10, 3
	s_cmp_eq_u32 s9, 0
	s_cselect_b32 s1, s1, s9
	s_cselect_b32 s0, s10, s0
	s_lshl_b32 s1, s1, 23
	s_and_b32 s9, s11, 0x80000000
	s_add_i32 s1, s1, 0x37800000
	s_lshl_b32 s0, s0, 21
	s_or_b32 s1, s9, s1
	s_delay_alu instid0(SALU_CYCLE_1) | instskip(NEXT) | instid1(SALU_CYCLE_1)
	s_or_b32 s0, s1, s0
	v_cvt_i32_f32_e32 v0, s0
.LBB126_1695:
	s_mov_b32 s1, 0
	global_store_b8 v[4:5], v0, off
.LBB126_1696:
	s_and_b32 vcc_lo, exec_lo, s1
	s_cbranch_vccz .LBB126_1705
; %bb.1697:
	v_and_b32_e64 v0, 0xff, s7
	s_delay_alu instid0(VALU_DEP_1)
	v_cmp_gt_i16_e32 vcc_lo, 0x80, v0
	s_cbranch_vccnz .LBB126_1699
; %bb.1698:
	v_cmp_ne_u16_e64 s0, 0x80, v0
	s_mov_b32 s9, 0
	s_mov_b32 s1, 0
	s_branch .LBB126_1700
.LBB126_1699:
	s_mov_b32 s9, -1
	s_mov_b32 s0, 0
                                        ; implicit-def: $sgpr1
.LBB126_1700:
	s_and_not1_b32 vcc_lo, exec_lo, s9
	s_cbranch_vccnz .LBB126_1702
; %bb.1701:
	v_cmp_ne_u16_e64 s0, 0, v0
	s_mov_b32 s1, 0
.LBB126_1702:
	s_delay_alu instid0(SALU_CYCLE_1) | instskip(NEXT) | instid1(VALU_DEP_2)
	v_mov_b32_e32 v0, s1
	s_and_not1_b32 vcc_lo, exec_lo, s0
	s_cbranch_vccnz .LBB126_1704
; %bb.1703:
	v_lshrrev_b16 v0, 2, s7
	s_and_b32 s0, s7, 3
	s_lshl_b32 s10, s7, 24
	s_clz_i32_u32 s1, s0
	s_delay_alu instid0(SALU_CYCLE_1) | instskip(SKIP_4) | instid1(VALU_DEP_1)
	s_min_u32 s1, s1, 32
	v_readfirstlane_b32 s9, v0
	s_sub_i32 s11, s1, 29
	s_sub_i32 s1, 30, s1
	s_lshl_b32 s11, s7, s11
	s_and_b32 s9, s9, 31
	s_and_b32 s11, s11, 3
	s_cmp_eq_u32 s9, 0
	s_cselect_b32 s1, s1, s9
	s_cselect_b32 s0, s11, s0
	s_lshl_b32 s1, s1, 23
	s_and_b32 s9, s10, 0x80000000
	s_add_i32 s1, s1, 0x37800000
	s_lshl_b32 s0, s0, 21
	s_or_b32 s1, s9, s1
	s_delay_alu instid0(SALU_CYCLE_1) | instskip(NEXT) | instid1(SALU_CYCLE_1)
	s_or_b32 s0, s1, s0
	v_trunc_f32_e32 v0, s0
	s_delay_alu instid0(VALU_DEP_1) | instskip(NEXT) | instid1(VALU_DEP_1)
	v_mul_f32_e64 v1, 0x2f800000, |v0|
	v_floor_f32_e32 v1, v1
	s_delay_alu instid0(VALU_DEP_1) | instskip(SKIP_1) | instid1(VALU_DEP_2)
	v_fma_f32 v1, 0xcf800000, v1, |v0|
	v_ashrrev_i32_e32 v0, 31, v0
	v_cvt_u32_f32_e32 v1, v1
	s_delay_alu instid0(VALU_DEP_1) | instskip(NEXT) | instid1(VALU_DEP_1)
	v_xor_b32_e32 v1, v1, v0
	v_sub_nc_u32_e32 v0, v1, v0
.LBB126_1704:
	global_store_b8 v[4:5], v0, off
.LBB126_1705:
	s_mov_b32 s1, -1
.LBB126_1706:
	s_delay_alu instid0(SALU_CYCLE_1)
	s_and_not1_b32 vcc_lo, exec_lo, s1
	s_cbranch_vccnz .LBB126_1716
; %bb.1707:
	v_add_nc_u32_e32 v0, s6, v6
	v_cmp_gt_i16_e32 vcc_lo, 11, v12
	s_delay_alu instid0(VALU_DEP_2) | instskip(SKIP_1) | instid1(VALU_DEP_1)
	v_ashrrev_i32_e32 v1, 31, v0
	v_add_co_u32 v4, s0, s4, v0
	v_add_co_ci_u32_e64 v5, s0, s5, v1, s0
	s_cbranch_vccnz .LBB126_1738
; %bb.1708:
	v_cmp_lt_i16_e32 vcc_lo, 25, v12
	s_mov_b32 s1, -1
	s_mov_b32 s4, 0
	s_mov_b32 s0, 0
	s_cbranch_vccz .LBB126_2251
; %bb.1709:
	v_cmp_lt_i16_e32 vcc_lo, 28, v12
	s_cbranch_vccz .LBB126_2209
; %bb.1710:
	v_cmp_lt_i16_e32 vcc_lo, 43, v12
	;; [unrolled: 3-line block ×3, first 2 shown]
	s_cbranch_vccz .LBB126_2182
; %bb.1712:
	v_cmp_eq_u16_e32 vcc_lo, 46, v12
	s_mov_b32 s0, -1
	s_cbranch_vccz .LBB126_2181
; %bb.1713:
	v_and_b32_e64 v0, 0xff, s7
	s_delay_alu instid0(VALU_DEP_1)
	v_cmp_gt_i16_e32 vcc_lo, 0x80, v0
	s_cbranch_vccnz .LBB126_1864
; %bb.1714:
	v_cmp_eq_u16_e32 vcc_lo, 0x80, v0
	s_cbranch_vccz .LBB126_2174
; %bb.1715:
	s_mov_b32 s1, 0
	s_mov_b32 s0, 0x7f800001
	s_branch .LBB126_2175
.LBB126_1716:
	s_mov_b32 s0, 0
	s_mov_b32 s4, 0
                                        ; implicit-def: $vgpr12
                                        ; implicit-def: $vgpr4_vgpr5
.LBB126_1717:
	s_and_not1_b32 s1, s2, exec_lo
	s_and_b32 s2, s8, exec_lo
	s_and_b32 s0, s0, exec_lo
	;; [unrolled: 1-line block ×3, first 2 shown]
	s_or_b32 s2, s1, s2
.LBB126_1718:
	s_or_b32 exec_lo, exec_lo, s3
	s_and_saveexec_b32 s1, s2
	s_cbranch_execz .LBB126_1721
; %bb.1719:
	; divergent unreachable
	s_or_b32 exec_lo, exec_lo, s1
	s_and_saveexec_b32 s1, s8
	s_cbranch_execnz .LBB126_1722
.LBB126_1720:
	s_or_b32 exec_lo, exec_lo, s1
	s_and_saveexec_b32 s1, s0
	s_cbranch_execnz .LBB126_1730
	s_branch .LBB126_1860
.LBB126_1721:
	s_or_b32 exec_lo, exec_lo, s1
	s_and_saveexec_b32 s1, s8
	s_cbranch_execz .LBB126_1720
.LBB126_1722:
	v_and_b32_e64 v0, 0xff, s7
	s_delay_alu instid0(VALU_DEP_1)
	v_cmp_gt_i16_e32 vcc_lo, 0x80, v0
	s_cbranch_vccnz .LBB126_1725
; %bb.1723:
	v_cmp_eq_u16_e32 vcc_lo, 0x80, v0
	s_cbranch_vccz .LBB126_1737
; %bb.1724:
	s_mov_b32 s3, 0
	s_mov_b32 s2, -1
	s_branch .LBB126_1727
.LBB126_1725:
	s_mov_b32 s3, 0
                                        ; implicit-def: $sgpr2
	s_cbranch_execz .LBB126_1727
; %bb.1726:
	v_cmp_ne_u16_e64 s3, 0, v0
	s_mov_b32 s2, 0
.LBB126_1727:
	s_delay_alu instid0(VALU_DEP_1)
	s_and_not1_b32 vcc_lo, exec_lo, s3
	s_cbranch_vccnz .LBB126_1729
; %bb.1728:
	v_lshrrev_b16 v0, 2, s7
	s_and_b32 s2, s7, 3
	s_delay_alu instid0(SALU_CYCLE_1) | instskip(NEXT) | instid1(SALU_CYCLE_1)
	s_clz_i32_u32 s3, s2
	s_min_u32 s3, s3, 32
	s_delay_alu instid0(VALU_DEP_1) | instskip(SKIP_3) | instid1(VALU_DEP_1)
	v_readfirstlane_b32 s4, v0
	s_sub_i32 s5, s3, 29
	s_sub_i32 s3, 30, s3
	s_lshl_b32 s5, s7, s5
	s_and_b32 s4, s4, 31
	s_and_b32 s5, s5, 3
	s_cmp_eq_u32 s4, 0
	s_cselect_b32 s3, s3, s4
	s_cselect_b32 s2, s5, s2
	s_lshl_b32 s3, s3, 23
	s_lshl_b32 s2, s2, 21
	s_add_i32 s3, s3, 0x37800000
	s_delay_alu instid0(SALU_CYCLE_1) | instskip(NEXT) | instid1(SALU_CYCLE_1)
	s_and_b32 s3, s3, 0x7f800000
	s_or_b32 s2, s3, s2
	s_delay_alu instid0(SALU_CYCLE_1)
	s_cmp_lg_u32 s2, 0
	s_cselect_b32 s2, -1, 0
.LBB126_1729:
	s_delay_alu instid0(SALU_CYCLE_1)
	v_cndmask_b32_e64 v0, 0, 1, s2
	global_store_b8 v[4:5], v0, off
	s_or_b32 exec_lo, exec_lo, s1
	s_and_saveexec_b32 s1, s0
	s_cbranch_execz .LBB126_1860
.LBB126_1730:
	v_cmp_gt_i16_e32 vcc_lo, 5, v12
	s_mov_b32 s0, -1
	s_cbranch_vccnz .LBB126_1813
; %bb.1731:
	v_cmp_gt_i16_e32 vcc_lo, 8, v12
	s_cbranch_vccnz .LBB126_1765
; %bb.1732:
	v_cmp_gt_i16_e32 vcc_lo, 9, v12
	s_cbranch_vccnz .LBB126_1760
; %bb.1733:
	v_cmp_lt_i16_e32 vcc_lo, 9, v12
	s_cbranch_vccz .LBB126_1747
; %bb.1734:
	v_and_b32_e64 v0, 0xff, s7
	s_delay_alu instid0(VALU_DEP_1)
	v_cmp_gt_i16_e32 vcc_lo, 0x80, v0
	s_cbranch_vccnz .LBB126_1739
; %bb.1735:
	v_cmp_eq_u16_e32 vcc_lo, 0x80, v0
	s_cbranch_vccz .LBB126_1740
; %bb.1736:
	s_mov_b32 s2, 0
	s_mov_b32 s1, 0x7ff80000
	s_brev_b32 s0, 4
	s_branch .LBB126_1741
.LBB126_1737:
	s_mov_b32 s3, -1
                                        ; implicit-def: $sgpr2
	s_branch .LBB126_1727
.LBB126_1738:
	s_mov_b32 s4, 0
	s_mov_b32 s0, -1
	s_branch .LBB126_1717
.LBB126_1739:
	s_mov_b32 s3, -1
	s_mov_b32 s2, 0
                                        ; implicit-def: $sgpr0_sgpr1
	s_branch .LBB126_1742
.LBB126_1740:
	s_mov_b32 s2, -1
                                        ; implicit-def: $sgpr0_sgpr1
.LBB126_1741:
	s_mov_b32 s3, 0
.LBB126_1742:
	s_delay_alu instid0(SALU_CYCLE_1)
	s_and_b32 vcc_lo, exec_lo, s3
	s_cbranch_vccz .LBB126_1744
; %bb.1743:
	v_cmp_ne_u16_e64 s2, 0, v0
	s_mov_b64 s[0:1], 0
.LBB126_1744:
	s_delay_alu instid0(SALU_CYCLE_1) | instskip(NEXT) | instid1(VALU_DEP_2)
	v_dual_mov_b32 v0, s0 :: v_dual_mov_b32 v1, s1
	s_and_not1_b32 vcc_lo, exec_lo, s2
	s_cbranch_vccnz .LBB126_1746
; %bb.1745:
	v_lshrrev_b16 v0, 2, s7
	s_and_b32 s0, s7, 3
	s_lshl_b32 s4, s7, 24
	s_clz_i32_u32 s1, s0
	s_delay_alu instid0(SALU_CYCLE_1) | instskip(SKIP_4) | instid1(VALU_DEP_1)
	s_min_u32 s1, s1, 32
	v_readfirstlane_b32 s2, v0
	s_sub_i32 s3, s1, 29
	s_sub_i32 s1, 30, s1
	s_lshl_b32 s3, s7, s3
	s_and_b32 s2, s2, 31
	s_and_b32 s3, s3, 3
	s_cmp_eq_u32 s2, 0
	s_cselect_b32 s1, s1, s2
	s_cselect_b32 s0, s3, s0
	s_lshl_b32 s1, s1, 23
	s_and_b32 s2, s4, 0x80000000
	s_add_i32 s1, s1, 0x37800000
	s_lshl_b32 s0, s0, 21
	s_or_b32 s1, s2, s1
	s_delay_alu instid0(SALU_CYCLE_1) | instskip(NEXT) | instid1(SALU_CYCLE_1)
	s_or_b32 s0, s1, s0
	v_cvt_f64_f32_e32 v[0:1], s0
.LBB126_1746:
	v_mov_b32_e32 v2, 0
	s_mov_b32 s0, 0
	s_delay_alu instid0(VALU_DEP_1)
	v_mov_b32_e32 v3, v2
	global_store_b128 v[4:5], v[0:3], off
.LBB126_1747:
	s_and_b32 vcc_lo, exec_lo, s0
	s_cbranch_vccz .LBB126_1759
; %bb.1748:
	v_and_b32_e64 v1, 0xff, s7
	s_delay_alu instid0(VALU_DEP_1)
	v_cmp_gt_i16_e32 vcc_lo, 0x80, v1
	s_cbranch_vccnz .LBB126_1751
; %bb.1749:
	v_cmp_eq_u16_e32 vcc_lo, 0x80, v1
	s_cbranch_vccz .LBB126_1752
; %bb.1750:
	s_mov_b32 s0, 0
	s_mov_b32 s1, 0x7f800001
	s_branch .LBB126_1753
.LBB126_1751:
	s_mov_b32 s2, -1
	s_mov_b32 s0, 0
                                        ; implicit-def: $sgpr1
	s_branch .LBB126_1754
.LBB126_1752:
	s_mov_b32 s0, -1
                                        ; implicit-def: $sgpr1
.LBB126_1753:
	s_mov_b32 s2, 0
.LBB126_1754:
	v_mov_b32_e32 v0, s1
	s_and_b32 vcc_lo, exec_lo, s2
	s_cbranch_vccz .LBB126_1756
; %bb.1755:
	v_and_b32_e32 v0, 0xffff, v1
	v_cmp_ne_u16_e64 s0, 0, v1
.LBB126_1756:
	s_delay_alu instid0(VALU_DEP_1)
	s_and_not1_b32 vcc_lo, exec_lo, s0
	s_cbranch_vccnz .LBB126_1758
; %bb.1757:
	v_lshrrev_b16 v0, 2, s7
	s_and_b32 s0, s7, 3
	s_lshl_b32 s4, s7, 24
	s_clz_i32_u32 s1, s0
	s_delay_alu instid0(SALU_CYCLE_1) | instskip(SKIP_4) | instid1(VALU_DEP_1)
	s_min_u32 s1, s1, 32
	v_readfirstlane_b32 s2, v0
	s_sub_i32 s3, s1, 29
	s_sub_i32 s1, 30, s1
	s_lshl_b32 s3, s7, s3
	s_and_b32 s2, s2, 31
	s_and_b32 s3, s3, 3
	s_cmp_eq_u32 s2, 0
	s_cselect_b32 s1, s1, s2
	s_cselect_b32 s0, s3, s0
	s_lshl_b32 s1, s1, 23
	s_and_b32 s2, s4, 0x80000000
	s_add_i32 s1, s1, 0x37800000
	s_lshl_b32 s0, s0, 21
	s_or_b32 s1, s2, s1
	s_delay_alu instid0(SALU_CYCLE_1) | instskip(NEXT) | instid1(SALU_CYCLE_1)
	s_or_b32 s0, s1, s0
	v_mov_b32_e32 v0, s0
.LBB126_1758:
	v_mov_b32_e32 v1, 0
	global_store_b64 v[4:5], v[0:1], off
.LBB126_1759:
	s_mov_b32 s0, 0
.LBB126_1760:
	s_delay_alu instid0(SALU_CYCLE_1)
	s_and_not1_b32 vcc_lo, exec_lo, s0
	s_cbranch_vccnz .LBB126_1764
; %bb.1761:
	v_and_b32_e64 v0, 0xff, s7
	s_delay_alu instid0(VALU_DEP_1)
	v_cmp_gt_i16_e32 vcc_lo, 0x80, v0
	s_cbranch_vccnz .LBB126_1771
; %bb.1762:
	v_cmp_eq_u16_e32 vcc_lo, 0x80, v0
	s_cbranch_vccz .LBB126_1772
; %bb.1763:
	s_mov_b32 s0, 0
	s_movk_i32 s1, 0x7e00
	s_branch .LBB126_1773
.LBB126_1764:
	s_mov_b32 s0, 0
.LBB126_1765:
	s_delay_alu instid0(SALU_CYCLE_1)
	s_and_not1_b32 vcc_lo, exec_lo, s0
	s_cbranch_vccnz .LBB126_1812
.LBB126_1766:
	v_cmp_gt_i16_e32 vcc_lo, 6, v12
	s_mov_b32 s0, -1
	s_cbranch_vccnz .LBB126_1800
; %bb.1767:
	v_cmp_lt_i16_e32 vcc_lo, 6, v12
	s_cbranch_vccz .LBB126_1787
; %bb.1768:
	v_and_b32_e64 v0, 0xff, s7
	s_delay_alu instid0(VALU_DEP_1)
	v_cmp_gt_i16_e32 vcc_lo, 0x80, v0
	s_cbranch_vccnz .LBB126_1779
; %bb.1769:
	v_cmp_eq_u16_e32 vcc_lo, 0x80, v0
	s_cbranch_vccz .LBB126_1780
; %bb.1770:
	s_mov_b32 s2, 0
	s_mov_b32 s1, 0x7ff80000
	s_brev_b32 s0, 4
	s_branch .LBB126_1781
.LBB126_1771:
	s_mov_b32 s2, -1
	s_mov_b32 s0, 0
                                        ; implicit-def: $sgpr1
	s_branch .LBB126_1774
.LBB126_1772:
	s_mov_b32 s0, -1
                                        ; implicit-def: $sgpr1
.LBB126_1773:
	s_mov_b32 s2, 0
.LBB126_1774:
	v_mov_b32_e32 v1, s1
	s_and_b32 vcc_lo, exec_lo, s2
	s_cbranch_vccz .LBB126_1776
; %bb.1775:
	v_and_b32_e32 v1, 0xffff, v0
	v_cmp_ne_u16_e64 s0, 0, v0
.LBB126_1776:
	s_delay_alu instid0(VALU_DEP_1)
	s_and_not1_b32 vcc_lo, exec_lo, s0
	s_cbranch_vccnz .LBB126_1778
; %bb.1777:
	v_lshrrev_b16 v0, 2, s7
	s_and_b32 s0, s7, 3
	s_lshl_b32 s4, s7, 24
	s_clz_i32_u32 s1, s0
	s_delay_alu instid0(SALU_CYCLE_1) | instskip(SKIP_4) | instid1(VALU_DEP_1)
	s_min_u32 s1, s1, 32
	v_readfirstlane_b32 s2, v0
	s_sub_i32 s3, s1, 29
	s_sub_i32 s1, 30, s1
	s_lshl_b32 s3, s7, s3
	s_and_b32 s2, s2, 31
	s_and_b32 s3, s3, 3
	s_cmp_eq_u32 s2, 0
	s_cselect_b32 s1, s1, s2
	s_cselect_b32 s0, s3, s0
	s_lshl_b32 s1, s1, 23
	s_and_b32 s2, s4, 0x80000000
	s_add_i32 s1, s1, 0x37800000
	s_lshl_b32 s0, s0, 21
	s_or_b32 s1, s2, s1
	s_delay_alu instid0(SALU_CYCLE_1) | instskip(NEXT) | instid1(SALU_CYCLE_1)
	s_or_b32 s0, s1, s0
	v_cvt_f16_f32_e32 v0, s0
	s_delay_alu instid0(VALU_DEP_1)
	v_and_b32_e32 v1, 0xffff, v0
.LBB126_1778:
	global_store_b32 v[4:5], v1, off
	s_cbranch_execz .LBB126_1766
	s_branch .LBB126_1812
.LBB126_1779:
	s_mov_b32 s3, -1
	s_mov_b32 s2, 0
                                        ; implicit-def: $sgpr0_sgpr1
	s_branch .LBB126_1782
.LBB126_1780:
	s_mov_b32 s2, -1
                                        ; implicit-def: $sgpr0_sgpr1
.LBB126_1781:
	s_mov_b32 s3, 0
.LBB126_1782:
	s_delay_alu instid0(SALU_CYCLE_1)
	s_and_b32 vcc_lo, exec_lo, s3
	s_cbranch_vccz .LBB126_1784
; %bb.1783:
	v_cmp_ne_u16_e64 s2, 0, v0
	s_mov_b64 s[0:1], 0
.LBB126_1784:
	s_delay_alu instid0(SALU_CYCLE_1) | instskip(NEXT) | instid1(VALU_DEP_2)
	v_dual_mov_b32 v0, s0 :: v_dual_mov_b32 v1, s1
	s_and_not1_b32 vcc_lo, exec_lo, s2
	s_cbranch_vccnz .LBB126_1786
; %bb.1785:
	v_lshrrev_b16 v0, 2, s7
	s_and_b32 s0, s7, 3
	s_lshl_b32 s4, s7, 24
	s_clz_i32_u32 s1, s0
	s_delay_alu instid0(SALU_CYCLE_1) | instskip(SKIP_4) | instid1(VALU_DEP_1)
	s_min_u32 s1, s1, 32
	v_readfirstlane_b32 s2, v0
	s_sub_i32 s3, s1, 29
	s_sub_i32 s1, 30, s1
	s_lshl_b32 s3, s7, s3
	s_and_b32 s2, s2, 31
	s_and_b32 s3, s3, 3
	s_cmp_eq_u32 s2, 0
	s_cselect_b32 s1, s1, s2
	s_cselect_b32 s0, s3, s0
	s_lshl_b32 s1, s1, 23
	s_and_b32 s2, s4, 0x80000000
	s_add_i32 s1, s1, 0x37800000
	s_lshl_b32 s0, s0, 21
	s_or_b32 s1, s2, s1
	s_delay_alu instid0(SALU_CYCLE_1) | instskip(NEXT) | instid1(SALU_CYCLE_1)
	s_or_b32 s0, s1, s0
	v_cvt_f64_f32_e32 v[0:1], s0
.LBB126_1786:
	s_mov_b32 s0, 0
	global_store_b64 v[4:5], v[0:1], off
.LBB126_1787:
	s_and_b32 vcc_lo, exec_lo, s0
	s_cbranch_vccz .LBB126_1799
; %bb.1788:
	v_and_b32_e64 v0, 0xff, s7
	s_delay_alu instid0(VALU_DEP_1)
	v_cmp_gt_i16_e32 vcc_lo, 0x80, v0
	s_cbranch_vccnz .LBB126_1791
; %bb.1789:
	v_cmp_eq_u16_e32 vcc_lo, 0x80, v0
	s_cbranch_vccz .LBB126_1792
; %bb.1790:
	s_mov_b32 s0, 0
	s_mov_b32 s1, 0x7f800001
	s_branch .LBB126_1793
.LBB126_1791:
	s_mov_b32 s2, -1
	s_mov_b32 s0, 0
                                        ; implicit-def: $sgpr1
	s_branch .LBB126_1794
.LBB126_1792:
	s_mov_b32 s0, -1
                                        ; implicit-def: $sgpr1
.LBB126_1793:
	s_mov_b32 s2, 0
.LBB126_1794:
	v_mov_b32_e32 v1, s1
	s_and_b32 vcc_lo, exec_lo, s2
	s_cbranch_vccz .LBB126_1796
; %bb.1795:
	v_and_b32_e32 v1, 0xffff, v0
	v_cmp_ne_u16_e64 s0, 0, v0
.LBB126_1796:
	s_delay_alu instid0(VALU_DEP_1)
	s_and_not1_b32 vcc_lo, exec_lo, s0
	s_cbranch_vccnz .LBB126_1798
; %bb.1797:
	v_lshrrev_b16 v0, 2, s7
	s_and_b32 s0, s7, 3
	s_lshl_b32 s4, s7, 24
	s_clz_i32_u32 s1, s0
	s_delay_alu instid0(SALU_CYCLE_1) | instskip(SKIP_4) | instid1(VALU_DEP_1)
	s_min_u32 s1, s1, 32
	v_readfirstlane_b32 s2, v0
	s_sub_i32 s3, s1, 29
	s_sub_i32 s1, 30, s1
	s_lshl_b32 s3, s7, s3
	s_and_b32 s2, s2, 31
	s_and_b32 s3, s3, 3
	s_cmp_eq_u32 s2, 0
	s_cselect_b32 s1, s1, s2
	s_cselect_b32 s0, s3, s0
	s_lshl_b32 s1, s1, 23
	s_and_b32 s2, s4, 0x80000000
	s_add_i32 s1, s1, 0x37800000
	s_lshl_b32 s0, s0, 21
	s_or_b32 s1, s2, s1
	s_delay_alu instid0(SALU_CYCLE_1) | instskip(NEXT) | instid1(SALU_CYCLE_1)
	s_or_b32 s0, s1, s0
	v_mov_b32_e32 v1, s0
.LBB126_1798:
	global_store_b32 v[4:5], v1, off
.LBB126_1799:
	s_mov_b32 s0, 0
.LBB126_1800:
	s_delay_alu instid0(SALU_CYCLE_1)
	s_and_not1_b32 vcc_lo, exec_lo, s0
	s_cbranch_vccnz .LBB126_1812
; %bb.1801:
	v_and_b32_e64 v0, 0xff, s7
	s_delay_alu instid0(VALU_DEP_1)
	v_cmp_gt_i16_e32 vcc_lo, 0x80, v0
	s_cbranch_vccnz .LBB126_1804
; %bb.1802:
	v_cmp_eq_u16_e32 vcc_lo, 0x80, v0
	s_cbranch_vccz .LBB126_1805
; %bb.1803:
	s_mov_b32 s0, 0
	s_movk_i32 s1, 0x7e00
	s_branch .LBB126_1806
.LBB126_1804:
	s_mov_b32 s2, -1
	s_mov_b32 s0, 0
                                        ; implicit-def: $sgpr1
	s_branch .LBB126_1807
.LBB126_1805:
	s_mov_b32 s0, -1
                                        ; implicit-def: $sgpr1
.LBB126_1806:
	s_mov_b32 s2, 0
.LBB126_1807:
	v_mov_b32_e32 v1, s1
	s_and_b32 vcc_lo, exec_lo, s2
	s_cbranch_vccz .LBB126_1809
; %bb.1808:
	v_cmp_ne_u16_e64 s0, 0, v0
	v_mov_b32_e32 v1, v0
.LBB126_1809:
	s_delay_alu instid0(VALU_DEP_2)
	s_and_not1_b32 vcc_lo, exec_lo, s0
	s_cbranch_vccnz .LBB126_1811
; %bb.1810:
	v_lshrrev_b16 v0, 2, s7
	s_and_b32 s0, s7, 3
	s_lshl_b32 s4, s7, 24
	s_clz_i32_u32 s1, s0
	s_delay_alu instid0(SALU_CYCLE_1) | instskip(SKIP_4) | instid1(VALU_DEP_1)
	s_min_u32 s1, s1, 32
	v_readfirstlane_b32 s2, v0
	s_sub_i32 s3, s1, 29
	s_sub_i32 s1, 30, s1
	s_lshl_b32 s3, s7, s3
	s_and_b32 s2, s2, 31
	s_and_b32 s3, s3, 3
	s_cmp_eq_u32 s2, 0
	s_cselect_b32 s1, s1, s2
	s_cselect_b32 s0, s3, s0
	s_lshl_b32 s1, s1, 23
	s_and_b32 s2, s4, 0x80000000
	s_add_i32 s1, s1, 0x37800000
	s_lshl_b32 s0, s0, 21
	s_or_b32 s1, s2, s1
	s_delay_alu instid0(SALU_CYCLE_1) | instskip(NEXT) | instid1(SALU_CYCLE_1)
	s_or_b32 s0, s1, s0
	v_cvt_f16_f32_e32 v1, s0
.LBB126_1811:
	global_store_b16 v[4:5], v1, off
.LBB126_1812:
	s_mov_b32 s0, 0
.LBB126_1813:
	s_delay_alu instid0(SALU_CYCLE_1)
	s_and_not1_b32 vcc_lo, exec_lo, s0
	s_cbranch_vccnz .LBB126_1860
; %bb.1814:
	v_cmp_gt_i16_e32 vcc_lo, 2, v12
	s_mov_b32 s0, -1
	s_cbranch_vccnz .LBB126_1839
; %bb.1815:
	v_cmp_gt_i16_e32 vcc_lo, 3, v12
	s_cbranch_vccnz .LBB126_1835
; %bb.1816:
	v_cmp_lt_i16_e32 vcc_lo, 3, v12
	s_cbranch_vccz .LBB126_1825
; %bb.1817:
	v_and_b32_e64 v0, 0xff, s7
	s_delay_alu instid0(VALU_DEP_1)
	v_cmp_gt_i16_e32 vcc_lo, 0x80, v0
	s_cbranch_vccnz .LBB126_1819
; %bb.1818:
	v_cmp_ne_u16_e64 s2, 0x80, v0
	s_mov_b32 s3, 0
	s_mov_b64 s[0:1], 0
	s_branch .LBB126_1820
.LBB126_1819:
	s_mov_b32 s3, -1
	s_mov_b32 s2, 0
                                        ; implicit-def: $sgpr0_sgpr1
.LBB126_1820:
	s_and_not1_b32 vcc_lo, exec_lo, s3
	s_cbranch_vccnz .LBB126_1822
; %bb.1821:
	v_cmp_ne_u16_e64 s2, 0, v0
	s_mov_b64 s[0:1], 0
.LBB126_1822:
	s_delay_alu instid0(SALU_CYCLE_1) | instskip(NEXT) | instid1(VALU_DEP_2)
	v_dual_mov_b32 v0, s0 :: v_dual_mov_b32 v1, s1
	s_and_not1_b32 vcc_lo, exec_lo, s2
	s_cbranch_vccnz .LBB126_1824
; %bb.1823:
	v_lshrrev_b16 v0, 2, s7
	s_and_b32 s0, s7, 3
	s_lshl_b32 s3, s7, 24
	s_clz_i32_u32 s1, s0
	s_delay_alu instid0(SALU_CYCLE_1) | instskip(SKIP_4) | instid1(VALU_DEP_1)
	s_min_u32 s1, s1, 32
	v_readfirstlane_b32 s2, v0
	s_sub_i32 s4, s1, 29
	s_sub_i32 s1, 30, s1
	s_lshl_b32 s4, s7, s4
	s_and_b32 s2, s2, 31
	s_and_b32 s4, s4, 3
	s_cmp_eq_u32 s2, 0
	s_cselect_b32 s1, s1, s2
	s_cselect_b32 s0, s4, s0
	s_lshl_b32 s1, s1, 23
	s_and_b32 s2, s3, 0x80000000
	s_add_i32 s1, s1, 0x37800000
	s_lshl_b32 s0, s0, 21
	s_or_b32 s1, s2, s1
	s_delay_alu instid0(SALU_CYCLE_1) | instskip(NEXT) | instid1(SALU_CYCLE_1)
	s_or_b32 s0, s1, s0
	v_trunc_f32_e32 v0, s0
	s_delay_alu instid0(VALU_DEP_1) | instskip(SKIP_1) | instid1(VALU_DEP_2)
	v_mul_f32_e64 v1, 0x2f800000, |v0|
	v_ashrrev_i32_e32 v3, 31, v0
	v_floor_f32_e32 v1, v1
	s_delay_alu instid0(VALU_DEP_1) | instskip(SKIP_1) | instid1(VALU_DEP_2)
	v_fma_f32 v2, 0xcf800000, v1, |v0|
	v_cvt_u32_f32_e32 v1, v1
	v_cvt_u32_f32_e32 v0, v2
	s_delay_alu instid0(VALU_DEP_2) | instskip(NEXT) | instid1(VALU_DEP_2)
	v_xor_b32_e32 v1, v1, v3
	v_xor_b32_e32 v0, v0, v3
	s_delay_alu instid0(VALU_DEP_1) | instskip(NEXT) | instid1(VALU_DEP_3)
	v_sub_co_u32 v0, vcc_lo, v0, v3
	v_sub_co_ci_u32_e32 v1, vcc_lo, v1, v3, vcc_lo
.LBB126_1824:
	s_mov_b32 s0, 0
	global_store_b64 v[4:5], v[0:1], off
.LBB126_1825:
	s_and_b32 vcc_lo, exec_lo, s0
	s_cbranch_vccz .LBB126_1834
; %bb.1826:
	v_and_b32_e64 v0, 0xff, s7
	s_delay_alu instid0(VALU_DEP_1)
	v_cmp_gt_i16_e32 vcc_lo, 0x80, v0
	s_cbranch_vccnz .LBB126_1828
; %bb.1827:
	v_cmp_ne_u16_e64 s0, 0x80, v0
	s_mov_b32 s2, 0
	s_mov_b32 s1, 0
	s_branch .LBB126_1829
.LBB126_1828:
	s_mov_b32 s2, -1
	s_mov_b32 s0, 0
                                        ; implicit-def: $sgpr1
.LBB126_1829:
	s_and_not1_b32 vcc_lo, exec_lo, s2
	s_cbranch_vccnz .LBB126_1831
; %bb.1830:
	v_cmp_ne_u16_e64 s0, 0, v0
	s_mov_b32 s1, 0
.LBB126_1831:
	s_delay_alu instid0(SALU_CYCLE_1) | instskip(NEXT) | instid1(VALU_DEP_2)
	v_mov_b32_e32 v0, s1
	s_and_not1_b32 vcc_lo, exec_lo, s0
	s_cbranch_vccnz .LBB126_1833
; %bb.1832:
	v_lshrrev_b16 v0, 2, s7
	s_and_b32 s0, s7, 3
	s_lshl_b32 s4, s7, 24
	s_clz_i32_u32 s1, s0
	s_delay_alu instid0(SALU_CYCLE_1) | instskip(SKIP_4) | instid1(VALU_DEP_1)
	s_min_u32 s1, s1, 32
	v_readfirstlane_b32 s2, v0
	s_sub_i32 s3, s1, 29
	s_sub_i32 s1, 30, s1
	s_lshl_b32 s3, s7, s3
	s_and_b32 s2, s2, 31
	s_and_b32 s3, s3, 3
	s_cmp_eq_u32 s2, 0
	s_cselect_b32 s1, s1, s2
	s_cselect_b32 s0, s3, s0
	s_lshl_b32 s1, s1, 23
	s_and_b32 s2, s4, 0x80000000
	s_add_i32 s1, s1, 0x37800000
	s_lshl_b32 s0, s0, 21
	s_or_b32 s1, s2, s1
	s_delay_alu instid0(SALU_CYCLE_1) | instskip(NEXT) | instid1(SALU_CYCLE_1)
	s_or_b32 s0, s1, s0
	v_cvt_i32_f32_e32 v0, s0
.LBB126_1833:
	global_store_b32 v[4:5], v0, off
.LBB126_1834:
	s_mov_b32 s0, 0
.LBB126_1835:
	s_delay_alu instid0(SALU_CYCLE_1)
	s_and_not1_b32 vcc_lo, exec_lo, s0
	s_cbranch_vccnz .LBB126_1838
; %bb.1836:
	v_and_b32_e64 v0, 0xff, s7
	s_delay_alu instid0(VALU_DEP_1)
	v_cmp_gt_i16_e32 vcc_lo, 0x80, v0
	s_cbranch_vccnz .LBB126_1843
; %bb.1837:
	v_cmp_ne_u16_e64 s0, 0x80, v0
	s_mov_b32 s2, 0
	s_mov_b32 s1, 0
	s_branch .LBB126_1844
.LBB126_1838:
	s_mov_b32 s0, 0
.LBB126_1839:
	s_delay_alu instid0(SALU_CYCLE_1)
	s_and_not1_b32 vcc_lo, exec_lo, s0
	s_cbranch_vccnz .LBB126_1860
.LBB126_1840:
	v_cmp_lt_i16_e32 vcc_lo, 0, v12
	s_mov_b32 s0, 0
	s_mov_b32 s1, -1
	s_cbranch_vccz .LBB126_1855
; %bb.1841:
	v_and_b32_e64 v0, 0xff, s7
	s_delay_alu instid0(VALU_DEP_1)
	v_cmp_gt_i16_e32 vcc_lo, 0x80, v0
	s_cbranch_vccnz .LBB126_1849
; %bb.1842:
	v_cmp_ne_u16_e64 s0, 0x80, v0
	s_mov_b32 s2, 0
	s_mov_b32 s1, 0
	s_branch .LBB126_1850
.LBB126_1843:
	s_mov_b32 s2, -1
	s_mov_b32 s0, 0
                                        ; implicit-def: $sgpr1
.LBB126_1844:
	s_and_not1_b32 vcc_lo, exec_lo, s2
	s_cbranch_vccnz .LBB126_1846
; %bb.1845:
	v_cmp_ne_u16_e64 s0, 0, v0
	s_mov_b32 s1, 0
.LBB126_1846:
	s_delay_alu instid0(SALU_CYCLE_1) | instskip(NEXT) | instid1(VALU_DEP_2)
	v_mov_b32_e32 v0, s1
	s_and_not1_b32 vcc_lo, exec_lo, s0
	s_cbranch_vccnz .LBB126_1848
; %bb.1847:
	v_lshrrev_b16 v0, 2, s7
	s_and_b32 s0, s7, 3
	s_lshl_b32 s4, s7, 24
	s_clz_i32_u32 s1, s0
	s_delay_alu instid0(SALU_CYCLE_1) | instskip(SKIP_4) | instid1(VALU_DEP_1)
	s_min_u32 s1, s1, 32
	v_readfirstlane_b32 s2, v0
	s_sub_i32 s3, s1, 29
	s_sub_i32 s1, 30, s1
	s_lshl_b32 s3, s7, s3
	s_and_b32 s2, s2, 31
	s_and_b32 s3, s3, 3
	s_cmp_eq_u32 s2, 0
	s_cselect_b32 s1, s1, s2
	s_cselect_b32 s0, s3, s0
	s_lshl_b32 s1, s1, 23
	s_and_b32 s2, s4, 0x80000000
	s_add_i32 s1, s1, 0x37800000
	s_lshl_b32 s0, s0, 21
	s_or_b32 s1, s2, s1
	s_delay_alu instid0(SALU_CYCLE_1) | instskip(NEXT) | instid1(SALU_CYCLE_1)
	s_or_b32 s0, s1, s0
	v_cvt_i32_f32_e32 v0, s0
.LBB126_1848:
	global_store_b16 v[4:5], v0, off
	s_cbranch_execnz .LBB126_1860
	s_branch .LBB126_1840
.LBB126_1849:
	s_mov_b32 s2, -1
                                        ; implicit-def: $sgpr1
.LBB126_1850:
	s_delay_alu instid0(SALU_CYCLE_1)
	s_and_not1_b32 vcc_lo, exec_lo, s2
	s_cbranch_vccnz .LBB126_1852
; %bb.1851:
	v_cmp_ne_u16_e64 s0, 0, v0
	s_mov_b32 s1, 0
.LBB126_1852:
	s_delay_alu instid0(SALU_CYCLE_1) | instskip(NEXT) | instid1(VALU_DEP_2)
	v_mov_b32_e32 v0, s1
	s_and_not1_b32 vcc_lo, exec_lo, s0
	s_cbranch_vccnz .LBB126_1854
; %bb.1853:
	v_lshrrev_b16 v0, 2, s7
	s_and_b32 s0, s7, 3
	s_lshl_b32 s4, s7, 24
	s_clz_i32_u32 s1, s0
	s_delay_alu instid0(SALU_CYCLE_1) | instskip(SKIP_4) | instid1(VALU_DEP_1)
	s_min_u32 s1, s1, 32
	v_readfirstlane_b32 s2, v0
	s_sub_i32 s3, s1, 29
	s_sub_i32 s1, 30, s1
	s_lshl_b32 s3, s7, s3
	s_and_b32 s2, s2, 31
	s_and_b32 s3, s3, 3
	s_cmp_eq_u32 s2, 0
	s_cselect_b32 s1, s1, s2
	s_cselect_b32 s0, s3, s0
	s_lshl_b32 s1, s1, 23
	s_and_b32 s2, s4, 0x80000000
	s_add_i32 s1, s1, 0x37800000
	s_lshl_b32 s0, s0, 21
	s_or_b32 s1, s2, s1
	s_delay_alu instid0(SALU_CYCLE_1) | instskip(NEXT) | instid1(SALU_CYCLE_1)
	s_or_b32 s0, s1, s0
	v_cvt_i32_f32_e32 v0, s0
.LBB126_1854:
	s_mov_b32 s1, 0
	global_store_b8 v[4:5], v0, off
.LBB126_1855:
	s_and_b32 vcc_lo, exec_lo, s1
	s_cbranch_vccz .LBB126_1860
; %bb.1856:
	v_and_b32_e64 v0, 0xff, s7
	s_delay_alu instid0(VALU_DEP_1)
	v_cmp_gt_i16_e32 vcc_lo, 0x80, v0
	s_cbranch_vccnz .LBB126_1861
; %bb.1857:
	v_cmp_ne_u16_e64 s0, 0x80, v0
	s_mov_b32 s1, 0
	s_cbranch_execz .LBB126_1862
; %bb.1858:
	v_mov_b32_e32 v0, s1
	s_delay_alu instid0(VALU_DEP_2)
	s_and_not1_b32 vcc_lo, exec_lo, s0
	s_cbranch_vccnz .LBB126_1863
.LBB126_1859:
	v_lshrrev_b16 v0, 2, s7
	s_and_b32 s0, s7, 3
	s_lshl_b32 s3, s7, 24
	s_clz_i32_u32 s1, s0
	s_delay_alu instid0(SALU_CYCLE_1) | instskip(SKIP_4) | instid1(VALU_DEP_1)
	s_min_u32 s1, s1, 32
	v_readfirstlane_b32 s2, v0
	s_sub_i32 s4, s1, 29
	s_sub_i32 s1, 30, s1
	s_lshl_b32 s4, s7, s4
	s_and_b32 s2, s2, 31
	s_and_b32 s4, s4, 3
	s_cmp_eq_u32 s2, 0
	s_cselect_b32 s1, s1, s2
	s_cselect_b32 s0, s4, s0
	s_lshl_b32 s1, s1, 23
	s_and_b32 s2, s3, 0x80000000
	s_add_i32 s1, s1, 0x37800000
	s_lshl_b32 s0, s0, 21
	s_or_b32 s1, s2, s1
	s_delay_alu instid0(SALU_CYCLE_1) | instskip(NEXT) | instid1(SALU_CYCLE_1)
	s_or_b32 s0, s1, s0
	v_trunc_f32_e32 v0, s0
	s_delay_alu instid0(VALU_DEP_1) | instskip(NEXT) | instid1(VALU_DEP_1)
	v_mul_f32_e64 v1, 0x2f800000, |v0|
	v_floor_f32_e32 v1, v1
	s_delay_alu instid0(VALU_DEP_1) | instskip(SKIP_1) | instid1(VALU_DEP_2)
	v_fma_f32 v1, 0xcf800000, v1, |v0|
	v_ashrrev_i32_e32 v0, 31, v0
	v_cvt_u32_f32_e32 v1, v1
	s_delay_alu instid0(VALU_DEP_1) | instskip(NEXT) | instid1(VALU_DEP_1)
	v_xor_b32_e32 v1, v1, v0
	v_sub_nc_u32_e32 v0, v1, v0
	global_store_b8 v[4:5], v0, off
	s_nop 0
	s_sendmsg sendmsg(MSG_DEALLOC_VGPRS)
	s_endpgm
.LBB126_1860:
	s_nop 0
	s_sendmsg sendmsg(MSG_DEALLOC_VGPRS)
	s_endpgm
.LBB126_1861:
	s_mov_b32 s0, 0
                                        ; implicit-def: $sgpr1
.LBB126_1862:
	v_cmp_ne_u16_e64 s0, 0, v0
	s_mov_b32 s1, 0
	s_delay_alu instid0(SALU_CYCLE_1) | instskip(NEXT) | instid1(VALU_DEP_2)
	v_mov_b32_e32 v0, s1
	s_and_not1_b32 vcc_lo, exec_lo, s0
	s_cbranch_vccz .LBB126_1859
.LBB126_1863:
	global_store_b8 v[4:5], v0, off
	s_nop 0
	s_sendmsg sendmsg(MSG_DEALLOC_VGPRS)
	s_endpgm
.LBB126_1864:
	s_mov_b32 s5, -1
	s_mov_b32 s1, 0
                                        ; implicit-def: $sgpr0
	s_branch .LBB126_2176
.LBB126_1865:
                                        ; implicit-def: $sgpr0
.LBB126_1866:
	s_mov_b32 s18, 0
.LBB126_1867:
	s_delay_alu instid0(SALU_CYCLE_1)
	s_and_b32 vcc_lo, exec_lo, s18
	s_cbranch_vccz .LBB126_1869
; %bb.1868:
	v_cmp_ne_u16_e64 s17, 0, v0
	s_mov_b32 s0, 0
.LBB126_1869:
	s_delay_alu instid0(VALU_DEP_1)
	s_and_not1_b32 vcc_lo, exec_lo, s17
	s_cbranch_vccnz .LBB126_1871
; %bb.1870:
	s_mov_b32 s0, s2
.LBB126_1871:
	s_delay_alu instid0(SALU_CYCLE_1) | instskip(NEXT) | instid1(SALU_CYCLE_1)
	s_bfe_u32 s17, s0, 0x10010
	s_add_i32 s17, s0, s17
	v_cmp_o_f32_e64 s0, s0, s0
	s_addk_i32 s17, 0x7fff
	s_delay_alu instid0(SALU_CYCLE_1) | instskip(NEXT) | instid1(VALU_DEP_1)
	s_lshr_b32 s17, s17, 16
	s_and_b32 s0, s0, exec_lo
	s_cselect_b32 s0, s17, 0x7fc0
	s_mov_b32 s17, 0
	v_mov_b32_e32 v0, s0
	s_mov_b32 s0, -1
	global_store_b32 v[10:11], v0, off
.LBB126_1872:
	s_and_b32 vcc_lo, exec_lo, s1
	s_cbranch_vccz .LBB126_1885
; %bb.1873:
	v_cmp_eq_u16_e32 vcc_lo, 44, v12
	s_mov_b32 s17, -1
	s_cbranch_vccz .LBB126_1885
; %bb.1874:
	v_and_b32_e64 v0, 0xff, s7
	s_delay_alu instid0(VALU_DEP_1)
	v_cmp_gt_i16_e32 vcc_lo, 0x80, v0
	v_readfirstlane_b32 s1, v0
	s_cbranch_vccnz .LBB126_1877
; %bb.1875:
	s_delay_alu instid0(VALU_DEP_1) | instskip(NEXT) | instid1(VALU_DEP_1)
	v_cmp_eq_u16_e64 s0, 0x80, s1
	s_and_b32 vcc_lo, exec_lo, s0
	s_cbranch_vccz .LBB126_1878
; %bb.1876:
	s_mov_b32 s17, 0
	s_mov_b32 s0, 0x7f800001
	s_branch .LBB126_1879
.LBB126_1877:
	s_mov_b32 s18, -1
	s_mov_b32 s17, 0
                                        ; implicit-def: $sgpr0
	s_branch .LBB126_1880
.LBB126_1878:
                                        ; implicit-def: $sgpr0
.LBB126_1879:
	s_mov_b32 s18, 0
.LBB126_1880:
	s_delay_alu instid0(SALU_CYCLE_1)
	s_and_b32 vcc_lo, exec_lo, s18
	s_cbranch_vccz .LBB126_1890
; %bb.1881:
	v_cmp_ne_u16_e64 s17, s1, 0
	s_and_b32 s0, 0xffff, s1
	s_delay_alu instid0(VALU_DEP_1)
	s_and_not1_b32 vcc_lo, exec_lo, s17
	s_cbranch_vccz .LBB126_1891
.LBB126_1882:
	v_mov_b32_e32 v0, 0xff
	s_bfe_u32 s1, s0, 0x80017
	s_delay_alu instid0(SALU_CYCLE_1)
	s_cmpk_eq_i32 s1, 0xff
	s_cbranch_scc1 .LBB126_1884
.LBB126_1883:
	s_lshr_b32 s17, s0, 23
	s_bitcmp1_b32 s0, 22
	s_cselect_b32 s18, -1, 0
	s_and_b32 s0, s0, 0x3fffff
	s_delay_alu instid0(SALU_CYCLE_1) | instskip(NEXT) | instid1(SALU_CYCLE_1)
	s_or_b32 s0, s1, s0
	s_cmp_lg_u32 s0, 0
	s_cselect_b32 s0, -1, 0
	s_delay_alu instid0(SALU_CYCLE_1) | instskip(NEXT) | instid1(SALU_CYCLE_1)
	s_and_b32 s0, s18, s0
	v_cndmask_b32_e64 v0, 0, 1, s0
	s_delay_alu instid0(VALU_DEP_1)
	v_add_nc_u32_e32 v0, s17, v0
.LBB126_1884:
	s_mov_b32 s0, -1
	s_mov_b32 s17, 0
	global_store_b8 v[10:11], v0, off
.LBB126_1885:
	s_mov_b32 s1, 0
.LBB126_1886:
	s_delay_alu instid0(SALU_CYCLE_1)
	s_and_b32 vcc_lo, exec_lo, s1
	s_cbranch_vccz .LBB126_1898
; %bb.1887:
	v_cmp_eq_u16_e32 vcc_lo, 29, v12
	s_mov_b32 s17, -1
	s_cbranch_vccz .LBB126_1898
; %bb.1888:
	v_and_b32_e64 v0, 0xff, s7
	s_delay_alu instid0(VALU_DEP_1)
	v_cmp_gt_i16_e32 vcc_lo, 0x80, v0
	s_cbranch_vccnz .LBB126_1892
; %bb.1889:
	v_cmp_ne_u16_e64 s17, 0x80, v0
	s_mov_b32 s18, 0
	s_mov_b64 s[0:1], 0
	s_branch .LBB126_1893
.LBB126_1890:
	s_and_not1_b32 vcc_lo, exec_lo, s17
	s_cbranch_vccnz .LBB126_1882
.LBB126_1891:
	s_mov_b32 s0, s10
	v_mov_b32_e32 v0, 0xff
	s_bfe_u32 s1, s0, 0x80017
	s_delay_alu instid0(SALU_CYCLE_1)
	s_cmpk_eq_i32 s1, 0xff
	s_cbranch_scc0 .LBB126_1883
	s_branch .LBB126_1884
.LBB126_1892:
	s_mov_b32 s18, -1
	s_mov_b32 s17, 0
                                        ; implicit-def: $sgpr0_sgpr1
.LBB126_1893:
	s_and_not1_b32 vcc_lo, exec_lo, s18
	s_cbranch_vccnz .LBB126_1895
; %bb.1894:
	v_cmp_ne_u16_e64 s17, 0, v0
	s_mov_b64 s[0:1], 0
.LBB126_1895:
	s_delay_alu instid0(SALU_CYCLE_1) | instskip(NEXT) | instid1(VALU_DEP_2)
	v_dual_mov_b32 v0, s0 :: v_dual_mov_b32 v1, s1
	s_and_not1_b32 vcc_lo, exec_lo, s17
	s_cbranch_vccnz .LBB126_1897
; %bb.1896:
	v_dual_mov_b32 v0, v8 :: v_dual_mov_b32 v1, v9
.LBB126_1897:
	s_mov_b32 s0, -1
	s_mov_b32 s17, 0
	global_store_b64 v[10:11], v[0:1], off
.LBB126_1898:
	s_mov_b32 s1, 0
.LBB126_1899:
	s_delay_alu instid0(SALU_CYCLE_1)
	s_and_b32 vcc_lo, exec_lo, s1
	s_cbranch_vccz .LBB126_1941
; %bb.1900:
	v_cmp_gt_i16_e32 vcc_lo, 27, v12
	s_mov_b32 s0, -1
	s_cbranch_vccnz .LBB126_1920
; %bb.1901:
	v_cmp_lt_i16_e32 vcc_lo, 27, v12
	s_cbranch_vccz .LBB126_1910
; %bb.1902:
	v_and_b32_e64 v0, 0xff, s7
	s_delay_alu instid0(VALU_DEP_1)
	v_cmp_gt_i16_e32 vcc_lo, 0x80, v0
	s_cbranch_vccnz .LBB126_1904
; %bb.1903:
	v_cmp_ne_u16_e64 s0, 0x80, v0
	s_mov_b32 s18, 0
	s_mov_b32 s1, 0
	s_branch .LBB126_1905
.LBB126_1904:
	s_mov_b32 s18, -1
	s_mov_b32 s0, 0
                                        ; implicit-def: $sgpr1
.LBB126_1905:
	s_and_not1_b32 vcc_lo, exec_lo, s18
	s_cbranch_vccnz .LBB126_1907
; %bb.1906:
	v_cmp_ne_u16_e64 s0, 0, v0
	s_mov_b32 s1, 0
.LBB126_1907:
	s_delay_alu instid0(SALU_CYCLE_1) | instskip(NEXT) | instid1(VALU_DEP_2)
	v_mov_b32_e32 v0, s1
	s_and_not1_b32 vcc_lo, exec_lo, s0
	s_cbranch_vccnz .LBB126_1909
; %bb.1908:
	v_mov_b32_e32 v0, v16
.LBB126_1909:
	s_mov_b32 s0, 0
	global_store_b32 v[10:11], v0, off
.LBB126_1910:
	s_and_b32 vcc_lo, exec_lo, s0
	s_cbranch_vccz .LBB126_1919
; %bb.1911:
	v_and_b32_e64 v0, 0xff, s7
	s_delay_alu instid0(VALU_DEP_1)
	v_cmp_gt_i16_e32 vcc_lo, 0x80, v0
	s_cbranch_vccnz .LBB126_1913
; %bb.1912:
	v_cmp_ne_u16_e64 s0, 0x80, v0
	s_mov_b32 s18, 0
	s_mov_b32 s1, 0
	s_branch .LBB126_1914
.LBB126_1913:
	s_mov_b32 s18, -1
	s_mov_b32 s0, 0
                                        ; implicit-def: $sgpr1
.LBB126_1914:
	s_and_not1_b32 vcc_lo, exec_lo, s18
	s_cbranch_vccnz .LBB126_1916
; %bb.1915:
	v_cmp_ne_u16_e64 s0, 0, v0
	s_mov_b32 s1, 0
.LBB126_1916:
	s_delay_alu instid0(SALU_CYCLE_1) | instskip(NEXT) | instid1(VALU_DEP_2)
	v_mov_b32_e32 v0, s1
	s_and_not1_b32 vcc_lo, exec_lo, s0
	s_cbranch_vccnz .LBB126_1918
; %bb.1917:
	v_mov_b32_e32 v0, v16
.LBB126_1918:
	global_store_b16 v[10:11], v0, off
.LBB126_1919:
	s_mov_b32 s0, 0
.LBB126_1920:
	s_delay_alu instid0(SALU_CYCLE_1)
	s_and_not1_b32 vcc_lo, exec_lo, s0
	s_cbranch_vccnz .LBB126_1940
; %bb.1921:
	v_and_b32_e64 v0, 0xff, s7
	s_delay_alu instid0(VALU_DEP_1)
	v_cmp_gt_i16_e32 vcc_lo, 0x80, v0
	s_cbranch_vccnz .LBB126_1924
; %bb.1922:
	v_cmp_eq_u16_e32 vcc_lo, 0x80, v0
	s_cbranch_vccz .LBB126_1925
; %bb.1923:
	s_mov_b32 s1, 0
	s_mov_b32 s0, 0x7f800001
	s_branch .LBB126_1926
.LBB126_1924:
	s_mov_b32 s18, -1
	s_mov_b32 s1, 0
                                        ; implicit-def: $sgpr0
	s_branch .LBB126_1927
.LBB126_1925:
	s_mov_b32 s1, -1
                                        ; implicit-def: $sgpr0
.LBB126_1926:
	s_mov_b32 s18, 0
.LBB126_1927:
	s_delay_alu instid0(SALU_CYCLE_1)
	s_and_b32 vcc_lo, exec_lo, s18
	s_cbranch_vccz .LBB126_1930
; %bb.1928:
	v_cmp_ne_u16_e64 s1, 0, v0
	s_mov_b32 s0, 0
	s_delay_alu instid0(VALU_DEP_1)
	s_and_not1_b32 vcc_lo, exec_lo, s1
	s_cbranch_vccz .LBB126_1931
.LBB126_1929:
	v_mov_b32_e32 v1, 0x80
	s_and_b32 s1, s0, 0x7fffffff
	s_delay_alu instid0(SALU_CYCLE_1)
	s_cmp_gt_u32 s1, 0x437fffff
	s_cbranch_scc0 .LBB126_1932
	s_branch .LBB126_1939
.LBB126_1930:
	s_and_not1_b32 vcc_lo, exec_lo, s1
	s_cbranch_vccnz .LBB126_1929
.LBB126_1931:
	s_mov_b32 s0, s2
	v_mov_b32_e32 v1, 0x80
	s_and_b32 s1, s0, 0x7fffffff
	s_delay_alu instid0(SALU_CYCLE_1)
	s_cmp_gt_u32 s1, 0x437fffff
	s_cbranch_scc1 .LBB126_1939
.LBB126_1932:
	s_cmp_lt_u32 s1, 0x3c000000
	s_cbranch_scc1 .LBB126_1934
; %bb.1933:
	s_bfe_u32 s1, s0, 0x10014
	s_mov_b32 s18, 0
	s_add_i32 s1, s0, s1
	s_delay_alu instid0(SALU_CYCLE_1) | instskip(NEXT) | instid1(SALU_CYCLE_1)
	s_add_i32 s1, s1, 0x487ffff
	s_lshr_b32 s19, s1, 20
	s_mov_b32 s1, -1
	s_branch .LBB126_1935
.LBB126_1934:
	s_mov_b32 s18, -1
	s_mov_b32 s1, 0
                                        ; implicit-def: $sgpr19
.LBB126_1935:
	v_mov_b32_e32 v0, s19
	s_and_not1_b32 vcc_lo, exec_lo, s18
                                        ; implicit-def: $sgpr18
	s_cbranch_vccnz .LBB126_1937
; %bb.1936:
	v_add_f32_e64 v0, 0x46000000, |s0|
	s_mov_b32 s18, 0
	s_delay_alu instid0(VALU_DEP_1) | instskip(NEXT) | instid1(VALU_DEP_1)
	v_and_b32_e32 v0, 0xff, v0
	v_cmp_ne_u32_e64 s1, 0, v0
.LBB126_1937:
	v_mov_b32_e32 v1, s18
	s_delay_alu instid0(VALU_DEP_2)
	s_and_not1_b32 vcc_lo, exec_lo, s1
	s_cbranch_vccnz .LBB126_1939
; %bb.1938:
	s_lshr_b32 s0, s0, 24
	s_delay_alu instid0(SALU_CYCLE_1) | instskip(NEXT) | instid1(SALU_CYCLE_1)
	s_and_b32 s0, s0, 0x80
	v_or_b32_e32 v1, s0, v0
.LBB126_1939:
	global_store_b8 v[10:11], v1, off
.LBB126_1940:
	s_mov_b32 s0, -1
.LBB126_1941:
	s_mov_b32 s1, 0
.LBB126_1942:
	s_delay_alu instid0(SALU_CYCLE_1)
	s_and_b32 vcc_lo, exec_lo, s1
	s_cbranch_vccz .LBB126_2021
; %bb.1943:
	v_cmp_lt_i16_e32 vcc_lo, 22, v12
	s_mov_b32 s1, -1
	s_cbranch_vccz .LBB126_1993
; %bb.1944:
	v_cmp_gt_i16_e32 vcc_lo, 24, v12
	s_mov_b32 s0, -1
	s_cbranch_vccnz .LBB126_1970
; %bb.1945:
	v_cmp_lt_i16_e32 vcc_lo, 24, v12
	s_cbranch_vccz .LBB126_1947
; %bb.1946:
	v_mov_b32_e32 v0, s7
	s_mov_b32 s0, 0
	global_store_b8 v[10:11], v0, off
.LBB126_1947:
	s_and_not1_b32 vcc_lo, exec_lo, s0
	s_cbranch_vccnz .LBB126_1969
; %bb.1948:
	v_and_b32_e64 v0, 0xff, s7
	s_delay_alu instid0(VALU_DEP_1)
	v_cmp_gt_i16_e32 vcc_lo, 0x80, v0
	s_cbranch_vccnz .LBB126_1951
; %bb.1949:
	v_cmp_eq_u16_e32 vcc_lo, 0x80, v0
	s_cbranch_vccz .LBB126_1952
; %bb.1950:
	s_mov_b32 s1, 0
	s_mov_b32 s0, 0x7f800001
	s_branch .LBB126_1953
.LBB126_1951:
	s_mov_b32 s18, -1
	s_mov_b32 s1, 0
                                        ; implicit-def: $sgpr0
	s_branch .LBB126_1954
.LBB126_1952:
                                        ; implicit-def: $sgpr0
.LBB126_1953:
	s_mov_b32 s18, 0
.LBB126_1954:
	s_delay_alu instid0(SALU_CYCLE_1)
	s_and_b32 vcc_lo, exec_lo, s18
	s_cbranch_vccz .LBB126_1959
; %bb.1955:
	v_cmp_ne_u16_e64 s1, 0, v0
	s_mov_b32 s0, 0
	s_delay_alu instid0(VALU_DEP_1)
	s_and_not1_b32 vcc_lo, exec_lo, s1
	s_cbranch_vccz .LBB126_1960
.LBB126_1956:
	s_and_b32 s1, s0, 0x7fffffff
	s_delay_alu instid0(SALU_CYCLE_1)
	s_cmp_gt_u32 s1, 0x43efffff
	s_cbranch_scc1 .LBB126_1961
.LBB126_1957:
	s_cmp_lt_u32 s1, 0x3c800000
	s_cbranch_scc1 .LBB126_1962
; %bb.1958:
	s_bfe_u32 s18, s0, 0x10014
	s_delay_alu instid0(SALU_CYCLE_1) | instskip(NEXT) | instid1(SALU_CYCLE_1)
	s_add_i32 s18, s0, s18
	s_add_i32 s18, s18, 0x407ffff
	s_delay_alu instid0(SALU_CYCLE_1)
	s_and_b32 s19, s18, 0xff00000
	s_lshr_b32 s18, s18, 20
	s_cmp_lg_u32 s19, 0x7f00000
	s_cselect_b32 s19, s18, 0x7e
	s_mov_b32 s18, 0
	s_branch .LBB126_1963
.LBB126_1959:
	s_and_not1_b32 vcc_lo, exec_lo, s1
	s_cbranch_vccnz .LBB126_1956
.LBB126_1960:
	s_mov_b32 s0, s2
	s_delay_alu instid0(SALU_CYCLE_1) | instskip(NEXT) | instid1(SALU_CYCLE_1)
	s_and_b32 s1, s0, 0x7fffffff
	s_cmp_gt_u32 s1, 0x43efffff
	s_cbranch_scc0 .LBB126_1957
.LBB126_1961:
	s_mov_b32 s18, -1
                                        ; implicit-def: $vgpr0
	s_branch .LBB126_1966
.LBB126_1962:
	s_mov_b32 s18, -1
                                        ; implicit-def: $sgpr19
.LBB126_1963:
	v_mov_b32_e32 v0, s19
	s_and_not1_b32 vcc_lo, exec_lo, s18
	s_cbranch_vccnz .LBB126_1965
; %bb.1964:
	v_add_f32_e64 v0, 0x46800000, |s0|
.LBB126_1965:
	s_mov_b32 s18, 0
.LBB126_1966:
	s_delay_alu instid0(SALU_CYCLE_1)
	s_and_not1_b32 vcc_lo, exec_lo, s18
	s_cbranch_vccnz .LBB126_1968
; %bb.1967:
	s_cmp_gt_u32 s1, 0x7f800000
	s_movk_i32 s1, 0x7f
	s_delay_alu instid0(SALU_CYCLE_1) | instskip(NEXT) | instid1(SALU_CYCLE_1)
	s_cselect_b32 s1, s1, 0x7e
	v_mov_b32_e32 v0, s1
.LBB126_1968:
	s_lshr_b32 s0, s0, 24
	s_delay_alu instid0(SALU_CYCLE_1)
	s_and_b32 s0, s0, 0x80
	s_delay_alu instid0(VALU_DEP_1) | instid1(SALU_CYCLE_1)
	v_or_b32_e32 v0, s0, v0
	global_store_b8 v[10:11], v0, off
.LBB126_1969:
	s_mov_b32 s0, 0
.LBB126_1970:
	s_delay_alu instid0(SALU_CYCLE_1)
	s_and_not1_b32 vcc_lo, exec_lo, s0
	s_cbranch_vccnz .LBB126_1992
; %bb.1971:
	v_and_b32_e64 v0, 0xff, s7
	s_delay_alu instid0(VALU_DEP_1)
	v_cmp_gt_i16_e32 vcc_lo, 0x80, v0
	s_cbranch_vccnz .LBB126_1974
; %bb.1972:
	v_cmp_eq_u16_e32 vcc_lo, 0x80, v0
	s_cbranch_vccz .LBB126_1975
; %bb.1973:
	s_mov_b32 s1, 0
	s_mov_b32 s0, 0x7f800001
	s_branch .LBB126_1976
.LBB126_1974:
	s_mov_b32 s18, -1
	s_mov_b32 s1, 0
                                        ; implicit-def: $sgpr0
	s_branch .LBB126_1977
.LBB126_1975:
	s_mov_b32 s1, -1
                                        ; implicit-def: $sgpr0
.LBB126_1976:
	s_mov_b32 s18, 0
.LBB126_1977:
	s_delay_alu instid0(SALU_CYCLE_1)
	s_and_b32 vcc_lo, exec_lo, s18
	s_cbranch_vccz .LBB126_1982
; %bb.1978:
	v_cmp_ne_u16_e64 s1, 0, v0
	s_mov_b32 s0, 0
	s_delay_alu instid0(VALU_DEP_1)
	s_and_not1_b32 vcc_lo, exec_lo, s1
	s_cbranch_vccz .LBB126_1983
.LBB126_1979:
	s_and_b32 s1, s0, 0x7fffffff
	s_delay_alu instid0(SALU_CYCLE_1)
	s_cmp_gt_u32 s1, 0x477fffff
	s_cbranch_scc1 .LBB126_1984
.LBB126_1980:
	s_cmp_lt_u32 s1, 0x38800000
	s_cbranch_scc1 .LBB126_1985
; %bb.1981:
	s_bfe_u32 s18, s0, 0x10015
	s_delay_alu instid0(SALU_CYCLE_1) | instskip(NEXT) | instid1(SALU_CYCLE_1)
	s_add_i32 s18, s0, s18
	s_add_i32 s18, s18, 0x80fffff
	s_delay_alu instid0(SALU_CYCLE_1)
	s_lshr_b32 s19, s18, 21
	s_mov_b32 s18, 0
	s_branch .LBB126_1986
.LBB126_1982:
	s_and_not1_b32 vcc_lo, exec_lo, s1
	s_cbranch_vccnz .LBB126_1979
.LBB126_1983:
	s_mov_b32 s0, s2
	s_delay_alu instid0(SALU_CYCLE_1) | instskip(NEXT) | instid1(SALU_CYCLE_1)
	s_and_b32 s1, s0, 0x7fffffff
	s_cmp_gt_u32 s1, 0x477fffff
	s_cbranch_scc0 .LBB126_1980
.LBB126_1984:
	s_mov_b32 s18, -1
                                        ; implicit-def: $vgpr0
	s_branch .LBB126_1989
.LBB126_1985:
	s_mov_b32 s18, -1
                                        ; implicit-def: $sgpr19
.LBB126_1986:
	v_mov_b32_e32 v0, s19
	s_and_not1_b32 vcc_lo, exec_lo, s18
	s_cbranch_vccnz .LBB126_1988
; %bb.1987:
	v_add_f32_e64 v0, 0x43000000, |s0|
.LBB126_1988:
	s_mov_b32 s18, 0
.LBB126_1989:
	s_delay_alu instid0(SALU_CYCLE_1)
	s_and_not1_b32 vcc_lo, exec_lo, s18
	s_cbranch_vccnz .LBB126_1991
; %bb.1990:
	s_cmp_gt_u32 s1, 0x7f800000
	s_movk_i32 s1, 0x7f
	s_delay_alu instid0(SALU_CYCLE_1) | instskip(NEXT) | instid1(SALU_CYCLE_1)
	s_cselect_b32 s1, s1, 0x7c
	v_mov_b32_e32 v0, s1
.LBB126_1991:
	s_lshr_b32 s0, s0, 24
	s_delay_alu instid0(SALU_CYCLE_1)
	s_and_b32 s0, s0, 0x80
	s_delay_alu instid0(VALU_DEP_1) | instid1(SALU_CYCLE_1)
	v_or_b32_e32 v0, s0, v0
	global_store_b8 v[10:11], v0, off
.LBB126_1992:
	s_mov_b32 s1, 0
	s_mov_b32 s0, -1
.LBB126_1993:
	s_and_not1_b32 vcc_lo, exec_lo, s1
	s_cbranch_vccnz .LBB126_2021
; %bb.1994:
	v_cmp_lt_i16_e32 vcc_lo, 14, v12
	s_mov_b32 s1, -1
	s_cbranch_vccz .LBB126_2008
; %bb.1995:
	v_cmp_eq_u16_e32 vcc_lo, 15, v12
	s_mov_b32 s17, -1
	s_cbranch_vccz .LBB126_2007
; %bb.1996:
	v_and_b32_e64 v0, 0xff, s7
	s_delay_alu instid0(VALU_DEP_1)
	v_cmp_gt_i16_e32 vcc_lo, 0x80, v0
	s_cbranch_vccnz .LBB126_1999
; %bb.1997:
	v_cmp_eq_u16_e32 vcc_lo, 0x80, v0
	s_cbranch_vccz .LBB126_2000
; %bb.1998:
	s_mov_b32 s1, 0
	s_mov_b32 s0, 0x7f800001
	s_branch .LBB126_2001
.LBB126_1999:
	s_mov_b32 s1, 0
                                        ; implicit-def: $sgpr0
	s_branch .LBB126_2002
.LBB126_2000:
                                        ; implicit-def: $sgpr0
.LBB126_2001:
	s_mov_b32 s17, 0
.LBB126_2002:
	s_delay_alu instid0(SALU_CYCLE_1)
	s_and_b32 vcc_lo, exec_lo, s17
	s_cbranch_vccz .LBB126_2004
; %bb.2003:
	v_cmp_ne_u16_e64 s1, 0, v0
	s_mov_b32 s0, 0
.LBB126_2004:
	s_delay_alu instid0(VALU_DEP_1)
	s_and_not1_b32 vcc_lo, exec_lo, s1
	s_cbranch_vccnz .LBB126_2006
; %bb.2005:
	s_mov_b32 s0, s2
.LBB126_2006:
	s_delay_alu instid0(SALU_CYCLE_1) | instskip(SKIP_4) | instid1(SALU_CYCLE_1)
	s_bfe_u32 s1, s0, 0x10010
	s_mov_b32 s17, 0
	s_add_i32 s1, s0, s1
	v_cmp_o_f32_e64 s0, s0, s0
	s_addk_i32 s1, 0x7fff
	s_lshr_b32 s1, s1, 16
	s_delay_alu instid0(VALU_DEP_1) | instskip(SKIP_1) | instid1(SALU_CYCLE_1)
	s_and_b32 s0, s0, exec_lo
	s_cselect_b32 s0, s1, 0x7fc0
	v_mov_b32_e32 v0, s0
	s_mov_b32 s0, -1
	global_store_b16 v[10:11], v0, off
.LBB126_2007:
	s_mov_b32 s1, 0
.LBB126_2008:
	s_delay_alu instid0(SALU_CYCLE_1)
	s_and_b32 vcc_lo, exec_lo, s1
	s_cbranch_vccz .LBB126_2021
; %bb.2009:
	v_cmp_eq_u16_e32 vcc_lo, 11, v12
	s_mov_b32 s17, -1
	s_cbranch_vccz .LBB126_2021
; %bb.2010:
	v_and_b32_e64 v0, 0xff, s7
	s_delay_alu instid0(VALU_DEP_1)
	v_cmp_gt_i16_e32 vcc_lo, 0x80, v0
	s_cbranch_vccnz .LBB126_2013
; %bb.2011:
	v_cmp_eq_u16_e32 vcc_lo, 0x80, v0
	s_cbranch_vccz .LBB126_2014
; %bb.2012:
	s_mov_b32 s1, 0
	s_mov_b32 s0, -1
	s_branch .LBB126_2015
.LBB126_2013:
	s_mov_b32 s1, 0
                                        ; implicit-def: $sgpr0
	s_branch .LBB126_2016
.LBB126_2014:
	s_mov_b32 s1, -1
                                        ; implicit-def: $sgpr0
.LBB126_2015:
	s_mov_b32 s17, 0
.LBB126_2016:
	s_delay_alu instid0(SALU_CYCLE_1)
	s_and_b32 vcc_lo, exec_lo, s17
	s_cbranch_vccz .LBB126_2018
; %bb.2017:
	v_cmp_ne_u16_e64 s1, 0, v0
	s_mov_b32 s0, 0
.LBB126_2018:
	s_delay_alu instid0(VALU_DEP_1)
	s_and_not1_b32 vcc_lo, exec_lo, s1
	s_cbranch_vccnz .LBB126_2020
; %bb.2019:
	s_mov_b32 s0, s9
.LBB126_2020:
	s_delay_alu instid0(SALU_CYCLE_1)
	v_cndmask_b32_e64 v0, 0, 1, s0
	s_mov_b32 s0, -1
	s_mov_b32 s17, 0
	global_store_b8 v[10:11], v0, off
.LBB126_2021:
	s_mov_b32 s1, 0
.LBB126_2022:
	s_delay_alu instid0(SALU_CYCLE_1)
	s_and_b32 vcc_lo, exec_lo, s1
	s_cbranch_vccz .LBB126_2156
; %bb.2023:
	v_cmp_gt_i16_e32 vcc_lo, 5, v12
	s_mov_b32 s0, -1
	s_cbranch_vccnz .LBB126_2104
; %bb.2024:
	v_cmp_gt_i16_e32 vcc_lo, 8, v12
	s_cbranch_vccnz .LBB126_2064
; %bb.2025:
	v_cmp_gt_i16_e32 vcc_lo, 9, v12
	s_cbranch_vccnz .LBB126_2051
; %bb.2026:
	v_cmp_lt_i16_e32 vcc_lo, 9, v12
	s_cbranch_vccz .LBB126_2038
; %bb.2027:
	v_and_b32_e64 v0, 0xff, s7
	s_delay_alu instid0(VALU_DEP_1)
	v_cmp_gt_i16_e32 vcc_lo, 0x80, v0
	s_cbranch_vccnz .LBB126_2030
; %bb.2028:
	v_cmp_eq_u16_e32 vcc_lo, 0x80, v0
	s_cbranch_vccz .LBB126_2031
; %bb.2029:
	s_mov_b32 s18, 0
	s_mov_b32 s1, 0x7ff80000
	s_brev_b32 s0, 4
	s_branch .LBB126_2032
.LBB126_2030:
	s_mov_b32 s19, -1
	s_mov_b32 s18, 0
                                        ; implicit-def: $sgpr0_sgpr1
	s_branch .LBB126_2033
.LBB126_2031:
	s_mov_b32 s18, -1
                                        ; implicit-def: $sgpr0_sgpr1
.LBB126_2032:
	s_mov_b32 s19, 0
.LBB126_2033:
	s_delay_alu instid0(SALU_CYCLE_1)
	s_and_b32 vcc_lo, exec_lo, s19
	s_cbranch_vccz .LBB126_2035
; %bb.2034:
	v_cmp_ne_u16_e64 s18, 0, v0
	s_mov_b64 s[0:1], 0
.LBB126_2035:
	s_delay_alu instid0(SALU_CYCLE_1) | instskip(NEXT) | instid1(VALU_DEP_2)
	v_dual_mov_b32 v0, s0 :: v_dual_mov_b32 v1, s1
	s_and_not1_b32 vcc_lo, exec_lo, s18
	s_cbranch_vccnz .LBB126_2037
; %bb.2036:
	v_dual_mov_b32 v0, v6 :: v_dual_mov_b32 v1, v7
.LBB126_2037:
	v_mov_b32_e32 v2, 0
	s_mov_b32 s0, 0
	s_delay_alu instid0(VALU_DEP_1)
	v_mov_b32_e32 v3, v2
	global_store_b128 v[10:11], v[0:3], off
.LBB126_2038:
	s_and_b32 vcc_lo, exec_lo, s0
	s_cbranch_vccz .LBB126_2050
; %bb.2039:
	v_and_b32_e64 v1, 0xff, s7
	s_delay_alu instid0(VALU_DEP_1)
	v_cmp_gt_i16_e32 vcc_lo, 0x80, v1
	s_cbranch_vccnz .LBB126_2042
; %bb.2040:
	v_cmp_eq_u16_e32 vcc_lo, 0x80, v1
	s_cbranch_vccz .LBB126_2043
; %bb.2041:
	s_mov_b32 s0, 0
	s_mov_b32 s1, 0x7f800001
	s_branch .LBB126_2044
.LBB126_2042:
	s_mov_b32 s18, -1
	s_mov_b32 s0, 0
                                        ; implicit-def: $sgpr1
	s_branch .LBB126_2045
.LBB126_2043:
	s_mov_b32 s0, -1
                                        ; implicit-def: $sgpr1
.LBB126_2044:
	s_mov_b32 s18, 0
.LBB126_2045:
	v_mov_b32_e32 v0, s1
	s_and_b32 vcc_lo, exec_lo, s18
	s_cbranch_vccz .LBB126_2047
; %bb.2046:
	v_and_b32_e32 v0, 0xffff, v1
	v_cmp_ne_u16_e64 s0, 0, v1
.LBB126_2047:
	s_delay_alu instid0(VALU_DEP_1)
	s_and_not1_b32 vcc_lo, exec_lo, s0
	s_cbranch_vccnz .LBB126_2049
; %bb.2048:
	v_mov_b32_e32 v0, s2
.LBB126_2049:
	v_mov_b32_e32 v1, 0
	global_store_b64 v[10:11], v[0:1], off
.LBB126_2050:
	s_mov_b32 s0, 0
.LBB126_2051:
	s_delay_alu instid0(SALU_CYCLE_1)
	s_and_not1_b32 vcc_lo, exec_lo, s0
	s_cbranch_vccnz .LBB126_2063
; %bb.2052:
	v_and_b32_e64 v0, 0xff, s7
	s_delay_alu instid0(VALU_DEP_1)
	v_cmp_gt_i16_e32 vcc_lo, 0x80, v0
	s_cbranch_vccnz .LBB126_2055
; %bb.2053:
	v_cmp_eq_u16_e32 vcc_lo, 0x80, v0
	s_cbranch_vccz .LBB126_2056
; %bb.2054:
	s_mov_b32 s0, 0
	s_movk_i32 s1, 0x7e00
	s_branch .LBB126_2057
.LBB126_2055:
	s_mov_b32 s18, -1
	s_mov_b32 s0, 0
                                        ; implicit-def: $sgpr1
	s_branch .LBB126_2058
.LBB126_2056:
	s_mov_b32 s0, -1
                                        ; implicit-def: $sgpr1
.LBB126_2057:
	s_mov_b32 s18, 0
.LBB126_2058:
	v_mov_b32_e32 v1, s1
	s_and_b32 vcc_lo, exec_lo, s18
	s_cbranch_vccz .LBB126_2060
; %bb.2059:
	v_and_b32_e32 v1, 0xffff, v0
	v_cmp_ne_u16_e64 s0, 0, v0
.LBB126_2060:
	s_delay_alu instid0(VALU_DEP_1)
	s_and_not1_b32 vcc_lo, exec_lo, s0
	s_cbranch_vccnz .LBB126_2062
; %bb.2061:
	v_mov_b32_e32 v1, v15
.LBB126_2062:
	global_store_b32 v[10:11], v1, off
.LBB126_2063:
	s_mov_b32 s0, 0
.LBB126_2064:
	s_delay_alu instid0(SALU_CYCLE_1)
	s_and_not1_b32 vcc_lo, exec_lo, s0
	s_cbranch_vccnz .LBB126_2103
; %bb.2065:
	v_cmp_gt_i16_e32 vcc_lo, 6, v12
	s_mov_b32 s0, -1
	s_cbranch_vccnz .LBB126_2091
; %bb.2066:
	v_cmp_lt_i16_e32 vcc_lo, 6, v12
	s_cbranch_vccz .LBB126_2078
; %bb.2067:
	v_and_b32_e64 v0, 0xff, s7
	s_delay_alu instid0(VALU_DEP_1)
	v_cmp_gt_i16_e32 vcc_lo, 0x80, v0
	s_cbranch_vccnz .LBB126_2070
; %bb.2068:
	v_cmp_eq_u16_e32 vcc_lo, 0x80, v0
	s_cbranch_vccz .LBB126_2071
; %bb.2069:
	s_mov_b32 s18, 0
	s_mov_b32 s1, 0x7ff80000
	s_brev_b32 s0, 4
	s_branch .LBB126_2072
.LBB126_2070:
	s_mov_b32 s19, -1
	s_mov_b32 s18, 0
                                        ; implicit-def: $sgpr0_sgpr1
	s_branch .LBB126_2073
.LBB126_2071:
	s_mov_b32 s18, -1
                                        ; implicit-def: $sgpr0_sgpr1
.LBB126_2072:
	s_mov_b32 s19, 0
.LBB126_2073:
	s_delay_alu instid0(SALU_CYCLE_1)
	s_and_b32 vcc_lo, exec_lo, s19
	s_cbranch_vccz .LBB126_2075
; %bb.2074:
	v_cmp_ne_u16_e64 s18, 0, v0
	s_mov_b64 s[0:1], 0
.LBB126_2075:
	s_delay_alu instid0(SALU_CYCLE_1) | instskip(NEXT) | instid1(VALU_DEP_2)
	v_dual_mov_b32 v0, s0 :: v_dual_mov_b32 v1, s1
	s_and_not1_b32 vcc_lo, exec_lo, s18
	s_cbranch_vccnz .LBB126_2077
; %bb.2076:
	v_dual_mov_b32 v0, v6 :: v_dual_mov_b32 v1, v7
.LBB126_2077:
	s_mov_b32 s0, 0
	global_store_b64 v[10:11], v[0:1], off
.LBB126_2078:
	s_and_b32 vcc_lo, exec_lo, s0
	s_cbranch_vccz .LBB126_2090
; %bb.2079:
	v_and_b32_e64 v0, 0xff, s7
	s_delay_alu instid0(VALU_DEP_1)
	v_cmp_gt_i16_e32 vcc_lo, 0x80, v0
	s_cbranch_vccnz .LBB126_2082
; %bb.2080:
	v_cmp_eq_u16_e32 vcc_lo, 0x80, v0
	s_cbranch_vccz .LBB126_2083
; %bb.2081:
	s_mov_b32 s1, 0
	s_mov_b32 s0, 0x7f800001
	s_branch .LBB126_2084
.LBB126_2082:
	s_mov_b32 s18, -1
	s_mov_b32 s1, 0
                                        ; implicit-def: $sgpr0
	s_branch .LBB126_2085
.LBB126_2083:
	s_mov_b32 s1, -1
                                        ; implicit-def: $sgpr0
.LBB126_2084:
	s_mov_b32 s18, 0
.LBB126_2085:
	s_delay_alu instid0(SALU_CYCLE_1)
	s_and_b32 vcc_lo, exec_lo, s18
	s_cbranch_vccz .LBB126_2087
; %bb.2086:
	v_cmp_ne_u16_e64 s1, 0, v0
	s_mov_b32 s0, 0
.LBB126_2087:
	s_delay_alu instid0(VALU_DEP_1)
	s_and_not1_b32 vcc_lo, exec_lo, s1
	s_cbranch_vccnz .LBB126_2089
; %bb.2088:
	s_mov_b32 s0, s2
.LBB126_2089:
	s_delay_alu instid0(SALU_CYCLE_1)
	v_mov_b32_e32 v0, s0
	global_store_b32 v[10:11], v0, off
.LBB126_2090:
	s_mov_b32 s0, 0
.LBB126_2091:
	s_delay_alu instid0(SALU_CYCLE_1)
	s_and_not1_b32 vcc_lo, exec_lo, s0
	s_cbranch_vccnz .LBB126_2103
; %bb.2092:
	v_and_b32_e64 v0, 0xff, s7
	s_delay_alu instid0(VALU_DEP_1)
	v_cmp_gt_i16_e32 vcc_lo, 0x80, v0
	s_cbranch_vccnz .LBB126_2095
; %bb.2093:
	v_cmp_eq_u16_e32 vcc_lo, 0x80, v0
	s_cbranch_vccz .LBB126_2096
; %bb.2094:
	s_mov_b32 s0, 0
	s_movk_i32 s1, 0x7e00
	s_branch .LBB126_2097
.LBB126_2095:
	s_mov_b32 s18, -1
	s_mov_b32 s0, 0
                                        ; implicit-def: $sgpr1
	s_branch .LBB126_2098
.LBB126_2096:
	s_mov_b32 s0, -1
                                        ; implicit-def: $sgpr1
.LBB126_2097:
	s_mov_b32 s18, 0
.LBB126_2098:
	v_mov_b32_e32 v1, s1
	s_and_b32 vcc_lo, exec_lo, s18
	s_cbranch_vccz .LBB126_2100
; %bb.2099:
	v_cmp_ne_u16_e64 s0, 0, v0
	v_mov_b32_e32 v1, v0
.LBB126_2100:
	s_delay_alu instid0(VALU_DEP_2)
	s_and_not1_b32 vcc_lo, exec_lo, s0
	s_cbranch_vccnz .LBB126_2102
; %bb.2101:
	v_mov_b32_e32 v1, v14
.LBB126_2102:
	global_store_b16 v[10:11], v1, off
.LBB126_2103:
	s_mov_b32 s0, 0
.LBB126_2104:
	s_delay_alu instid0(SALU_CYCLE_1)
	s_and_not1_b32 vcc_lo, exec_lo, s0
	s_cbranch_vccnz .LBB126_2155
; %bb.2105:
	v_cmp_gt_i16_e32 vcc_lo, 2, v12
	s_mov_b32 s0, -1
	s_cbranch_vccnz .LBB126_2136
; %bb.2106:
	v_cmp_gt_i16_e32 vcc_lo, 3, v12
	s_cbranch_vccnz .LBB126_2126
; %bb.2107:
	v_cmp_lt_i16_e32 vcc_lo, 3, v12
	s_cbranch_vccz .LBB126_2116
; %bb.2108:
	v_and_b32_e64 v0, 0xff, s7
	s_delay_alu instid0(VALU_DEP_1)
	v_cmp_gt_i16_e32 vcc_lo, 0x80, v0
	s_cbranch_vccnz .LBB126_2110
; %bb.2109:
	v_cmp_ne_u16_e64 s18, 0x80, v0
	s_mov_b32 s19, 0
	s_mov_b64 s[0:1], 0
	s_branch .LBB126_2111
.LBB126_2110:
	s_mov_b32 s19, -1
	s_mov_b32 s18, 0
                                        ; implicit-def: $sgpr0_sgpr1
.LBB126_2111:
	s_and_not1_b32 vcc_lo, exec_lo, s19
	s_cbranch_vccnz .LBB126_2113
; %bb.2112:
	v_cmp_ne_u16_e64 s18, 0, v0
	s_mov_b64 s[0:1], 0
.LBB126_2113:
	s_delay_alu instid0(SALU_CYCLE_1) | instskip(NEXT) | instid1(VALU_DEP_2)
	v_dual_mov_b32 v0, s0 :: v_dual_mov_b32 v1, s1
	s_and_not1_b32 vcc_lo, exec_lo, s18
	s_cbranch_vccnz .LBB126_2115
; %bb.2114:
	v_dual_mov_b32 v0, v4 :: v_dual_mov_b32 v1, v5
.LBB126_2115:
	s_mov_b32 s0, 0
	global_store_b64 v[10:11], v[0:1], off
.LBB126_2116:
	s_and_b32 vcc_lo, exec_lo, s0
	s_cbranch_vccz .LBB126_2125
; %bb.2117:
	v_and_b32_e64 v0, 0xff, s7
	s_delay_alu instid0(VALU_DEP_1)
	v_cmp_gt_i16_e32 vcc_lo, 0x80, v0
	s_cbranch_vccnz .LBB126_2119
; %bb.2118:
	v_cmp_ne_u16_e64 s0, 0x80, v0
	s_mov_b32 s18, 0
	s_mov_b32 s1, 0
	s_branch .LBB126_2120
.LBB126_2119:
	s_mov_b32 s18, -1
	s_mov_b32 s0, 0
                                        ; implicit-def: $sgpr1
.LBB126_2120:
	s_and_not1_b32 vcc_lo, exec_lo, s18
	s_cbranch_vccnz .LBB126_2122
; %bb.2121:
	v_cmp_ne_u16_e64 s0, 0, v0
	s_mov_b32 s1, 0
.LBB126_2122:
	s_delay_alu instid0(SALU_CYCLE_1) | instskip(NEXT) | instid1(VALU_DEP_2)
	v_mov_b32_e32 v0, s1
	s_and_not1_b32 vcc_lo, exec_lo, s0
	s_cbranch_vccnz .LBB126_2124
; %bb.2123:
	v_mov_b32_e32 v0, v13
.LBB126_2124:
	global_store_b32 v[10:11], v0, off
.LBB126_2125:
	s_mov_b32 s0, 0
.LBB126_2126:
	s_delay_alu instid0(SALU_CYCLE_1)
	s_and_not1_b32 vcc_lo, exec_lo, s0
	s_cbranch_vccnz .LBB126_2135
; %bb.2127:
	v_and_b32_e64 v0, 0xff, s7
	s_delay_alu instid0(VALU_DEP_1)
	v_cmp_gt_i16_e32 vcc_lo, 0x80, v0
	s_cbranch_vccnz .LBB126_2129
; %bb.2128:
	v_cmp_ne_u16_e64 s0, 0x80, v0
	s_mov_b32 s18, 0
	s_mov_b32 s1, 0
	s_branch .LBB126_2130
.LBB126_2129:
	s_mov_b32 s18, -1
	s_mov_b32 s0, 0
                                        ; implicit-def: $sgpr1
.LBB126_2130:
	s_and_not1_b32 vcc_lo, exec_lo, s18
	s_cbranch_vccnz .LBB126_2132
; %bb.2131:
	v_cmp_ne_u16_e64 s0, 0, v0
	s_mov_b32 s1, 0
.LBB126_2132:
	s_delay_alu instid0(SALU_CYCLE_1) | instskip(NEXT) | instid1(VALU_DEP_2)
	v_mov_b32_e32 v0, s1
	s_and_not1_b32 vcc_lo, exec_lo, s0
	s_cbranch_vccnz .LBB126_2134
; %bb.2133:
	v_mov_b32_e32 v0, v13
.LBB126_2134:
	global_store_b16 v[10:11], v0, off
.LBB126_2135:
	s_mov_b32 s0, 0
.LBB126_2136:
	s_delay_alu instid0(SALU_CYCLE_1)
	s_and_not1_b32 vcc_lo, exec_lo, s0
	s_cbranch_vccnz .LBB126_2155
; %bb.2137:
	v_cmp_lt_i16_e32 vcc_lo, 0, v12
	s_mov_b32 s0, 0
	s_mov_b32 s1, -1
	s_cbranch_vccz .LBB126_2146
; %bb.2138:
	v_and_b32_e64 v0, 0xff, s7
	s_delay_alu instid0(VALU_DEP_1)
	v_cmp_gt_i16_e32 vcc_lo, 0x80, v0
	s_cbranch_vccnz .LBB126_2140
; %bb.2139:
	v_cmp_ne_u16_e64 s0, 0x80, v0
	s_mov_b32 s18, 0
	s_mov_b32 s1, 0
	s_branch .LBB126_2141
.LBB126_2140:
	s_mov_b32 s18, -1
                                        ; implicit-def: $sgpr1
.LBB126_2141:
	s_delay_alu instid0(SALU_CYCLE_1)
	s_and_not1_b32 vcc_lo, exec_lo, s18
	s_cbranch_vccnz .LBB126_2143
; %bb.2142:
	v_cmp_ne_u16_e64 s0, 0, v0
	s_mov_b32 s1, 0
.LBB126_2143:
	s_delay_alu instid0(SALU_CYCLE_1) | instskip(NEXT) | instid1(VALU_DEP_2)
	v_mov_b32_e32 v0, s1
	s_and_not1_b32 vcc_lo, exec_lo, s0
	s_cbranch_vccnz .LBB126_2145
; %bb.2144:
	v_mov_b32_e32 v0, v13
.LBB126_2145:
	s_mov_b32 s1, 0
	global_store_b8 v[10:11], v0, off
.LBB126_2146:
	s_and_b32 vcc_lo, exec_lo, s1
	s_cbranch_vccz .LBB126_2155
; %bb.2147:
	v_and_b32_e64 v0, 0xff, s7
	s_delay_alu instid0(VALU_DEP_1)
	v_cmp_gt_i16_e32 vcc_lo, 0x80, v0
	s_cbranch_vccnz .LBB126_2149
; %bb.2148:
	v_cmp_ne_u16_e64 s0, 0x80, v0
	s_mov_b32 s18, 0
	s_mov_b32 s1, 0
	s_branch .LBB126_2150
.LBB126_2149:
	s_mov_b32 s18, -1
	s_mov_b32 s0, 0
                                        ; implicit-def: $sgpr1
.LBB126_2150:
	s_and_not1_b32 vcc_lo, exec_lo, s18
	s_cbranch_vccnz .LBB126_2152
; %bb.2151:
	v_cmp_ne_u16_e64 s0, 0, v0
	s_mov_b32 s1, 0
.LBB126_2152:
	s_delay_alu instid0(SALU_CYCLE_1) | instskip(NEXT) | instid1(VALU_DEP_2)
	v_mov_b32_e32 v0, s1
	s_and_not1_b32 vcc_lo, exec_lo, s0
	s_cbranch_vccnz .LBB126_2154
; %bb.2153:
	v_mov_b32_e32 v0, v4
.LBB126_2154:
	global_store_b8 v[10:11], v0, off
.LBB126_2155:
	s_mov_b32 s0, -1
.LBB126_2156:
	s_delay_alu instid0(SALU_CYCLE_1)
	s_and_not1_b32 vcc_lo, exec_lo, s0
	s_cbranch_vccnz .LBB126_2158
; %bb.2157:
	v_add_nc_u32_e32 v17, 0x80, v17
	s_mov_b32 s0, -1
	s_branch .LBB126_2159
.LBB126_2158:
	s_mov_b32 s0, 0
                                        ; implicit-def: $vgpr17
.LBB126_2159:
	s_and_not1_b32 s1, s14, exec_lo
	s_and_b32 s17, s17, exec_lo
	s_or_not1_b32 s18, s0, exec_lo
	s_or_b32 s17, s1, s17
.LBB126_2160:
	s_or_b32 exec_lo, exec_lo, s16
	s_mov_b32 s0, 0
	s_mov_b32 s1, 0
                                        ; implicit-def: $vgpr10_vgpr11
	s_and_saveexec_b32 s16, s18
	s_cbranch_execz .LBB126_2471
; %bb.2161:
	v_cmp_gt_i32_e32 vcc_lo, s11, v17
	s_mov_b32 s18, s17
                                        ; implicit-def: $vgpr10_vgpr11
	s_and_saveexec_b32 s11, vcc_lo
	s_cbranch_execz .LBB126_2470
; %bb.2162:
	v_mul_lo_u32 v0, v17, s6
	v_cmp_gt_i16_e32 vcc_lo, 11, v12
	s_delay_alu instid0(VALU_DEP_2) | instskip(SKIP_1) | instid1(VALU_DEP_1)
	v_ashrrev_i32_e32 v1, 31, v0
	v_add_co_u32 v10, s0, s4, v0
	v_add_co_ci_u32_e64 v11, s0, s5, v1, s0
	s_cbranch_vccnz .LBB126_2171
; %bb.2163:
	v_cmp_lt_i16_e32 vcc_lo, 25, v12
	s_mov_b32 s1, -1
	s_mov_b32 s0, s17
	s_cbranch_vccz .LBB126_2400
; %bb.2164:
	v_cmp_lt_i16_e32 vcc_lo, 28, v12
	s_mov_b32 s0, s17
	s_cbranch_vccz .LBB126_2358
; %bb.2165:
	v_cmp_lt_i16_e32 vcc_lo, 43, v12
	;; [unrolled: 4-line block ×3, first 2 shown]
	s_mov_b32 s0, s17
	s_cbranch_vccz .LBB126_2331
; %bb.2167:
	v_cmp_eq_u16_e32 vcc_lo, 46, v12
	s_mov_b32 s0, -1
	s_cbranch_vccz .LBB126_2172
; %bb.2168:
	v_and_b32_e64 v0, 0xff, s7
	s_delay_alu instid0(VALU_DEP_1)
	v_cmp_gt_i16_e32 vcc_lo, 0x80, v0
	s_cbranch_vccnz .LBB126_2173
; %bb.2169:
	v_cmp_eq_u16_e32 vcc_lo, 0x80, v0
	s_cbranch_vccz .LBB126_2324
; %bb.2170:
	s_mov_b32 s1, 0
	s_mov_b32 s0, 0x7f800001
	s_branch .LBB126_2325
.LBB126_2171:
	s_mov_b32 s10, 0
	s_mov_b32 s1, -1
	s_mov_b32 s0, s17
	s_branch .LBB126_2469
.LBB126_2172:
	s_mov_b32 s1, 0
	s_branch .LBB126_2331
.LBB126_2173:
	s_mov_b32 s18, -1
	s_mov_b32 s1, 0
                                        ; implicit-def: $sgpr0
	s_branch .LBB126_2326
.LBB126_2174:
                                        ; implicit-def: $sgpr0
.LBB126_2175:
	s_mov_b32 s5, 0
.LBB126_2176:
	s_delay_alu instid0(SALU_CYCLE_1)
	s_and_b32 vcc_lo, exec_lo, s5
	s_cbranch_vccz .LBB126_2178
; %bb.2177:
	v_cmp_ne_u16_e64 s1, 0, v0
	s_mov_b32 s0, 0
.LBB126_2178:
	s_delay_alu instid0(VALU_DEP_1)
	s_and_not1_b32 vcc_lo, exec_lo, s1
	s_cbranch_vccnz .LBB126_2180
; %bb.2179:
	v_lshrrev_b16 v0, 2, s7
	s_and_b32 s0, s7, 3
	s_lshl_b32 s9, s7, 24
	s_clz_i32_u32 s1, s0
	s_delay_alu instid0(SALU_CYCLE_1) | instskip(SKIP_4) | instid1(VALU_DEP_1)
	s_min_u32 s1, s1, 32
	v_readfirstlane_b32 s5, v0
	s_sub_i32 s6, s1, 29
	s_sub_i32 s1, 30, s1
	s_lshl_b32 s6, s7, s6
	s_and_b32 s5, s5, 31
	s_and_b32 s6, s6, 3
	s_cmp_eq_u32 s5, 0
	s_cselect_b32 s1, s1, s5
	s_cselect_b32 s0, s6, s0
	s_lshl_b32 s1, s1, 23
	s_and_b32 s5, s9, 0x80000000
	s_add_i32 s1, s1, 0x37800000
	s_lshl_b32 s0, s0, 21
	s_or_b32 s1, s5, s1
	s_delay_alu instid0(SALU_CYCLE_1)
	s_or_b32 s0, s1, s0
.LBB126_2180:
	s_delay_alu instid0(SALU_CYCLE_1) | instskip(NEXT) | instid1(SALU_CYCLE_1)
	s_bfe_u32 s1, s0, 0x10010
	s_add_i32 s1, s0, s1
	v_cmp_o_f32_e64 s0, s0, s0
	s_addk_i32 s1, 0x7fff
	s_delay_alu instid0(SALU_CYCLE_1) | instskip(NEXT) | instid1(VALU_DEP_1)
	s_lshr_b32 s1, s1, 16
	s_and_b32 s0, s0, exec_lo
	s_cselect_b32 s0, s1, 0x7fc0
	s_delay_alu instid0(SALU_CYCLE_1)
	v_mov_b32_e32 v0, s0
	s_mov_b32 s0, 0
	global_store_b32 v[4:5], v0, off
.LBB126_2181:
	s_mov_b32 s1, 0
.LBB126_2182:
	s_delay_alu instid0(SALU_CYCLE_1)
	s_and_b32 vcc_lo, exec_lo, s1
	s_cbranch_vccz .LBB126_2195
; %bb.2183:
	v_cmp_eq_u16_e32 vcc_lo, 44, v12
	s_mov_b32 s0, -1
	s_cbranch_vccz .LBB126_2195
; %bb.2184:
	v_and_b32_e64 v0, 0xff, s7
	s_delay_alu instid0(VALU_DEP_1)
	v_cmp_gt_i16_e32 vcc_lo, 0x80, v0
	v_readfirstlane_b32 s1, v0
	s_cbranch_vccnz .LBB126_2187
; %bb.2185:
	s_delay_alu instid0(VALU_DEP_1) | instskip(NEXT) | instid1(VALU_DEP_1)
	v_cmp_eq_u16_e64 s0, 0x80, s1
	s_and_b32 vcc_lo, exec_lo, s0
	s_cbranch_vccz .LBB126_2188
; %bb.2186:
	s_mov_b32 s5, 0
	s_mov_b32 s0, 0x7f800001
	s_branch .LBB126_2189
.LBB126_2187:
	s_mov_b32 s6, -1
	s_mov_b32 s5, 0
                                        ; implicit-def: $sgpr0
	s_branch .LBB126_2190
.LBB126_2188:
	s_mov_b32 s5, -1
                                        ; implicit-def: $sgpr0
.LBB126_2189:
	s_mov_b32 s6, 0
.LBB126_2190:
	s_delay_alu instid0(SALU_CYCLE_1)
	s_and_b32 vcc_lo, exec_lo, s6
	s_cbranch_vccz .LBB126_2200
; %bb.2191:
	v_cmp_ne_u16_e64 s5, s1, 0
	s_and_b32 s0, 0xffff, s1
	s_delay_alu instid0(VALU_DEP_1)
	s_and_not1_b32 vcc_lo, exec_lo, s5
	s_cbranch_vccz .LBB126_2201
.LBB126_2192:
	v_mov_b32_e32 v0, 0xff
	s_bfe_u32 s1, s0, 0x80017
	s_delay_alu instid0(SALU_CYCLE_1)
	s_cmpk_eq_i32 s1, 0xff
	s_cbranch_scc1 .LBB126_2194
.LBB126_2193:
	s_lshr_b32 s5, s0, 23
	s_bitcmp1_b32 s0, 22
	s_cselect_b32 s6, -1, 0
	s_and_b32 s0, s0, 0x3fffff
	s_delay_alu instid0(SALU_CYCLE_1) | instskip(NEXT) | instid1(SALU_CYCLE_1)
	s_or_b32 s0, s1, s0
	s_cmp_lg_u32 s0, 0
	s_cselect_b32 s0, -1, 0
	s_delay_alu instid0(SALU_CYCLE_1) | instskip(NEXT) | instid1(SALU_CYCLE_1)
	s_and_b32 s0, s6, s0
	v_cndmask_b32_e64 v0, 0, 1, s0
	s_delay_alu instid0(VALU_DEP_1)
	v_add_nc_u32_e32 v0, s5, v0
.LBB126_2194:
	s_mov_b32 s0, 0
	global_store_b8 v[4:5], v0, off
.LBB126_2195:
	s_mov_b32 s1, 0
.LBB126_2196:
	s_delay_alu instid0(SALU_CYCLE_1)
	s_and_b32 vcc_lo, exec_lo, s1
	s_cbranch_vccz .LBB126_2208
; %bb.2197:
	v_cmp_eq_u16_e32 vcc_lo, 29, v12
	s_mov_b32 s0, -1
	s_cbranch_vccz .LBB126_2208
; %bb.2198:
	v_and_b32_e64 v0, 0xff, s7
	s_delay_alu instid0(VALU_DEP_1)
	v_cmp_gt_i16_e32 vcc_lo, 0x80, v0
	s_cbranch_vccnz .LBB126_2202
; %bb.2199:
	v_cmp_ne_u16_e64 s5, 0x80, v0
	s_mov_b32 s6, 0
	s_mov_b64 s[0:1], 0
	s_branch .LBB126_2203
.LBB126_2200:
	s_and_not1_b32 vcc_lo, exec_lo, s5
	s_cbranch_vccnz .LBB126_2192
.LBB126_2201:
	v_lshrrev_b16 v0, 2, s7
	s_and_b32 s0, s7, 3
	s_delay_alu instid0(SALU_CYCLE_1) | instskip(NEXT) | instid1(SALU_CYCLE_1)
	s_clz_i32_u32 s1, s0
	s_min_u32 s1, s1, 32
	s_delay_alu instid0(VALU_DEP_1) | instskip(SKIP_3) | instid1(VALU_DEP_1)
	v_readfirstlane_b32 s5, v0
	s_sub_i32 s6, s1, 29
	s_sub_i32 s1, 30, s1
	s_lshl_b32 s6, s7, s6
	s_and_b32 s5, s5, 31
	s_and_b32 s6, s6, 3
	s_cmp_eq_u32 s5, 0
	s_cselect_b32 s0, s6, s0
	s_cselect_b32 s1, s1, s5
	s_lshl_b32 s0, s0, 21
	s_lshl_b32 s1, s1, 23
	s_delay_alu instid0(SALU_CYCLE_1) | instskip(NEXT) | instid1(SALU_CYCLE_1)
	s_or_b32 s0, s1, s0
	s_add_i32 s0, s0, 0x37800000
	v_mov_b32_e32 v0, 0xff
	s_bfe_u32 s1, s0, 0x80017
	s_delay_alu instid0(SALU_CYCLE_1)
	s_cmpk_eq_i32 s1, 0xff
	s_cbranch_scc0 .LBB126_2193
	s_branch .LBB126_2194
.LBB126_2202:
	s_mov_b32 s6, -1
	s_mov_b32 s5, 0
                                        ; implicit-def: $sgpr0_sgpr1
.LBB126_2203:
	s_and_not1_b32 vcc_lo, exec_lo, s6
	s_cbranch_vccnz .LBB126_2205
; %bb.2204:
	v_cmp_ne_u16_e64 s5, 0, v0
	s_mov_b64 s[0:1], 0
.LBB126_2205:
	s_delay_alu instid0(SALU_CYCLE_1) | instskip(NEXT) | instid1(VALU_DEP_2)
	v_dual_mov_b32 v0, s0 :: v_dual_mov_b32 v1, s1
	s_and_not1_b32 vcc_lo, exec_lo, s5
	s_cbranch_vccnz .LBB126_2207
; %bb.2206:
	v_lshrrev_b16 v0, 2, s7
	s_and_b32 s0, s7, 3
	s_lshl_b32 s6, s7, 24
	s_clz_i32_u32 s1, s0
	s_delay_alu instid0(SALU_CYCLE_1) | instskip(SKIP_4) | instid1(VALU_DEP_1)
	s_min_u32 s1, s1, 32
	v_readfirstlane_b32 s5, v0
	s_sub_i32 s9, s1, 29
	s_sub_i32 s1, 30, s1
	s_lshl_b32 s9, s7, s9
	s_and_b32 s5, s5, 31
	s_and_b32 s9, s9, 3
	s_cmp_eq_u32 s5, 0
	s_cselect_b32 s1, s1, s5
	s_cselect_b32 s0, s9, s0
	s_lshl_b32 s1, s1, 23
	s_and_b32 s5, s6, 0x80000000
	s_add_i32 s1, s1, 0x37800000
	s_lshl_b32 s0, s0, 21
	s_or_b32 s1, s5, s1
	s_delay_alu instid0(SALU_CYCLE_1) | instskip(NEXT) | instid1(SALU_CYCLE_1)
	s_or_b32 s0, s1, s0
	v_trunc_f32_e32 v0, s0
	s_delay_alu instid0(VALU_DEP_1) | instskip(NEXT) | instid1(VALU_DEP_1)
	v_mul_f32_e32 v1, 0x2f800000, v0
	v_floor_f32_e32 v1, v1
	s_delay_alu instid0(VALU_DEP_1) | instskip(SKIP_1) | instid1(VALU_DEP_2)
	v_fmamk_f32 v0, v1, 0xcf800000, v0
	v_cvt_u32_f32_e32 v1, v1
	v_cvt_u32_f32_e32 v0, v0
.LBB126_2207:
	s_mov_b32 s0, 0
	global_store_b64 v[4:5], v[0:1], off
.LBB126_2208:
	s_mov_b32 s1, 0
.LBB126_2209:
	s_delay_alu instid0(SALU_CYCLE_1)
	s_and_b32 vcc_lo, exec_lo, s1
	s_cbranch_vccz .LBB126_2250
; %bb.2210:
	v_cmp_gt_i16_e32 vcc_lo, 27, v12
	s_mov_b32 s1, -1
	s_cbranch_vccnz .LBB126_2230
; %bb.2211:
	v_cmp_lt_i16_e32 vcc_lo, 27, v12
	s_cbranch_vccz .LBB126_2220
; %bb.2212:
	v_and_b32_e64 v0, 0xff, s7
	s_delay_alu instid0(VALU_DEP_1)
	v_cmp_gt_i16_e32 vcc_lo, 0x80, v0
	s_cbranch_vccnz .LBB126_2214
; %bb.2213:
	v_cmp_ne_u16_e64 s1, 0x80, v0
	s_mov_b32 s6, 0
	s_mov_b32 s5, 0
	s_branch .LBB126_2215
.LBB126_2214:
	s_mov_b32 s6, -1
	s_mov_b32 s1, 0
                                        ; implicit-def: $sgpr5
.LBB126_2215:
	s_and_not1_b32 vcc_lo, exec_lo, s6
	s_cbranch_vccnz .LBB126_2217
; %bb.2216:
	v_cmp_ne_u16_e64 s1, 0, v0
	s_mov_b32 s5, 0
.LBB126_2217:
	s_delay_alu instid0(SALU_CYCLE_1) | instskip(NEXT) | instid1(VALU_DEP_2)
	v_mov_b32_e32 v0, s5
	s_and_not1_b32 vcc_lo, exec_lo, s1
	s_cbranch_vccnz .LBB126_2219
; %bb.2218:
	v_lshrrev_b16 v0, 2, s7
	s_and_b32 s1, s7, 3
	s_lshl_b32 s10, s7, 24
	s_clz_i32_u32 s5, s1
	s_delay_alu instid0(SALU_CYCLE_1) | instskip(SKIP_4) | instid1(VALU_DEP_1)
	s_min_u32 s5, s5, 32
	v_readfirstlane_b32 s6, v0
	s_sub_i32 s9, s5, 29
	s_sub_i32 s5, 30, s5
	s_lshl_b32 s9, s7, s9
	s_and_b32 s6, s6, 31
	s_and_b32 s9, s9, 3
	s_cmp_eq_u32 s6, 0
	s_cselect_b32 s5, s5, s6
	s_cselect_b32 s1, s9, s1
	s_lshl_b32 s5, s5, 23
	s_and_b32 s6, s10, 0x80000000
	s_add_i32 s5, s5, 0x37800000
	s_lshl_b32 s1, s1, 21
	s_or_b32 s5, s6, s5
	s_delay_alu instid0(SALU_CYCLE_1) | instskip(NEXT) | instid1(SALU_CYCLE_1)
	s_or_b32 s1, s5, s1
	v_cvt_u32_f32_e32 v0, s1
.LBB126_2219:
	s_mov_b32 s1, 0
	global_store_b32 v[4:5], v0, off
.LBB126_2220:
	s_and_b32 vcc_lo, exec_lo, s1
	s_cbranch_vccz .LBB126_2229
; %bb.2221:
	v_and_b32_e64 v0, 0xff, s7
	s_delay_alu instid0(VALU_DEP_1)
	v_cmp_gt_i16_e32 vcc_lo, 0x80, v0
	s_cbranch_vccnz .LBB126_2223
; %bb.2222:
	v_cmp_ne_u16_e64 s1, 0x80, v0
	s_mov_b32 s6, 0
	s_mov_b32 s5, 0
	s_branch .LBB126_2224
.LBB126_2223:
	s_mov_b32 s6, -1
	s_mov_b32 s1, 0
                                        ; implicit-def: $sgpr5
.LBB126_2224:
	s_and_not1_b32 vcc_lo, exec_lo, s6
	s_cbranch_vccnz .LBB126_2226
; %bb.2225:
	v_cmp_ne_u16_e64 s1, 0, v0
	s_mov_b32 s5, 0
.LBB126_2226:
	s_delay_alu instid0(SALU_CYCLE_1) | instskip(NEXT) | instid1(VALU_DEP_2)
	v_mov_b32_e32 v0, s5
	s_and_not1_b32 vcc_lo, exec_lo, s1
	s_cbranch_vccnz .LBB126_2228
; %bb.2227:
	v_lshrrev_b16 v0, 2, s7
	s_and_b32 s1, s7, 3
	s_lshl_b32 s10, s7, 24
	s_clz_i32_u32 s5, s1
	s_delay_alu instid0(SALU_CYCLE_1) | instskip(SKIP_4) | instid1(VALU_DEP_1)
	s_min_u32 s5, s5, 32
	v_readfirstlane_b32 s6, v0
	s_sub_i32 s9, s5, 29
	s_sub_i32 s5, 30, s5
	s_lshl_b32 s9, s7, s9
	s_and_b32 s6, s6, 31
	s_and_b32 s9, s9, 3
	s_cmp_eq_u32 s6, 0
	s_cselect_b32 s5, s5, s6
	s_cselect_b32 s1, s9, s1
	s_lshl_b32 s5, s5, 23
	s_and_b32 s6, s10, 0x80000000
	s_add_i32 s5, s5, 0x37800000
	s_lshl_b32 s1, s1, 21
	s_or_b32 s5, s6, s5
	s_delay_alu instid0(SALU_CYCLE_1) | instskip(NEXT) | instid1(SALU_CYCLE_1)
	s_or_b32 s1, s5, s1
	v_cvt_u32_f32_e32 v0, s1
.LBB126_2228:
	global_store_b16 v[4:5], v0, off
.LBB126_2229:
	s_mov_b32 s1, 0
.LBB126_2230:
	s_delay_alu instid0(SALU_CYCLE_1)
	s_and_not1_b32 vcc_lo, exec_lo, s1
	s_cbranch_vccnz .LBB126_2250
; %bb.2231:
	v_and_b32_e64 v0, 0xff, s7
	s_delay_alu instid0(VALU_DEP_1)
	v_cmp_gt_i16_e32 vcc_lo, 0x80, v0
	s_cbranch_vccnz .LBB126_2234
; %bb.2232:
	v_cmp_eq_u16_e32 vcc_lo, 0x80, v0
	s_cbranch_vccz .LBB126_2235
; %bb.2233:
	s_mov_b32 s5, 0
	s_mov_b32 s1, 0x7f800001
	s_branch .LBB126_2236
.LBB126_2234:
	s_mov_b32 s6, -1
	s_mov_b32 s5, 0
                                        ; implicit-def: $sgpr1
	s_branch .LBB126_2237
.LBB126_2235:
	s_mov_b32 s5, -1
                                        ; implicit-def: $sgpr1
.LBB126_2236:
	s_mov_b32 s6, 0
.LBB126_2237:
	s_delay_alu instid0(SALU_CYCLE_1)
	s_and_b32 vcc_lo, exec_lo, s6
	s_cbranch_vccz .LBB126_2240
; %bb.2238:
	v_cmp_ne_u16_e64 s5, 0, v0
	s_mov_b32 s1, 0
	s_delay_alu instid0(VALU_DEP_1)
	s_and_not1_b32 vcc_lo, exec_lo, s5
	s_cbranch_vccz .LBB126_2241
.LBB126_2239:
	v_mov_b32_e32 v1, 0x80
	s_and_b32 s5, s1, 0x7fffffff
	s_delay_alu instid0(SALU_CYCLE_1)
	s_cmp_gt_u32 s5, 0x437fffff
	s_cbranch_scc0 .LBB126_2242
	s_branch .LBB126_2249
.LBB126_2240:
	s_and_not1_b32 vcc_lo, exec_lo, s5
	s_cbranch_vccnz .LBB126_2239
.LBB126_2241:
	v_lshrrev_b16 v0, 2, s7
	s_and_b32 s1, s7, 3
	s_lshl_b32 s10, s7, 24
	s_clz_i32_u32 s5, s1
	s_delay_alu instid0(SALU_CYCLE_1) | instskip(SKIP_4) | instid1(VALU_DEP_1)
	s_min_u32 s5, s5, 32
	v_readfirstlane_b32 s6, v0
	s_sub_i32 s9, s5, 29
	s_sub_i32 s5, 30, s5
	s_lshl_b32 s9, s7, s9
	s_and_b32 s6, s6, 31
	s_and_b32 s9, s9, 3
	s_cmp_eq_u32 s6, 0
	s_cselect_b32 s5, s5, s6
	s_cselect_b32 s1, s9, s1
	s_lshl_b32 s5, s5, 23
	s_and_b32 s6, s10, 0x80000000
	s_add_i32 s5, s5, 0x37800000
	s_lshl_b32 s1, s1, 21
	s_or_b32 s5, s6, s5
	s_delay_alu instid0(SALU_CYCLE_1) | instskip(SKIP_2) | instid1(SALU_CYCLE_1)
	s_or_b32 s1, s5, s1
	v_mov_b32_e32 v1, 0x80
	s_and_b32 s5, s1, 0x7fffffff
	s_cmp_gt_u32 s5, 0x437fffff
	s_cbranch_scc1 .LBB126_2249
.LBB126_2242:
	s_cmp_gt_u32 s5, 0x3bffffff
	s_cbranch_scc0 .LBB126_2244
; %bb.2243:
	s_bfe_u32 s5, s1, 0x10014
	s_mov_b32 s6, 0
	s_add_i32 s5, s1, s5
	s_delay_alu instid0(SALU_CYCLE_1) | instskip(NEXT) | instid1(SALU_CYCLE_1)
	s_add_i32 s5, s5, 0x487ffff
	s_lshr_b32 s9, s5, 20
	s_mov_b32 s5, -1
	s_branch .LBB126_2245
.LBB126_2244:
	s_mov_b32 s6, -1
	s_mov_b32 s5, 0
                                        ; implicit-def: $sgpr9
.LBB126_2245:
	v_mov_b32_e32 v0, s9
	s_and_not1_b32 vcc_lo, exec_lo, s6
                                        ; implicit-def: $sgpr6
	s_cbranch_vccnz .LBB126_2247
; %bb.2246:
	v_add_f32_e64 v0, 0x46000000, |s1|
	s_mov_b32 s6, 0
	s_delay_alu instid0(VALU_DEP_1) | instskip(NEXT) | instid1(VALU_DEP_1)
	v_and_b32_e32 v0, 0xff, v0
	v_cmp_ne_u32_e64 s5, 0, v0
.LBB126_2247:
	v_mov_b32_e32 v1, s6
	s_delay_alu instid0(VALU_DEP_2)
	s_and_not1_b32 vcc_lo, exec_lo, s5
	s_cbranch_vccnz .LBB126_2249
; %bb.2248:
	s_lshr_b32 s1, s1, 24
	s_delay_alu instid0(SALU_CYCLE_1) | instskip(NEXT) | instid1(SALU_CYCLE_1)
	s_and_b32 s1, s1, 0x80
	v_or_b32_e32 v1, s1, v0
.LBB126_2249:
	global_store_b8 v[4:5], v1, off
.LBB126_2250:
	s_mov_b32 s1, 0
.LBB126_2251:
	s_delay_alu instid0(SALU_CYCLE_1)
	s_and_b32 vcc_lo, exec_lo, s1
	s_cbranch_vccz .LBB126_2318
; %bb.2252:
	v_cmp_lt_i16_e32 vcc_lo, 22, v12
	s_mov_b32 s1, -1
	s_cbranch_vccz .LBB126_2302
; %bb.2253:
	v_cmp_gt_i16_e32 vcc_lo, 24, v12
	s_cbranch_vccnz .LBB126_2279
; %bb.2254:
	v_cmp_lt_i16_e32 vcc_lo, 24, v12
	s_cbranch_vccz .LBB126_2256
; %bb.2255:
	v_mov_b32_e32 v0, s7
	s_mov_b32 s1, 0
	global_store_b8 v[4:5], v0, off
.LBB126_2256:
	s_and_not1_b32 vcc_lo, exec_lo, s1
	s_cbranch_vccnz .LBB126_2278
; %bb.2257:
	v_and_b32_e64 v0, 0xff, s7
	s_delay_alu instid0(VALU_DEP_1)
	v_cmp_gt_i16_e32 vcc_lo, 0x80, v0
	s_cbranch_vccnz .LBB126_2260
; %bb.2258:
	v_cmp_eq_u16_e32 vcc_lo, 0x80, v0
	s_cbranch_vccz .LBB126_2261
; %bb.2259:
	s_mov_b32 s1, 0x7f800001
	s_branch .LBB126_2262
.LBB126_2260:
	s_mov_b32 s5, -1
                                        ; implicit-def: $sgpr1
	s_branch .LBB126_2263
.LBB126_2261:
	s_mov_b32 s4, -1
                                        ; implicit-def: $sgpr1
.LBB126_2262:
	s_mov_b32 s5, 0
.LBB126_2263:
	s_delay_alu instid0(SALU_CYCLE_1)
	s_and_b32 vcc_lo, exec_lo, s5
	s_cbranch_vccz .LBB126_2268
; %bb.2264:
	v_cmp_ne_u16_e64 s4, 0, v0
	s_mov_b32 s1, 0
	s_delay_alu instid0(VALU_DEP_1)
	s_and_not1_b32 vcc_lo, exec_lo, s4
	s_cbranch_vccz .LBB126_2269
.LBB126_2265:
	s_and_b32 s4, s1, 0x7fffffff
	s_delay_alu instid0(SALU_CYCLE_1)
	s_cmp_lt_u32 s4, 0x43f00000
	s_cbranch_scc0 .LBB126_2270
.LBB126_2266:
	s_cmp_gt_u32 s4, 0x3c7fffff
	s_cbranch_scc0 .LBB126_2271
; %bb.2267:
	s_bfe_u32 s5, s1, 0x10014
	s_delay_alu instid0(SALU_CYCLE_1) | instskip(NEXT) | instid1(SALU_CYCLE_1)
	s_add_i32 s5, s1, s5
	s_add_i32 s5, s5, 0x407ffff
	s_delay_alu instid0(SALU_CYCLE_1)
	s_and_b32 s6, s5, 0xff00000
	s_lshr_b32 s5, s5, 20
	s_cmp_lg_u32 s6, 0x7f00000
	s_cselect_b32 s6, s5, 0x7e
	s_mov_b32 s5, 0
	s_branch .LBB126_2272
.LBB126_2268:
	s_and_not1_b32 vcc_lo, exec_lo, s4
	s_cbranch_vccnz .LBB126_2265
.LBB126_2269:
	v_lshrrev_b16 v0, 2, s7
	s_and_b32 s1, s7, 3
	s_lshl_b32 s9, s7, 24
	s_clz_i32_u32 s4, s1
	s_delay_alu instid0(SALU_CYCLE_1) | instskip(SKIP_4) | instid1(VALU_DEP_1)
	s_min_u32 s4, s4, 32
	v_readfirstlane_b32 s5, v0
	s_sub_i32 s6, s4, 29
	s_sub_i32 s4, 30, s4
	s_lshl_b32 s6, s7, s6
	s_and_b32 s5, s5, 31
	s_and_b32 s6, s6, 3
	s_cmp_eq_u32 s5, 0
	s_cselect_b32 s4, s4, s5
	s_cselect_b32 s1, s6, s1
	s_lshl_b32 s4, s4, 23
	s_and_b32 s5, s9, 0x80000000
	s_add_i32 s4, s4, 0x37800000
	s_lshl_b32 s1, s1, 21
	s_or_b32 s4, s5, s4
	s_delay_alu instid0(SALU_CYCLE_1) | instskip(NEXT) | instid1(SALU_CYCLE_1)
	s_or_b32 s1, s4, s1
	s_and_b32 s4, s1, 0x7fffffff
	s_delay_alu instid0(SALU_CYCLE_1)
	s_cmp_lt_u32 s4, 0x43f00000
	s_cbranch_scc1 .LBB126_2266
.LBB126_2270:
	s_mov_b32 s5, -1
                                        ; implicit-def: $vgpr0
	s_branch .LBB126_2275
.LBB126_2271:
	s_mov_b32 s5, -1
                                        ; implicit-def: $sgpr6
.LBB126_2272:
	v_mov_b32_e32 v0, s6
	s_and_not1_b32 vcc_lo, exec_lo, s5
	s_cbranch_vccnz .LBB126_2274
; %bb.2273:
	v_add_f32_e64 v0, 0x46800000, |s1|
.LBB126_2274:
	s_mov_b32 s5, 0
.LBB126_2275:
	s_delay_alu instid0(SALU_CYCLE_1)
	s_and_not1_b32 vcc_lo, exec_lo, s5
	s_cbranch_vccnz .LBB126_2277
; %bb.2276:
	s_cmp_gt_u32 s4, 0x7f800000
	s_movk_i32 s4, 0x7f
	s_delay_alu instid0(SALU_CYCLE_1) | instskip(NEXT) | instid1(SALU_CYCLE_1)
	s_cselect_b32 s4, s4, 0x7e
	v_mov_b32_e32 v0, s4
.LBB126_2277:
	s_lshr_b32 s1, s1, 24
	s_delay_alu instid0(SALU_CYCLE_1)
	s_and_b32 s1, s1, 0x80
	s_delay_alu instid0(VALU_DEP_1) | instid1(SALU_CYCLE_1)
	v_or_b32_e32 v0, s1, v0
	global_store_b8 v[4:5], v0, off
.LBB126_2278:
	s_mov_b32 s1, 0
.LBB126_2279:
	s_delay_alu instid0(SALU_CYCLE_1)
	s_and_not1_b32 vcc_lo, exec_lo, s1
	s_cbranch_vccnz .LBB126_2301
; %bb.2280:
	v_and_b32_e64 v0, 0xff, s7
	s_delay_alu instid0(VALU_DEP_1)
	v_cmp_gt_i16_e32 vcc_lo, 0x80, v0
	s_cbranch_vccnz .LBB126_2283
; %bb.2281:
	v_cmp_eq_u16_e32 vcc_lo, 0x80, v0
	s_cbranch_vccz .LBB126_2284
; %bb.2282:
	s_mov_b32 s4, 0
	s_mov_b32 s1, 0x7f800001
	s_branch .LBB126_2285
.LBB126_2283:
	s_mov_b32 s5, -1
	s_mov_b32 s4, 0
                                        ; implicit-def: $sgpr1
	s_branch .LBB126_2286
.LBB126_2284:
	s_mov_b32 s4, -1
                                        ; implicit-def: $sgpr1
.LBB126_2285:
	s_mov_b32 s5, 0
.LBB126_2286:
	s_delay_alu instid0(SALU_CYCLE_1)
	s_and_b32 vcc_lo, exec_lo, s5
	s_cbranch_vccz .LBB126_2291
; %bb.2287:
	v_cmp_ne_u16_e64 s4, 0, v0
	s_mov_b32 s1, 0
	s_delay_alu instid0(VALU_DEP_1)
	s_and_not1_b32 vcc_lo, exec_lo, s4
	s_cbranch_vccz .LBB126_2292
.LBB126_2288:
	s_and_b32 s4, s1, 0x7fffffff
	s_delay_alu instid0(SALU_CYCLE_1)
	s_cmp_lt_u32 s4, 0x47800000
	s_cbranch_scc0 .LBB126_2293
.LBB126_2289:
	s_cmp_gt_u32 s4, 0x387fffff
	s_cbranch_scc0 .LBB126_2294
; %bb.2290:
	s_bfe_u32 s5, s1, 0x10015
	s_delay_alu instid0(SALU_CYCLE_1) | instskip(NEXT) | instid1(SALU_CYCLE_1)
	s_add_i32 s5, s1, s5
	s_add_i32 s5, s5, 0x80fffff
	s_delay_alu instid0(SALU_CYCLE_1)
	s_lshr_b32 s6, s5, 21
	s_mov_b32 s5, 0
	s_branch .LBB126_2295
.LBB126_2291:
	s_and_not1_b32 vcc_lo, exec_lo, s4
	s_cbranch_vccnz .LBB126_2288
.LBB126_2292:
	v_lshrrev_b16 v0, 2, s7
	s_and_b32 s1, s7, 3
	s_lshl_b32 s9, s7, 24
	s_clz_i32_u32 s4, s1
	s_delay_alu instid0(SALU_CYCLE_1) | instskip(SKIP_4) | instid1(VALU_DEP_1)
	s_min_u32 s4, s4, 32
	v_readfirstlane_b32 s5, v0
	s_sub_i32 s6, s4, 29
	s_sub_i32 s4, 30, s4
	s_lshl_b32 s6, s7, s6
	s_and_b32 s5, s5, 31
	s_and_b32 s6, s6, 3
	s_cmp_eq_u32 s5, 0
	s_cselect_b32 s4, s4, s5
	s_cselect_b32 s1, s6, s1
	s_lshl_b32 s4, s4, 23
	s_and_b32 s5, s9, 0x80000000
	s_add_i32 s4, s4, 0x37800000
	s_lshl_b32 s1, s1, 21
	s_or_b32 s4, s5, s4
	s_delay_alu instid0(SALU_CYCLE_1) | instskip(NEXT) | instid1(SALU_CYCLE_1)
	s_or_b32 s1, s4, s1
	s_and_b32 s4, s1, 0x7fffffff
	s_delay_alu instid0(SALU_CYCLE_1)
	s_cmp_lt_u32 s4, 0x47800000
	s_cbranch_scc1 .LBB126_2289
.LBB126_2293:
	s_mov_b32 s5, -1
                                        ; implicit-def: $vgpr0
	s_branch .LBB126_2298
.LBB126_2294:
	s_mov_b32 s5, -1
                                        ; implicit-def: $sgpr6
.LBB126_2295:
	v_mov_b32_e32 v0, s6
	s_and_not1_b32 vcc_lo, exec_lo, s5
	s_cbranch_vccnz .LBB126_2297
; %bb.2296:
	v_add_f32_e64 v0, 0x43000000, |s1|
.LBB126_2297:
	s_mov_b32 s5, 0
.LBB126_2298:
	s_delay_alu instid0(SALU_CYCLE_1)
	s_and_not1_b32 vcc_lo, exec_lo, s5
	s_cbranch_vccnz .LBB126_2300
; %bb.2299:
	s_cmp_gt_u32 s4, 0x7f800000
	s_movk_i32 s4, 0x7f
	s_delay_alu instid0(SALU_CYCLE_1) | instskip(NEXT) | instid1(SALU_CYCLE_1)
	s_cselect_b32 s4, s4, 0x7c
	v_mov_b32_e32 v0, s4
.LBB126_2300:
	s_lshr_b32 s1, s1, 24
	s_delay_alu instid0(SALU_CYCLE_1)
	s_and_b32 s1, s1, 0x80
	s_delay_alu instid0(VALU_DEP_1) | instid1(SALU_CYCLE_1)
	v_or_b32_e32 v0, s1, v0
	global_store_b8 v[4:5], v0, off
.LBB126_2301:
	s_mov_b32 s1, 0
.LBB126_2302:
	s_delay_alu instid0(SALU_CYCLE_1)
	s_and_not1_b32 vcc_lo, exec_lo, s1
	s_mov_b32 s4, 0
	s_cbranch_vccnz .LBB126_2318
; %bb.2303:
	v_cmp_lt_i16_e32 vcc_lo, 14, v12
	s_mov_b32 s1, -1
	s_cbranch_vccz .LBB126_2316
; %bb.2304:
	v_cmp_eq_u16_e32 vcc_lo, 15, v12
	s_mov_b32 s0, -1
	s_cbranch_vccz .LBB126_2315
; %bb.2305:
	v_and_b32_e64 v0, 0xff, s7
	s_delay_alu instid0(VALU_DEP_1)
	v_cmp_gt_i16_e32 vcc_lo, 0x80, v0
	s_cbranch_vccnz .LBB126_2308
; %bb.2306:
	v_cmp_eq_u16_e32 vcc_lo, 0x80, v0
	s_cbranch_vccz .LBB126_2309
; %bb.2307:
	s_mov_b32 s1, 0
	s_mov_b32 s0, 0x7f800001
	s_branch .LBB126_2310
.LBB126_2308:
	s_mov_b32 s4, -1
	s_mov_b32 s1, 0
.LBB126_2309:
                                        ; implicit-def: $sgpr0
.LBB126_2310:
	s_and_b32 vcc_lo, exec_lo, s4
	s_cbranch_vccz .LBB126_2312
; %bb.2311:
	v_cmp_ne_u16_e64 s1, 0, v0
	s_mov_b32 s0, 0
.LBB126_2312:
	s_delay_alu instid0(VALU_DEP_1)
	s_and_not1_b32 vcc_lo, exec_lo, s1
	s_cbranch_vccnz .LBB126_2314
; %bb.2313:
	v_lshrrev_b16 v0, 2, s7
	s_and_b32 s0, s7, 3
	s_lshl_b32 s6, s7, 24
	s_clz_i32_u32 s1, s0
	s_delay_alu instid0(SALU_CYCLE_1) | instskip(SKIP_4) | instid1(VALU_DEP_1)
	s_min_u32 s1, s1, 32
	v_readfirstlane_b32 s4, v0
	s_sub_i32 s5, s1, 29
	s_sub_i32 s1, 30, s1
	s_lshl_b32 s5, s7, s5
	s_and_b32 s4, s4, 31
	s_and_b32 s5, s5, 3
	s_cmp_eq_u32 s4, 0
	s_cselect_b32 s1, s1, s4
	s_cselect_b32 s0, s5, s0
	s_lshl_b32 s1, s1, 23
	s_and_b32 s4, s6, 0x80000000
	s_add_i32 s1, s1, 0x37800000
	s_lshl_b32 s0, s0, 21
	s_or_b32 s1, s4, s1
	s_delay_alu instid0(SALU_CYCLE_1)
	s_or_b32 s0, s1, s0
.LBB126_2314:
	s_delay_alu instid0(SALU_CYCLE_1) | instskip(NEXT) | instid1(SALU_CYCLE_1)
	s_bfe_u32 s1, s0, 0x10010
	s_add_i32 s1, s0, s1
	v_cmp_o_f32_e64 s0, s0, s0
	s_addk_i32 s1, 0x7fff
	s_delay_alu instid0(SALU_CYCLE_1) | instskip(NEXT) | instid1(VALU_DEP_1)
	s_lshr_b32 s1, s1, 16
	s_and_b32 s0, s0, exec_lo
	s_cselect_b32 s0, s1, 0x7fc0
	s_delay_alu instid0(SALU_CYCLE_1)
	v_mov_b32_e32 v0, s0
	s_mov_b32 s0, 0
	global_store_b16 v[4:5], v0, off
.LBB126_2315:
	s_mov_b32 s1, 0
.LBB126_2316:
	s_delay_alu instid0(SALU_CYCLE_1)
	s_and_b32 vcc_lo, exec_lo, s1
	s_mov_b32 s4, 0
	s_cbranch_vccz .LBB126_2318
; %bb.2317:
	v_cmp_ne_u16_e64 s0, 11, v12
	s_mov_b32 s4, -1
.LBB126_2318:
	s_delay_alu instid0(VALU_DEP_1)
	s_and_b32 vcc_lo, exec_lo, s0
	s_cbranch_vccnz .LBB126_2320
.LBB126_2319:
	s_mov_b32 s0, 0
	s_branch .LBB126_1717
.LBB126_2320:
	s_cbranch_execnz .LBB126_2322
; %bb.2321:
	s_mov_b32 s4, 0
	s_or_b32 s8, s8, exec_lo
	s_branch .LBB126_2319
.LBB126_2322:
	s_trap 2
	s_sendmsg_rtn_b32 s0, sendmsg(MSG_RTN_GET_DOORBELL)
	s_mov_b32 ttmp2, m0
	s_waitcnt lgkmcnt(0)
	s_and_b32 s0, s0, 0x3ff
	s_delay_alu instid0(SALU_CYCLE_1) | instskip(NEXT) | instid1(SALU_CYCLE_1)
	s_bitset1_b32 s0, 10
	s_mov_b32 m0, s0
	s_sendmsg sendmsg(MSG_INTERRUPT)
	s_mov_b32 m0, ttmp2
.LBB126_2323:                           ; =>This Inner Loop Header: Depth=1
	s_sethalt 5
	s_branch .LBB126_2323
.LBB126_2324:
                                        ; implicit-def: $sgpr0
.LBB126_2325:
	s_mov_b32 s18, 0
.LBB126_2326:
	s_delay_alu instid0(SALU_CYCLE_1)
	s_and_b32 vcc_lo, exec_lo, s18
	s_cbranch_vccz .LBB126_2328
; %bb.2327:
	v_cmp_ne_u16_e64 s1, 0, v0
	s_mov_b32 s0, 0
.LBB126_2328:
	s_delay_alu instid0(VALU_DEP_1)
	s_and_not1_b32 vcc_lo, exec_lo, s1
	s_cbranch_vccnz .LBB126_2330
; %bb.2329:
	s_mov_b32 s0, s2
.LBB126_2330:
	s_delay_alu instid0(SALU_CYCLE_1) | instskip(NEXT) | instid1(SALU_CYCLE_1)
	s_bfe_u32 s1, s0, 0x10010
	s_add_i32 s1, s0, s1
	v_cmp_o_f32_e64 s0, s0, s0
	s_addk_i32 s1, 0x7fff
	s_delay_alu instid0(SALU_CYCLE_1) | instskip(NEXT) | instid1(VALU_DEP_1)
	s_lshr_b32 s1, s1, 16
	s_and_b32 s0, s0, exec_lo
	s_cselect_b32 s0, s1, 0x7fc0
	s_mov_b32 s1, 0
	v_mov_b32_e32 v0, s0
	s_mov_b32 s0, 0
	global_store_b32 v[10:11], v0, off
.LBB126_2331:
	s_and_b32 vcc_lo, exec_lo, s1
	s_cbranch_vccz .LBB126_2344
; %bb.2332:
	v_cmp_eq_u16_e32 vcc_lo, 44, v12
	s_mov_b32 s0, -1
	s_cbranch_vccz .LBB126_2344
; %bb.2333:
	v_and_b32_e64 v0, 0xff, s7
	s_delay_alu instid0(VALU_DEP_1)
	v_cmp_gt_i16_e32 vcc_lo, 0x80, v0
	v_readfirstlane_b32 s1, v0
	s_cbranch_vccnz .LBB126_2336
; %bb.2334:
	s_delay_alu instid0(VALU_DEP_1) | instskip(NEXT) | instid1(VALU_DEP_1)
	v_cmp_eq_u16_e64 s0, 0x80, s1
	s_and_b32 vcc_lo, exec_lo, s0
	s_cbranch_vccz .LBB126_2337
; %bb.2335:
	s_mov_b32 s18, 0
	s_mov_b32 s0, 0x7f800001
	s_branch .LBB126_2338
.LBB126_2336:
	s_mov_b32 s19, -1
	s_mov_b32 s18, 0
                                        ; implicit-def: $sgpr0
	s_branch .LBB126_2339
.LBB126_2337:
	s_mov_b32 s18, -1
                                        ; implicit-def: $sgpr0
.LBB126_2338:
	s_mov_b32 s19, 0
.LBB126_2339:
	s_delay_alu instid0(SALU_CYCLE_1)
	s_and_b32 vcc_lo, exec_lo, s19
	s_cbranch_vccz .LBB126_2349
; %bb.2340:
	v_cmp_ne_u16_e64 s18, s1, 0
	s_and_b32 s0, 0xffff, s1
	s_delay_alu instid0(VALU_DEP_1)
	s_and_not1_b32 vcc_lo, exec_lo, s18
	s_cbranch_vccz .LBB126_2350
.LBB126_2341:
	v_mov_b32_e32 v0, 0xff
	s_bfe_u32 s1, s0, 0x80017
	s_delay_alu instid0(SALU_CYCLE_1)
	s_cmpk_eq_i32 s1, 0xff
	s_cbranch_scc1 .LBB126_2343
.LBB126_2342:
	s_lshr_b32 s10, s0, 23
	s_bitcmp1_b32 s0, 22
	s_cselect_b32 s18, -1, 0
	s_and_b32 s0, s0, 0x3fffff
	s_delay_alu instid0(SALU_CYCLE_1) | instskip(NEXT) | instid1(SALU_CYCLE_1)
	s_or_b32 s0, s1, s0
	s_cmp_lg_u32 s0, 0
	s_cselect_b32 s0, -1, 0
	s_delay_alu instid0(SALU_CYCLE_1) | instskip(NEXT) | instid1(SALU_CYCLE_1)
	s_and_b32 s0, s18, s0
	v_cndmask_b32_e64 v0, 0, 1, s0
	s_delay_alu instid0(VALU_DEP_1)
	v_add_nc_u32_e32 v0, s10, v0
.LBB126_2343:
	s_mov_b32 s0, 0
	global_store_b8 v[10:11], v0, off
.LBB126_2344:
	s_mov_b32 s1, 0
.LBB126_2345:
	s_delay_alu instid0(SALU_CYCLE_1)
	s_and_b32 vcc_lo, exec_lo, s1
	s_cbranch_vccz .LBB126_2357
; %bb.2346:
	v_cmp_eq_u16_e32 vcc_lo, 29, v12
	s_mov_b32 s0, -1
	s_cbranch_vccz .LBB126_2357
; %bb.2347:
	v_and_b32_e64 v0, 0xff, s7
	s_delay_alu instid0(VALU_DEP_1)
	v_cmp_gt_i16_e32 vcc_lo, 0x80, v0
	s_cbranch_vccnz .LBB126_2351
; %bb.2348:
	v_cmp_ne_u16_e64 s10, 0x80, v0
	s_mov_b32 s18, 0
	s_mov_b64 s[0:1], 0
	s_branch .LBB126_2352
.LBB126_2349:
	s_and_not1_b32 vcc_lo, exec_lo, s18
	s_cbranch_vccnz .LBB126_2341
.LBB126_2350:
	s_mov_b32 s0, s10
	v_mov_b32_e32 v0, 0xff
	s_bfe_u32 s1, s0, 0x80017
	s_delay_alu instid0(SALU_CYCLE_1)
	s_cmpk_eq_i32 s1, 0xff
	s_cbranch_scc0 .LBB126_2342
	s_branch .LBB126_2343
.LBB126_2351:
	s_mov_b32 s18, -1
	s_mov_b32 s10, 0
                                        ; implicit-def: $sgpr0_sgpr1
.LBB126_2352:
	s_and_not1_b32 vcc_lo, exec_lo, s18
	s_cbranch_vccnz .LBB126_2354
; %bb.2353:
	v_cmp_ne_u16_e64 s10, 0, v0
	s_mov_b64 s[0:1], 0
.LBB126_2354:
	s_delay_alu instid0(SALU_CYCLE_1) | instskip(NEXT) | instid1(VALU_DEP_2)
	v_dual_mov_b32 v0, s0 :: v_dual_mov_b32 v1, s1
	s_and_not1_b32 vcc_lo, exec_lo, s10
	s_cbranch_vccnz .LBB126_2356
; %bb.2355:
	v_dual_mov_b32 v0, v8 :: v_dual_mov_b32 v1, v9
.LBB126_2356:
	s_mov_b32 s0, 0
	global_store_b64 v[10:11], v[0:1], off
.LBB126_2357:
	s_mov_b32 s1, 0
.LBB126_2358:
	s_delay_alu instid0(SALU_CYCLE_1)
	s_and_b32 vcc_lo, exec_lo, s1
	s_cbranch_vccz .LBB126_2399
; %bb.2359:
	v_cmp_gt_i16_e32 vcc_lo, 27, v12
	s_mov_b32 s1, -1
	s_cbranch_vccnz .LBB126_2379
; %bb.2360:
	v_cmp_lt_i16_e32 vcc_lo, 27, v12
	s_cbranch_vccz .LBB126_2369
; %bb.2361:
	v_and_b32_e64 v0, 0xff, s7
	s_delay_alu instid0(VALU_DEP_1)
	v_cmp_gt_i16_e32 vcc_lo, 0x80, v0
	s_cbranch_vccnz .LBB126_2363
; %bb.2362:
	v_cmp_ne_u16_e64 s1, 0x80, v0
	s_mov_b32 s18, 0
	s_mov_b32 s10, 0
	s_branch .LBB126_2364
.LBB126_2363:
	s_mov_b32 s18, -1
	s_mov_b32 s1, 0
                                        ; implicit-def: $sgpr10
.LBB126_2364:
	s_and_not1_b32 vcc_lo, exec_lo, s18
	s_cbranch_vccnz .LBB126_2366
; %bb.2365:
	v_cmp_ne_u16_e64 s1, 0, v0
	s_mov_b32 s10, 0
.LBB126_2366:
	s_delay_alu instid0(SALU_CYCLE_1) | instskip(NEXT) | instid1(VALU_DEP_2)
	v_mov_b32_e32 v0, s10
	s_and_not1_b32 vcc_lo, exec_lo, s1
	s_cbranch_vccnz .LBB126_2368
; %bb.2367:
	v_mov_b32_e32 v0, v16
.LBB126_2368:
	s_mov_b32 s1, 0
	global_store_b32 v[10:11], v0, off
.LBB126_2369:
	s_and_b32 vcc_lo, exec_lo, s1
	s_cbranch_vccz .LBB126_2378
; %bb.2370:
	v_and_b32_e64 v0, 0xff, s7
	s_delay_alu instid0(VALU_DEP_1)
	v_cmp_gt_i16_e32 vcc_lo, 0x80, v0
	s_cbranch_vccnz .LBB126_2372
; %bb.2371:
	v_cmp_ne_u16_e64 s1, 0x80, v0
	s_mov_b32 s18, 0
	s_mov_b32 s10, 0
	s_branch .LBB126_2373
.LBB126_2372:
	s_mov_b32 s18, -1
	s_mov_b32 s1, 0
                                        ; implicit-def: $sgpr10
.LBB126_2373:
	s_and_not1_b32 vcc_lo, exec_lo, s18
	s_cbranch_vccnz .LBB126_2375
; %bb.2374:
	v_cmp_ne_u16_e64 s1, 0, v0
	s_mov_b32 s10, 0
.LBB126_2375:
	s_delay_alu instid0(SALU_CYCLE_1) | instskip(NEXT) | instid1(VALU_DEP_2)
	v_mov_b32_e32 v0, s10
	s_and_not1_b32 vcc_lo, exec_lo, s1
	s_cbranch_vccnz .LBB126_2377
; %bb.2376:
	v_mov_b32_e32 v0, v16
.LBB126_2377:
	global_store_b16 v[10:11], v0, off
.LBB126_2378:
	s_mov_b32 s1, 0
.LBB126_2379:
	s_delay_alu instid0(SALU_CYCLE_1)
	s_and_not1_b32 vcc_lo, exec_lo, s1
	s_cbranch_vccnz .LBB126_2399
; %bb.2380:
	v_and_b32_e64 v0, 0xff, s7
	s_delay_alu instid0(VALU_DEP_1)
	v_cmp_gt_i16_e32 vcc_lo, 0x80, v0
	s_cbranch_vccnz .LBB126_2383
; %bb.2381:
	v_cmp_eq_u16_e32 vcc_lo, 0x80, v0
	s_cbranch_vccz .LBB126_2384
; %bb.2382:
	s_mov_b32 s10, 0
	s_mov_b32 s1, 0x7f800001
	s_branch .LBB126_2385
.LBB126_2383:
	s_mov_b32 s18, -1
	s_mov_b32 s10, 0
                                        ; implicit-def: $sgpr1
	s_branch .LBB126_2386
.LBB126_2384:
	s_mov_b32 s10, -1
                                        ; implicit-def: $sgpr1
.LBB126_2385:
	s_mov_b32 s18, 0
.LBB126_2386:
	s_delay_alu instid0(SALU_CYCLE_1)
	s_and_b32 vcc_lo, exec_lo, s18
	s_cbranch_vccz .LBB126_2389
; %bb.2387:
	v_cmp_ne_u16_e64 s10, 0, v0
	s_mov_b32 s1, 0
	s_delay_alu instid0(VALU_DEP_1)
	s_and_not1_b32 vcc_lo, exec_lo, s10
	s_cbranch_vccz .LBB126_2390
.LBB126_2388:
	v_mov_b32_e32 v1, 0x80
	s_and_b32 s10, s1, 0x7fffffff
	s_delay_alu instid0(SALU_CYCLE_1)
	s_cmp_gt_u32 s10, 0x437fffff
	s_cbranch_scc0 .LBB126_2391
	s_branch .LBB126_2398
.LBB126_2389:
	s_and_not1_b32 vcc_lo, exec_lo, s10
	s_cbranch_vccnz .LBB126_2388
.LBB126_2390:
	s_mov_b32 s1, s2
	v_mov_b32_e32 v1, 0x80
	s_and_b32 s10, s1, 0x7fffffff
	s_delay_alu instid0(SALU_CYCLE_1)
	s_cmp_gt_u32 s10, 0x437fffff
	s_cbranch_scc1 .LBB126_2398
.LBB126_2391:
	s_cmp_lt_u32 s10, 0x3c000000
	s_cbranch_scc1 .LBB126_2393
; %bb.2392:
	s_bfe_u32 s10, s1, 0x10014
	s_mov_b32 s18, 0
	s_add_i32 s10, s1, s10
	s_delay_alu instid0(SALU_CYCLE_1) | instskip(NEXT) | instid1(SALU_CYCLE_1)
	s_add_i32 s10, s10, 0x487ffff
	s_lshr_b32 s19, s10, 20
	s_mov_b32 s10, -1
	s_branch .LBB126_2394
.LBB126_2393:
	s_mov_b32 s18, -1
	s_mov_b32 s10, 0
                                        ; implicit-def: $sgpr19
.LBB126_2394:
	v_mov_b32_e32 v0, s19
	s_and_not1_b32 vcc_lo, exec_lo, s18
                                        ; implicit-def: $sgpr18
	s_cbranch_vccnz .LBB126_2396
; %bb.2395:
	v_add_f32_e64 v0, 0x46000000, |s1|
	s_mov_b32 s18, 0
	s_delay_alu instid0(VALU_DEP_1) | instskip(NEXT) | instid1(VALU_DEP_1)
	v_and_b32_e32 v0, 0xff, v0
	v_cmp_ne_u32_e64 s10, 0, v0
.LBB126_2396:
	v_mov_b32_e32 v1, s18
	s_delay_alu instid0(VALU_DEP_2)
	s_and_not1_b32 vcc_lo, exec_lo, s10
	s_cbranch_vccnz .LBB126_2398
; %bb.2397:
	s_lshr_b32 s1, s1, 24
	s_delay_alu instid0(SALU_CYCLE_1) | instskip(NEXT) | instid1(SALU_CYCLE_1)
	s_and_b32 s1, s1, 0x80
	v_or_b32_e32 v1, s1, v0
.LBB126_2398:
	global_store_b8 v[10:11], v1, off
.LBB126_2399:
	s_mov_b32 s1, 0
.LBB126_2400:
	s_delay_alu instid0(SALU_CYCLE_1)
	s_and_b32 vcc_lo, exec_lo, s1
	s_mov_b32 s1, 0
	s_cbranch_vccz .LBB126_2409
; %bb.2401:
	v_cmp_lt_i16_e32 vcc_lo, 22, v12
	s_mov_b32 s10, -1
	s_cbranch_vccz .LBB126_2452
; %bb.2402:
	v_cmp_gt_i16_e32 vcc_lo, 24, v12
	s_cbranch_vccnz .LBB126_2429
; %bb.2403:
	v_cmp_lt_i16_e32 vcc_lo, 24, v12
	s_cbranch_vccz .LBB126_2405
; %bb.2404:
	v_mov_b32_e32 v0, s7
	s_mov_b32 s10, 0
	global_store_b8 v[10:11], v0, off
.LBB126_2405:
	s_and_not1_b32 vcc_lo, exec_lo, s10
	s_cbranch_vccnz .LBB126_2428
; %bb.2406:
	v_and_b32_e64 v0, 0xff, s7
	s_delay_alu instid0(VALU_DEP_1)
	v_cmp_gt_i16_e32 vcc_lo, 0x80, v0
	s_cbranch_vccnz .LBB126_2410
; %bb.2407:
	v_cmp_eq_u16_e32 vcc_lo, 0x80, v0
	s_cbranch_vccz .LBB126_2411
; %bb.2408:
	s_mov_b32 s18, 0
	s_mov_b32 s10, 0x7f800001
	s_branch .LBB126_2412
.LBB126_2409:
	s_mov_b32 s10, 0
	s_branch .LBB126_2469
.LBB126_2410:
	s_mov_b32 s19, -1
	s_mov_b32 s18, 0
                                        ; implicit-def: $sgpr10
	s_branch .LBB126_2413
.LBB126_2411:
	s_mov_b32 s18, -1
                                        ; implicit-def: $sgpr10
.LBB126_2412:
	s_mov_b32 s19, 0
.LBB126_2413:
	s_delay_alu instid0(SALU_CYCLE_1)
	s_and_b32 vcc_lo, exec_lo, s19
	s_cbranch_vccz .LBB126_2418
; %bb.2414:
	v_cmp_ne_u16_e64 s18, 0, v0
	s_mov_b32 s10, 0
	s_delay_alu instid0(VALU_DEP_1)
	s_and_not1_b32 vcc_lo, exec_lo, s18
	s_cbranch_vccz .LBB126_2419
.LBB126_2415:
	s_and_b32 s18, s10, 0x7fffffff
	s_delay_alu instid0(SALU_CYCLE_1)
	s_cmp_gt_u32 s18, 0x43efffff
	s_cbranch_scc1 .LBB126_2420
.LBB126_2416:
	s_cmp_lt_u32 s18, 0x3c800000
	s_cbranch_scc1 .LBB126_2421
; %bb.2417:
	s_bfe_u32 s19, s10, 0x10014
	s_delay_alu instid0(SALU_CYCLE_1) | instskip(NEXT) | instid1(SALU_CYCLE_1)
	s_add_i32 s19, s10, s19
	s_add_i32 s19, s19, 0x407ffff
	s_delay_alu instid0(SALU_CYCLE_1)
	s_and_b32 s20, s19, 0xff00000
	s_lshr_b32 s19, s19, 20
	s_cmp_lg_u32 s20, 0x7f00000
	s_cselect_b32 s20, s19, 0x7e
	s_mov_b32 s19, 0
	s_branch .LBB126_2422
.LBB126_2418:
	s_and_not1_b32 vcc_lo, exec_lo, s18
	s_cbranch_vccnz .LBB126_2415
.LBB126_2419:
	s_mov_b32 s10, s2
	s_delay_alu instid0(SALU_CYCLE_1) | instskip(NEXT) | instid1(SALU_CYCLE_1)
	s_and_b32 s18, s10, 0x7fffffff
	s_cmp_gt_u32 s18, 0x43efffff
	s_cbranch_scc0 .LBB126_2416
.LBB126_2420:
	s_mov_b32 s19, -1
                                        ; implicit-def: $vgpr0
	s_branch .LBB126_2425
.LBB126_2421:
	s_mov_b32 s19, -1
                                        ; implicit-def: $sgpr20
.LBB126_2422:
	v_mov_b32_e32 v0, s20
	s_and_not1_b32 vcc_lo, exec_lo, s19
	s_cbranch_vccnz .LBB126_2424
; %bb.2423:
	v_add_f32_e64 v0, 0x46800000, |s10|
.LBB126_2424:
	s_mov_b32 s19, 0
.LBB126_2425:
	s_delay_alu instid0(SALU_CYCLE_1)
	s_and_not1_b32 vcc_lo, exec_lo, s19
	s_cbranch_vccnz .LBB126_2427
; %bb.2426:
	s_cmp_gt_u32 s18, 0x7f800000
	s_movk_i32 s18, 0x7f
	s_delay_alu instid0(SALU_CYCLE_1) | instskip(NEXT) | instid1(SALU_CYCLE_1)
	s_cselect_b32 s18, s18, 0x7e
	v_mov_b32_e32 v0, s18
.LBB126_2427:
	s_lshr_b32 s10, s10, 24
	s_delay_alu instid0(SALU_CYCLE_1)
	s_and_b32 s10, s10, 0x80
	s_delay_alu instid0(VALU_DEP_1) | instid1(SALU_CYCLE_1)
	v_or_b32_e32 v0, s10, v0
	global_store_b8 v[10:11], v0, off
.LBB126_2428:
	s_mov_b32 s10, 0
.LBB126_2429:
	s_delay_alu instid0(SALU_CYCLE_1)
	s_and_not1_b32 vcc_lo, exec_lo, s10
	s_cbranch_vccnz .LBB126_2433
; %bb.2430:
	v_and_b32_e64 v0, 0xff, s7
	s_delay_alu instid0(VALU_DEP_1)
	v_cmp_gt_i16_e32 vcc_lo, 0x80, v0
	s_cbranch_vccnz .LBB126_2434
; %bb.2431:
	v_cmp_eq_u16_e32 vcc_lo, 0x80, v0
	s_cbranch_vccz .LBB126_2435
; %bb.2432:
	s_mov_b32 s18, 0
	s_mov_b32 s10, 0x7f800001
	s_branch .LBB126_2436
.LBB126_2433:
	s_mov_b32 s10, 0
	s_branch .LBB126_2452
.LBB126_2434:
	s_mov_b32 s19, -1
	s_mov_b32 s18, 0
                                        ; implicit-def: $sgpr10
	s_branch .LBB126_2437
.LBB126_2435:
	s_mov_b32 s18, -1
                                        ; implicit-def: $sgpr10
.LBB126_2436:
	s_mov_b32 s19, 0
.LBB126_2437:
	s_delay_alu instid0(SALU_CYCLE_1)
	s_and_b32 vcc_lo, exec_lo, s19
	s_cbranch_vccz .LBB126_2442
; %bb.2438:
	v_cmp_ne_u16_e64 s18, 0, v0
	s_mov_b32 s10, 0
	s_delay_alu instid0(VALU_DEP_1)
	s_and_not1_b32 vcc_lo, exec_lo, s18
	s_cbranch_vccz .LBB126_2443
.LBB126_2439:
	s_and_b32 s18, s10, 0x7fffffff
	s_delay_alu instid0(SALU_CYCLE_1)
	s_cmp_gt_u32 s18, 0x477fffff
	s_cbranch_scc1 .LBB126_2444
.LBB126_2440:
	s_cmp_lt_u32 s18, 0x38800000
	s_cbranch_scc1 .LBB126_2445
; %bb.2441:
	s_bfe_u32 s19, s10, 0x10015
	s_delay_alu instid0(SALU_CYCLE_1) | instskip(NEXT) | instid1(SALU_CYCLE_1)
	s_add_i32 s19, s10, s19
	s_add_i32 s19, s19, 0x80fffff
	s_delay_alu instid0(SALU_CYCLE_1)
	s_lshr_b32 s20, s19, 21
	s_mov_b32 s19, 0
	s_branch .LBB126_2446
.LBB126_2442:
	s_and_not1_b32 vcc_lo, exec_lo, s18
	s_cbranch_vccnz .LBB126_2439
.LBB126_2443:
	s_mov_b32 s10, s2
	s_delay_alu instid0(SALU_CYCLE_1) | instskip(NEXT) | instid1(SALU_CYCLE_1)
	s_and_b32 s18, s10, 0x7fffffff
	s_cmp_gt_u32 s18, 0x477fffff
	s_cbranch_scc0 .LBB126_2440
.LBB126_2444:
	s_mov_b32 s19, -1
                                        ; implicit-def: $vgpr0
	s_branch .LBB126_2449
.LBB126_2445:
	s_mov_b32 s19, -1
                                        ; implicit-def: $sgpr20
.LBB126_2446:
	v_mov_b32_e32 v0, s20
	s_and_not1_b32 vcc_lo, exec_lo, s19
	s_cbranch_vccnz .LBB126_2448
; %bb.2447:
	v_add_f32_e64 v0, 0x43000000, |s10|
.LBB126_2448:
	s_mov_b32 s19, 0
.LBB126_2449:
	s_delay_alu instid0(SALU_CYCLE_1)
	s_and_not1_b32 vcc_lo, exec_lo, s19
	s_cbranch_vccnz .LBB126_2451
; %bb.2450:
	s_cmp_gt_u32 s18, 0x7f800000
	s_movk_i32 s18, 0x7f
	s_delay_alu instid0(SALU_CYCLE_1) | instskip(NEXT) | instid1(SALU_CYCLE_1)
	s_cselect_b32 s18, s18, 0x7c
	v_mov_b32_e32 v0, s18
.LBB126_2451:
	s_lshr_b32 s10, s10, 24
	s_delay_alu instid0(SALU_CYCLE_1)
	s_and_b32 s10, s10, 0x80
	s_delay_alu instid0(VALU_DEP_1) | instid1(SALU_CYCLE_1)
	v_or_b32_e32 v0, s10, v0
	s_mov_b32 s10, 0
	global_store_b8 v[10:11], v0, off
.LBB126_2452:
	s_and_not1_b32 vcc_lo, exec_lo, s10
	s_mov_b32 s10, 0
	s_cbranch_vccnz .LBB126_2469
; %bb.2453:
	v_cmp_lt_i16_e32 vcc_lo, 14, v12
	s_mov_b32 s10, -1
	s_cbranch_vccz .LBB126_2467
; %bb.2454:
	v_cmp_eq_u16_e32 vcc_lo, 15, v12
	s_mov_b32 s0, -1
	s_cbranch_vccz .LBB126_2466
; %bb.2455:
	v_and_b32_e64 v0, 0xff, s7
	s_delay_alu instid0(VALU_DEP_1)
	v_cmp_gt_i16_e32 vcc_lo, 0x80, v0
	s_cbranch_vccnz .LBB126_2458
; %bb.2456:
	v_cmp_eq_u16_e32 vcc_lo, 0x80, v0
	s_cbranch_vccz .LBB126_2459
; %bb.2457:
	s_mov_b32 s10, 0
	s_mov_b32 s0, 0x7f800001
	s_branch .LBB126_2460
.LBB126_2458:
	s_mov_b32 s18, -1
	s_mov_b32 s10, 0
                                        ; implicit-def: $sgpr0
	s_branch .LBB126_2461
.LBB126_2459:
                                        ; implicit-def: $sgpr0
.LBB126_2460:
	s_mov_b32 s18, 0
.LBB126_2461:
	s_delay_alu instid0(SALU_CYCLE_1)
	s_and_b32 vcc_lo, exec_lo, s18
	s_cbranch_vccz .LBB126_2463
; %bb.2462:
	v_cmp_ne_u16_e64 s10, 0, v0
	s_mov_b32 s0, 0
.LBB126_2463:
	s_delay_alu instid0(VALU_DEP_1)
	s_and_not1_b32 vcc_lo, exec_lo, s10
	s_cbranch_vccnz .LBB126_2465
; %bb.2464:
	s_mov_b32 s0, s2
.LBB126_2465:
	s_delay_alu instid0(SALU_CYCLE_1) | instskip(NEXT) | instid1(SALU_CYCLE_1)
	s_bfe_u32 s10, s0, 0x10010
	s_add_i32 s10, s0, s10
	v_cmp_o_f32_e64 s0, s0, s0
	s_addk_i32 s10, 0x7fff
	s_delay_alu instid0(SALU_CYCLE_1) | instskip(NEXT) | instid1(VALU_DEP_1)
	s_lshr_b32 s10, s10, 16
	s_and_b32 s0, s0, exec_lo
	s_cselect_b32 s0, s10, 0x7fc0
	s_delay_alu instid0(SALU_CYCLE_1)
	v_mov_b32_e32 v0, s0
	s_mov_b32 s0, 0
	global_store_b16 v[10:11], v0, off
.LBB126_2466:
	s_mov_b32 s10, 0
.LBB126_2467:
	s_delay_alu instid0(SALU_CYCLE_1)
	s_and_b32 vcc_lo, exec_lo, s10
	s_mov_b32 s10, 0
	s_cbranch_vccz .LBB126_2469
; %bb.2468:
	v_cmp_ne_u16_e32 vcc_lo, 11, v12
	s_and_not1_b32 s0, s0, exec_lo
	s_mov_b32 s10, -1
	s_and_b32 s18, vcc_lo, exec_lo
	s_delay_alu instid0(SALU_CYCLE_1)
	s_or_b32 s0, s0, s18
.LBB126_2469:
	s_and_not1_b32 s18, s17, exec_lo
	s_and_b32 s19, s0, exec_lo
	s_and_b32 s1, s1, exec_lo
	;; [unrolled: 1-line block ×3, first 2 shown]
	s_or_b32 s18, s18, s19
.LBB126_2470:
	s_or_b32 exec_lo, exec_lo, s11
	s_delay_alu instid0(SALU_CYCLE_1)
	s_and_not1_b32 s10, s17, exec_lo
	s_and_b32 s11, s18, exec_lo
	s_and_b32 s1, s1, exec_lo
	s_and_b32 s0, s0, exec_lo
	s_or_b32 s17, s10, s11
.LBB126_2471:
	s_or_b32 exec_lo, exec_lo, s16
	s_delay_alu instid0(SALU_CYCLE_1)
	s_and_not1_b32 s10, s14, exec_lo
	s_and_b32 s11, s17, exec_lo
	s_and_b32 s16, s1, exec_lo
	;; [unrolled: 1-line block ×3, first 2 shown]
	s_or_b32 s14, s10, s11
.LBB126_2472:
	s_or_b32 exec_lo, exec_lo, s15
	s_delay_alu instid0(SALU_CYCLE_1)
	s_and_not1_b32 s10, s12, exec_lo
	s_and_b32 s11, s14, exec_lo
	s_and_b32 s0, s16, exec_lo
	;; [unrolled: 1-line block ×3, first 2 shown]
	s_or_b32 s12, s10, s11
	s_or_b32 exec_lo, exec_lo, s13
	s_mov_b32 s10, 0
	s_and_saveexec_b32 s1, s12
	s_cbranch_execz .LBB126_322
.LBB126_2473:
	s_cbranch_execnz .LBB126_2475
; %bb.2474:
	s_mov_b32 s10, exec_lo
	s_and_not1_b32 s14, s14, exec_lo
	s_or_b32 exec_lo, exec_lo, s1
	s_and_saveexec_b32 s1, s14
	s_cbranch_execnz .LBB126_323
	s_branch .LBB126_331
.LBB126_2475:
	s_trap 2
	s_sendmsg_rtn_b32 s0, sendmsg(MSG_RTN_GET_DOORBELL)
	s_mov_b32 ttmp2, m0
	s_waitcnt lgkmcnt(0)
	s_and_b32 s0, s0, 0x3ff
	s_delay_alu instid0(SALU_CYCLE_1) | instskip(NEXT) | instid1(SALU_CYCLE_1)
	s_bitset1_b32 s0, 10
	s_mov_b32 m0, s0
	s_sendmsg sendmsg(MSG_INTERRUPT)
	s_mov_b32 m0, ttmp2
.LBB126_2476:                           ; =>This Inner Loop Header: Depth=1
	s_sethalt 5
	s_branch .LBB126_2476
	.section	.rodata,"a",@progbits
	.p2align	6, 0x0
	.amdhsa_kernel _ZN2at6native32elementwise_kernel_manual_unrollILi128ELi4EZNS0_15gpu_kernel_implINS0_11FillFunctorIN3c1015Float8_e5m2fnuzEEEEEvRNS_18TensorIteratorBaseERKT_EUlibE_EEviT1_
		.amdhsa_group_segment_fixed_size 0
		.amdhsa_private_segment_fixed_size 0
		.amdhsa_kernarg_size 24
		.amdhsa_user_sgpr_count 15
		.amdhsa_user_sgpr_dispatch_ptr 0
		.amdhsa_user_sgpr_queue_ptr 0
		.amdhsa_user_sgpr_kernarg_segment_ptr 1
		.amdhsa_user_sgpr_dispatch_id 0
		.amdhsa_user_sgpr_private_segment_size 0
		.amdhsa_wavefront_size32 1
		.amdhsa_uses_dynamic_stack 0
		.amdhsa_enable_private_segment 0
		.amdhsa_system_sgpr_workgroup_id_x 1
		.amdhsa_system_sgpr_workgroup_id_y 0
		.amdhsa_system_sgpr_workgroup_id_z 0
		.amdhsa_system_sgpr_workgroup_info 0
		.amdhsa_system_vgpr_workitem_id 0
		.amdhsa_next_free_vgpr 18
		.amdhsa_next_free_sgpr 21
		.amdhsa_reserve_vcc 1
		.amdhsa_float_round_mode_32 0
		.amdhsa_float_round_mode_16_64 0
		.amdhsa_float_denorm_mode_32 3
		.amdhsa_float_denorm_mode_16_64 3
		.amdhsa_dx10_clamp 1
		.amdhsa_ieee_mode 1
		.amdhsa_fp16_overflow 0
		.amdhsa_workgroup_processor_mode 1
		.amdhsa_memory_ordered 1
		.amdhsa_forward_progress 0
		.amdhsa_shared_vgpr_count 0
		.amdhsa_exception_fp_ieee_invalid_op 0
		.amdhsa_exception_fp_denorm_src 0
		.amdhsa_exception_fp_ieee_div_zero 0
		.amdhsa_exception_fp_ieee_overflow 0
		.amdhsa_exception_fp_ieee_underflow 0
		.amdhsa_exception_fp_ieee_inexact 0
		.amdhsa_exception_int_div_zero 0
	.end_amdhsa_kernel
	.section	.text._ZN2at6native32elementwise_kernel_manual_unrollILi128ELi4EZNS0_15gpu_kernel_implINS0_11FillFunctorIN3c1015Float8_e5m2fnuzEEEEEvRNS_18TensorIteratorBaseERKT_EUlibE_EEviT1_,"axG",@progbits,_ZN2at6native32elementwise_kernel_manual_unrollILi128ELi4EZNS0_15gpu_kernel_implINS0_11FillFunctorIN3c1015Float8_e5m2fnuzEEEEEvRNS_18TensorIteratorBaseERKT_EUlibE_EEviT1_,comdat
.Lfunc_end126:
	.size	_ZN2at6native32elementwise_kernel_manual_unrollILi128ELi4EZNS0_15gpu_kernel_implINS0_11FillFunctorIN3c1015Float8_e5m2fnuzEEEEEvRNS_18TensorIteratorBaseERKT_EUlibE_EEviT1_, .Lfunc_end126-_ZN2at6native32elementwise_kernel_manual_unrollILi128ELi4EZNS0_15gpu_kernel_implINS0_11FillFunctorIN3c1015Float8_e5m2fnuzEEEEEvRNS_18TensorIteratorBaseERKT_EUlibE_EEviT1_
                                        ; -- End function
	.section	.AMDGPU.csdata,"",@progbits
; Kernel info:
; codeLenInByte = 43476
; NumSgprs: 23
; NumVgprs: 18
; ScratchSize: 0
; MemoryBound: 0
; FloatMode: 240
; IeeeMode: 1
; LDSByteSize: 0 bytes/workgroup (compile time only)
; SGPRBlocks: 2
; VGPRBlocks: 2
; NumSGPRsForWavesPerEU: 23
; NumVGPRsForWavesPerEU: 18
; Occupancy: 16
; WaveLimiterHint : 0
; COMPUTE_PGM_RSRC2:SCRATCH_EN: 0
; COMPUTE_PGM_RSRC2:USER_SGPR: 15
; COMPUTE_PGM_RSRC2:TRAP_HANDLER: 0
; COMPUTE_PGM_RSRC2:TGID_X_EN: 1
; COMPUTE_PGM_RSRC2:TGID_Y_EN: 0
; COMPUTE_PGM_RSRC2:TGID_Z_EN: 0
; COMPUTE_PGM_RSRC2:TIDIG_COMP_CNT: 0
	.section	.text._ZN2at6native32elementwise_kernel_manual_unrollILi128ELi4EZNS0_15gpu_kernel_implINS0_11FillFunctorIN3c1015Float8_e5m2fnuzEEEEEvRNS_18TensorIteratorBaseERKT_EUlibE0_EEviT1_,"axG",@progbits,_ZN2at6native32elementwise_kernel_manual_unrollILi128ELi4EZNS0_15gpu_kernel_implINS0_11FillFunctorIN3c1015Float8_e5m2fnuzEEEEEvRNS_18TensorIteratorBaseERKT_EUlibE0_EEviT1_,comdat
	.protected	_ZN2at6native32elementwise_kernel_manual_unrollILi128ELi4EZNS0_15gpu_kernel_implINS0_11FillFunctorIN3c1015Float8_e5m2fnuzEEEEEvRNS_18TensorIteratorBaseERKT_EUlibE0_EEviT1_ ; -- Begin function _ZN2at6native32elementwise_kernel_manual_unrollILi128ELi4EZNS0_15gpu_kernel_implINS0_11FillFunctorIN3c1015Float8_e5m2fnuzEEEEEvRNS_18TensorIteratorBaseERKT_EUlibE0_EEviT1_
	.globl	_ZN2at6native32elementwise_kernel_manual_unrollILi128ELi4EZNS0_15gpu_kernel_implINS0_11FillFunctorIN3c1015Float8_e5m2fnuzEEEEEvRNS_18TensorIteratorBaseERKT_EUlibE0_EEviT1_
	.p2align	8
	.type	_ZN2at6native32elementwise_kernel_manual_unrollILi128ELi4EZNS0_15gpu_kernel_implINS0_11FillFunctorIN3c1015Float8_e5m2fnuzEEEEEvRNS_18TensorIteratorBaseERKT_EUlibE0_EEviT1_,@function
_ZN2at6native32elementwise_kernel_manual_unrollILi128ELi4EZNS0_15gpu_kernel_implINS0_11FillFunctorIN3c1015Float8_e5m2fnuzEEEEEvRNS_18TensorIteratorBaseERKT_EUlibE0_EEviT1_: ; @_ZN2at6native32elementwise_kernel_manual_unrollILi128ELi4EZNS0_15gpu_kernel_implINS0_11FillFunctorIN3c1015Float8_e5m2fnuzEEEEEvRNS_18TensorIteratorBaseERKT_EUlibE0_EEviT1_
; %bb.0:
	s_clause 0x1
	s_load_b32 s20, s[0:1], 0x8
	s_load_b32 s30, s[0:1], 0x0
	v_lshl_or_b32 v16, s15, 9, v0
	s_or_b32 s2, s0, 8
	s_mov_b32 s16, -1
	s_mov_b32 s22, 0
	s_mov_b32 s3, s1
	v_or_b32_e32 v1, 0x180, v16
	s_mov_b32 s8, 0
	s_mov_b32 s4, exec_lo
	s_waitcnt lgkmcnt(0)
	s_add_i32 s21, s20, -1
	s_delay_alu instid0(SALU_CYCLE_1)
	s_cmp_gt_u32 s21, 1
	s_cselect_b32 s23, -1, 0
	v_cmpx_le_i32_e64 s30, v1
	s_xor_b32 s24, exec_lo, s4
	s_cbranch_execz .LBB127_501
; %bb.1:
	s_load_b32 s25, s[2:3], 0x110
	s_cmp_lg_u32 s20, 0
	s_mov_b32 s36, 0
	s_cselect_b32 s33, -1, 0
	s_add_u32 s14, s2, 0xc4
	s_addc_u32 s15, s3, 0
	s_min_u32 s31, s21, 15
	s_cmp_gt_u32 s20, 1
	s_mov_b32 s34, 0
	s_cselect_b32 s29, -1, 0
	s_mov_b32 s35, exec_lo
	s_waitcnt lgkmcnt(0)
	s_and_b32 s4, s25, 3
	s_and_b32 s6, s25, 0xffff
	s_clz_i32_u32 s5, s4
	s_bfe_u32 s8, s25, 0x50002
	s_min_u32 s5, s5, 32
	v_lshrrev_b16 v13, 8, s25
	s_sub_i32 s7, s5, 29
	s_sub_i32 s5, 30, s5
	s_lshl_b32 s6, s6, s7
	s_delay_alu instid0(SALU_CYCLE_1)
	s_and_b32 s6, s6, 3
	s_cmp_eq_u32 s8, 0
	s_cselect_b32 s5, s5, s8
	s_cselect_b32 s4, s6, s4
	s_lshl_b32 s6, s25, 24
	s_lshl_b32 s5, s5, 23
	s_and_b32 s6, s6, 0x80000000
	s_add_i32 s17, s5, 0x37800000
	s_lshl_b32 s18, s4, 21
	s_or_b32 s4, s6, s17
	s_or_b32 s28, s18, s17
	s_or_b32 s26, s4, s18
	s_clause 0x3
	s_load_b64 s[10:11], s[2:3], 0xc4
	s_load_b64 s[8:9], s[2:3], 0x108
	s_load_b128 s[4:7], s[2:3], 0x4
	s_load_b64 s[12:13], s[2:3], 0x14
	v_cvt_f64_f32_e32 v[6:7], s26
	v_trunc_f32_e32 v0, s26
	v_cvt_f16_f32_e32 v14, s26
	s_and_b32 s17, s17, 0x7f800000
	v_cvt_u32_f32_e32 v17, s26
	s_or_b32 s17, s17, s18
	v_mul_f32_e64 v1, 0x2f800000, |v0|
	v_mul_f32_e32 v2, 0x2f800000, v0
	v_ashrrev_i32_e32 v5, 31, v0
	v_and_b32_e32 v15, 0xffff, v14
	v_cvt_i32_f32_e32 v12, s26
	v_floor_f32_e32 v1, v1
	v_floor_f32_e32 v2, v2
	s_cmp_lg_u32 s17, 0
	s_cselect_b32 s27, -1, 0
	s_delay_alu instid0(VALU_DEP_2) | instskip(SKIP_3) | instid1(VALU_DEP_4)
	v_fma_f32 v3, 0xcf800000, v1, |v0|
	v_cvt_u32_f32_e32 v1, v1
	v_fmamk_f32 v0, v2, 0xcf800000, v0
	v_cvt_u32_f32_e32 v9, v2
	v_cvt_u32_f32_e32 v3, v3
	s_delay_alu instid0(VALU_DEP_4) | instskip(NEXT) | instid1(VALU_DEP_4)
	v_xor_b32_e32 v1, v1, v5
	v_cvt_u32_f32_e32 v8, v0
	s_delay_alu instid0(VALU_DEP_3) | instskip(NEXT) | instid1(VALU_DEP_1)
	v_xor_b32_e32 v3, v3, v5
	v_sub_co_u32 v4, vcc_lo, v3, v5
	s_delay_alu instid0(VALU_DEP_4)
	v_sub_co_ci_u32_e32 v5, vcc_lo, v1, v5, vcc_lo
	v_cmpx_gt_i32_e64 s30, v16
	s_cbranch_execz .LBB127_320
; %bb.2:
	s_and_not1_b32 vcc_lo, exec_lo, s23
	s_cbranch_vccnz .LBB127_7
; %bb.3:
	v_mov_b32_e32 v0, 0
	s_and_not1_b32 vcc_lo, exec_lo, s33
	s_cbranch_vccnz .LBB127_12
; %bb.4:
	s_add_i32 s37, s31, 1
	s_cmp_eq_u32 s21, 2
	s_cbranch_scc1 .LBB127_8
; %bb.5:
	v_dual_mov_b32 v0, 0 :: v_dual_mov_b32 v1, v16
	s_and_b32 s34, s37, 28
	s_mov_b32 s38, 0
	s_mov_b64 s[16:17], s[2:3]
	s_mov_b64 s[18:19], s[14:15]
.LBB127_6:                              ; =>This Inner Loop Header: Depth=1
	s_clause 0x1
	s_load_b256 s[40:47], s[16:17], 0x4
	s_load_b128 s[48:51], s[16:17], 0x24
	s_load_b128 s[52:55], s[18:19], 0x0
	s_add_u32 s16, s16, 48
	s_addc_u32 s17, s17, 0
	s_add_i32 s38, s38, 4
	s_add_u32 s18, s18, 16
	s_addc_u32 s19, s19, 0
	s_cmp_lg_u32 s34, s38
	s_waitcnt lgkmcnt(0)
	v_mul_hi_u32 v2, s41, v1
	s_delay_alu instid0(VALU_DEP_1) | instskip(NEXT) | instid1(VALU_DEP_1)
	v_add_nc_u32_e32 v2, v1, v2
	v_lshrrev_b32_e32 v2, s42, v2
	s_delay_alu instid0(VALU_DEP_1) | instskip(SKIP_1) | instid1(VALU_DEP_2)
	v_mul_hi_u32 v3, s44, v2
	v_mul_lo_u32 v18, v2, s40
	v_add_nc_u32_e32 v3, v2, v3
	s_delay_alu instid0(VALU_DEP_2) | instskip(NEXT) | instid1(VALU_DEP_2)
	v_sub_nc_u32_e32 v18, v1, v18
	v_lshrrev_b32_e32 v3, s45, v3
	s_delay_alu instid0(VALU_DEP_2) | instskip(NEXT) | instid1(VALU_DEP_2)
	v_mul_lo_u32 v18, v18, s52
	v_mul_hi_u32 v10, s47, v3
	v_mul_lo_u32 v19, v3, s43
	s_delay_alu instid0(VALU_DEP_2) | instskip(NEXT) | instid1(VALU_DEP_2)
	v_add_nc_u32_e32 v10, v3, v10
	v_sub_nc_u32_e32 v2, v2, v19
	s_delay_alu instid0(VALU_DEP_2) | instskip(NEXT) | instid1(VALU_DEP_2)
	v_lshrrev_b32_e32 v10, s48, v10
	v_mul_lo_u32 v2, v2, s53
	s_delay_alu instid0(VALU_DEP_2) | instskip(NEXT) | instid1(VALU_DEP_2)
	v_mul_hi_u32 v11, s50, v10
	v_add3_u32 v0, v18, v0, v2
	s_delay_alu instid0(VALU_DEP_2) | instskip(NEXT) | instid1(VALU_DEP_1)
	v_add_nc_u32_e32 v11, v10, v11
	v_lshrrev_b32_e32 v1, s51, v11
	v_mul_lo_u32 v11, v10, s46
	s_delay_alu instid0(VALU_DEP_2) | instskip(NEXT) | instid1(VALU_DEP_2)
	v_mul_lo_u32 v20, v1, s49
	v_sub_nc_u32_e32 v3, v3, v11
	s_delay_alu instid0(VALU_DEP_2) | instskip(NEXT) | instid1(VALU_DEP_2)
	v_sub_nc_u32_e32 v10, v10, v20
	v_mul_lo_u32 v3, v3, s54
	s_delay_alu instid0(VALU_DEP_2) | instskip(NEXT) | instid1(VALU_DEP_1)
	v_mul_lo_u32 v10, v10, s55
	v_add3_u32 v0, v3, v0, v10
	s_cbranch_scc1 .LBB127_6
	s_branch .LBB127_9
.LBB127_7:
                                        ; implicit-def: $vgpr0
	s_and_not1_b32 vcc_lo, exec_lo, s16
	s_cbranch_vccz .LBB127_13
	s_branch .LBB127_15
.LBB127_8:
	v_mov_b32_e32 v1, v16
.LBB127_9:
	s_and_b32 s37, s37, 3
	s_delay_alu instid0(SALU_CYCLE_1)
	s_cmp_eq_u32 s37, 0
	s_cbranch_scc1 .LBB127_12
; %bb.10:
	s_lshl_b32 s16, s34, 2
	s_mul_i32 s18, s34, 12
	s_add_u32 s16, s16, s2
	s_addc_u32 s17, s3, 0
	s_add_u32 s16, s16, 0xc4
	s_addc_u32 s17, s17, 0
	;; [unrolled: 2-line block ×3, first 2 shown]
	.p2align	6
.LBB127_11:                             ; =>This Inner Loop Header: Depth=1
	s_clause 0x1
	s_load_b64 s[38:39], s[18:19], 0x4
	s_load_b32 s34, s[18:19], 0xc
	s_add_u32 s18, s18, 12
	s_addc_u32 s19, s19, 0
	s_waitcnt lgkmcnt(0)
	v_mul_hi_u32 v2, s39, v1
	s_load_b32 s39, s[16:17], 0x0
	s_add_u32 s16, s16, 4
	s_addc_u32 s17, s17, 0
	s_add_i32 s37, s37, -1
	s_delay_alu instid0(SALU_CYCLE_1) | instskip(NEXT) | instid1(VALU_DEP_1)
	s_cmp_lg_u32 s37, 0
	v_add_nc_u32_e32 v2, v1, v2
	s_delay_alu instid0(VALU_DEP_1) | instskip(NEXT) | instid1(VALU_DEP_1)
	v_lshrrev_b32_e32 v10, s34, v2
	v_mul_lo_u32 v2, v10, s38
	s_delay_alu instid0(VALU_DEP_1) | instskip(SKIP_1) | instid1(VALU_DEP_1)
	v_sub_nc_u32_e32 v1, v1, v2
	s_waitcnt lgkmcnt(0)
	v_mad_u64_u32 v[2:3], null, v1, s39, v[0:1]
	v_mov_b32_e32 v1, v10
	s_delay_alu instid0(VALU_DEP_2)
	v_mov_b32_e32 v0, v2
	s_cbranch_scc1 .LBB127_11
.LBB127_12:
	s_cbranch_execnz .LBB127_15
.LBB127_13:
	s_waitcnt lgkmcnt(0)
	v_mul_hi_u32 v0, s5, v16
	s_and_not1_b32 vcc_lo, exec_lo, s29
	s_delay_alu instid0(VALU_DEP_1) | instskip(NEXT) | instid1(VALU_DEP_1)
	v_add_nc_u32_e32 v0, v16, v0
	v_lshrrev_b32_e32 v1, s6, v0
	s_delay_alu instid0(VALU_DEP_1) | instskip(NEXT) | instid1(VALU_DEP_1)
	v_mul_lo_u32 v0, v1, s4
	v_sub_nc_u32_e32 v0, v16, v0
	s_delay_alu instid0(VALU_DEP_1)
	v_mul_lo_u32 v0, v0, s10
	s_cbranch_vccnz .LBB127_15
; %bb.14:
	v_mul_hi_u32 v2, s12, v1
	s_delay_alu instid0(VALU_DEP_1) | instskip(NEXT) | instid1(VALU_DEP_1)
	v_add_nc_u32_e32 v2, v1, v2
	v_lshrrev_b32_e32 v2, s13, v2
	s_delay_alu instid0(VALU_DEP_1) | instskip(NEXT) | instid1(VALU_DEP_1)
	v_mul_lo_u32 v2, v2, s7
	v_sub_nc_u32_e32 v3, v1, v2
	s_delay_alu instid0(VALU_DEP_1) | instskip(NEXT) | instid1(VALU_DEP_1)
	v_mad_u64_u32 v[1:2], null, v3, s11, v[0:1]
	v_mov_b32_e32 v0, v1
.LBB127_15:
	v_cmp_gt_i16_e32 vcc_lo, 11, v13
	s_waitcnt lgkmcnt(0)
	s_delay_alu instid0(VALU_DEP_2) | instskip(NEXT) | instid1(VALU_DEP_1)
	v_add_co_u32 v10, s16, s8, v0
	v_add_co_ci_u32_e64 v11, null, s9, 0, s16
	s_mov_b32 s18, 0
	s_mov_b32 s17, -1
	s_mov_b32 s16, 0
	s_cbranch_vccnz .LBB127_24
; %bb.16:
	v_cmp_lt_i16_e32 vcc_lo, 25, v13
	s_cbranch_vccz .LBB127_237
; %bb.17:
	v_cmp_lt_i16_e32 vcc_lo, 28, v13
	s_cbranch_vccz .LBB127_194
	;; [unrolled: 3-line block ×4, first 2 shown]
; %bb.20:
	v_cmp_eq_u16_e32 vcc_lo, 46, v13
	s_mov_b32 s17, 0
	s_mov_b32 s18, -1
	s_cbranch_vccz .LBB127_167
; %bb.21:
	v_and_b32_e64 v0, 0xff, s25
	s_delay_alu instid0(VALU_DEP_1)
	v_cmp_gt_i16_e32 vcc_lo, 0x80, v0
	s_cbranch_vccnz .LBB127_33
; %bb.22:
	v_cmp_eq_u16_e32 vcc_lo, 0x80, v0
	s_cbranch_vccz .LBB127_160
; %bb.23:
	s_mov_b32 s18, 0
	s_mov_b32 s16, 0x7f800001
	s_branch .LBB127_161
.LBB127_24:
	s_and_b32 vcc_lo, exec_lo, s17
	s_cbranch_vccz .LBB127_317
; %bb.25:
	v_cmp_gt_i16_e32 vcc_lo, 5, v13
	s_mov_b32 s16, -1
	s_cbranch_vccnz .LBB127_107
; %bb.26:
	v_cmp_gt_i16_e32 vcc_lo, 8, v13
	s_cbranch_vccnz .LBB127_67
; %bb.27:
	v_cmp_gt_i16_e32 vcc_lo, 9, v13
	s_cbranch_vccnz .LBB127_54
; %bb.28:
	v_cmp_lt_i16_e32 vcc_lo, 9, v13
	s_cbranch_vccz .LBB127_41
; %bb.29:
	v_and_b32_e64 v0, 0xff, s25
	s_delay_alu instid0(VALU_DEP_1)
	v_cmp_gt_i16_e32 vcc_lo, 0x80, v0
	s_cbranch_vccnz .LBB127_32
; %bb.30:
	v_cmp_eq_u16_e32 vcc_lo, 0x80, v0
	s_cbranch_vccz .LBB127_34
; %bb.31:
	s_mov_b32 s19, 0
	s_mov_b32 s17, 0x7ff80000
	s_brev_b32 s16, 4
	s_branch .LBB127_35
.LBB127_32:
	s_mov_b32 s34, -1
	s_mov_b32 s19, 0
                                        ; implicit-def: $sgpr16_sgpr17
	s_branch .LBB127_36
.LBB127_33:
	s_mov_b32 s19, -1
	s_mov_b32 s18, 0
                                        ; implicit-def: $sgpr16
	s_branch .LBB127_162
.LBB127_34:
	s_mov_b32 s19, -1
                                        ; implicit-def: $sgpr16_sgpr17
.LBB127_35:
	s_mov_b32 s34, 0
.LBB127_36:
	s_delay_alu instid0(SALU_CYCLE_1)
	s_and_b32 vcc_lo, exec_lo, s34
	s_cbranch_vccz .LBB127_38
; %bb.37:
	v_cmp_ne_u16_e64 s19, 0, v0
	s_mov_b64 s[16:17], 0
.LBB127_38:
	s_delay_alu instid0(SALU_CYCLE_1) | instskip(NEXT) | instid1(VALU_DEP_2)
	v_dual_mov_b32 v0, s16 :: v_dual_mov_b32 v1, s17
	s_and_not1_b32 vcc_lo, exec_lo, s19
	s_cbranch_vccnz .LBB127_40
; %bb.39:
	v_dual_mov_b32 v0, v6 :: v_dual_mov_b32 v1, v7
.LBB127_40:
	v_mov_b32_e32 v2, 0
	s_mov_b32 s16, 0
	s_delay_alu instid0(VALU_DEP_1)
	v_mov_b32_e32 v3, v2
	global_store_b128 v[10:11], v[0:3], off
.LBB127_41:
	s_and_b32 vcc_lo, exec_lo, s16
	s_cbranch_vccz .LBB127_53
; %bb.42:
	v_and_b32_e64 v1, 0xff, s25
	s_delay_alu instid0(VALU_DEP_1)
	v_cmp_gt_i16_e32 vcc_lo, 0x80, v1
	s_cbranch_vccnz .LBB127_45
; %bb.43:
	v_cmp_eq_u16_e32 vcc_lo, 0x80, v1
	s_cbranch_vccz .LBB127_46
; %bb.44:
	s_mov_b32 s16, 0
	s_mov_b32 s17, 0x7f800001
	s_branch .LBB127_47
.LBB127_45:
	s_mov_b32 s19, -1
	s_mov_b32 s16, 0
                                        ; implicit-def: $sgpr17
	s_branch .LBB127_48
.LBB127_46:
	s_mov_b32 s16, -1
                                        ; implicit-def: $sgpr17
.LBB127_47:
	s_mov_b32 s19, 0
.LBB127_48:
	v_mov_b32_e32 v0, s17
	s_and_b32 vcc_lo, exec_lo, s19
	s_cbranch_vccz .LBB127_50
; %bb.49:
	v_and_b32_e32 v0, 0xffff, v1
	v_cmp_ne_u16_e64 s16, 0, v1
.LBB127_50:
	s_delay_alu instid0(VALU_DEP_1)
	s_and_not1_b32 vcc_lo, exec_lo, s16
	s_cbranch_vccnz .LBB127_52
; %bb.51:
	v_mov_b32_e32 v0, s26
.LBB127_52:
	v_mov_b32_e32 v1, 0
	global_store_b64 v[10:11], v[0:1], off
.LBB127_53:
	s_mov_b32 s16, 0
.LBB127_54:
	s_delay_alu instid0(SALU_CYCLE_1)
	s_and_not1_b32 vcc_lo, exec_lo, s16
	s_cbranch_vccnz .LBB127_66
; %bb.55:
	v_and_b32_e64 v0, 0xff, s25
	s_delay_alu instid0(VALU_DEP_1)
	v_cmp_gt_i16_e32 vcc_lo, 0x80, v0
	s_cbranch_vccnz .LBB127_58
; %bb.56:
	v_cmp_eq_u16_e32 vcc_lo, 0x80, v0
	s_cbranch_vccz .LBB127_59
; %bb.57:
	s_mov_b32 s16, 0
	s_movk_i32 s17, 0x7e00
	s_branch .LBB127_60
.LBB127_58:
	s_mov_b32 s19, -1
	s_mov_b32 s16, 0
                                        ; implicit-def: $sgpr17
	s_branch .LBB127_61
.LBB127_59:
	s_mov_b32 s16, -1
                                        ; implicit-def: $sgpr17
.LBB127_60:
	s_mov_b32 s19, 0
.LBB127_61:
	v_mov_b32_e32 v1, s17
	s_and_b32 vcc_lo, exec_lo, s19
	s_cbranch_vccz .LBB127_63
; %bb.62:
	v_and_b32_e32 v1, 0xffff, v0
	v_cmp_ne_u16_e64 s16, 0, v0
.LBB127_63:
	s_delay_alu instid0(VALU_DEP_1)
	s_and_not1_b32 vcc_lo, exec_lo, s16
	s_cbranch_vccnz .LBB127_65
; %bb.64:
	v_mov_b32_e32 v1, v15
.LBB127_65:
	global_store_b32 v[10:11], v1, off
.LBB127_66:
	s_mov_b32 s16, 0
.LBB127_67:
	s_delay_alu instid0(SALU_CYCLE_1)
	s_and_not1_b32 vcc_lo, exec_lo, s16
	s_cbranch_vccnz .LBB127_106
; %bb.68:
	v_cmp_gt_i16_e32 vcc_lo, 6, v13
	s_mov_b32 s16, -1
	s_cbranch_vccnz .LBB127_94
; %bb.69:
	v_cmp_lt_i16_e32 vcc_lo, 6, v13
	s_cbranch_vccz .LBB127_81
; %bb.70:
	v_and_b32_e64 v0, 0xff, s25
	s_delay_alu instid0(VALU_DEP_1)
	v_cmp_gt_i16_e32 vcc_lo, 0x80, v0
	s_cbranch_vccnz .LBB127_73
; %bb.71:
	v_cmp_eq_u16_e32 vcc_lo, 0x80, v0
	s_cbranch_vccz .LBB127_74
; %bb.72:
	s_mov_b32 s19, 0
	s_mov_b32 s17, 0x7ff80000
	s_brev_b32 s16, 4
	s_branch .LBB127_75
.LBB127_73:
	s_mov_b32 s34, -1
	s_mov_b32 s19, 0
                                        ; implicit-def: $sgpr16_sgpr17
	s_branch .LBB127_76
.LBB127_74:
	s_mov_b32 s19, -1
                                        ; implicit-def: $sgpr16_sgpr17
.LBB127_75:
	s_mov_b32 s34, 0
.LBB127_76:
	s_delay_alu instid0(SALU_CYCLE_1)
	s_and_b32 vcc_lo, exec_lo, s34
	s_cbranch_vccz .LBB127_78
; %bb.77:
	v_cmp_ne_u16_e64 s19, 0, v0
	s_mov_b64 s[16:17], 0
.LBB127_78:
	s_delay_alu instid0(SALU_CYCLE_1) | instskip(NEXT) | instid1(VALU_DEP_2)
	v_dual_mov_b32 v0, s16 :: v_dual_mov_b32 v1, s17
	s_and_not1_b32 vcc_lo, exec_lo, s19
	s_cbranch_vccnz .LBB127_80
; %bb.79:
	v_dual_mov_b32 v0, v6 :: v_dual_mov_b32 v1, v7
.LBB127_80:
	s_mov_b32 s16, 0
	global_store_b64 v[10:11], v[0:1], off
.LBB127_81:
	s_and_b32 vcc_lo, exec_lo, s16
	s_cbranch_vccz .LBB127_93
; %bb.82:
	v_and_b32_e64 v0, 0xff, s25
	s_delay_alu instid0(VALU_DEP_1)
	v_cmp_gt_i16_e32 vcc_lo, 0x80, v0
	s_cbranch_vccnz .LBB127_85
; %bb.83:
	v_cmp_eq_u16_e32 vcc_lo, 0x80, v0
	s_cbranch_vccz .LBB127_86
; %bb.84:
	s_mov_b32 s17, 0
	s_mov_b32 s16, 0x7f800001
	s_branch .LBB127_87
.LBB127_85:
	s_mov_b32 s19, -1
	s_mov_b32 s17, 0
                                        ; implicit-def: $sgpr16
	s_branch .LBB127_88
.LBB127_86:
	s_mov_b32 s17, -1
                                        ; implicit-def: $sgpr16
.LBB127_87:
	s_mov_b32 s19, 0
.LBB127_88:
	s_delay_alu instid0(SALU_CYCLE_1)
	s_and_b32 vcc_lo, exec_lo, s19
	s_cbranch_vccz .LBB127_90
; %bb.89:
	v_cmp_ne_u16_e64 s17, 0, v0
	s_mov_b32 s16, 0
.LBB127_90:
	s_delay_alu instid0(VALU_DEP_1)
	s_and_not1_b32 vcc_lo, exec_lo, s17
	s_cbranch_vccnz .LBB127_92
; %bb.91:
	s_mov_b32 s16, s26
.LBB127_92:
	s_delay_alu instid0(SALU_CYCLE_1)
	v_mov_b32_e32 v0, s16
	global_store_b32 v[10:11], v0, off
.LBB127_93:
	s_mov_b32 s16, 0
.LBB127_94:
	s_delay_alu instid0(SALU_CYCLE_1)
	s_and_not1_b32 vcc_lo, exec_lo, s16
	s_cbranch_vccnz .LBB127_106
; %bb.95:
	v_and_b32_e64 v0, 0xff, s25
	s_delay_alu instid0(VALU_DEP_1)
	v_cmp_gt_i16_e32 vcc_lo, 0x80, v0
	s_cbranch_vccnz .LBB127_98
; %bb.96:
	v_cmp_eq_u16_e32 vcc_lo, 0x80, v0
	s_cbranch_vccz .LBB127_99
; %bb.97:
	s_mov_b32 s16, 0
	s_movk_i32 s17, 0x7e00
	s_branch .LBB127_100
.LBB127_98:
	s_mov_b32 s19, -1
	s_mov_b32 s16, 0
                                        ; implicit-def: $sgpr17
	s_branch .LBB127_101
.LBB127_99:
	s_mov_b32 s16, -1
                                        ; implicit-def: $sgpr17
.LBB127_100:
	s_mov_b32 s19, 0
.LBB127_101:
	v_mov_b32_e32 v1, s17
	s_and_b32 vcc_lo, exec_lo, s19
	s_cbranch_vccz .LBB127_103
; %bb.102:
	v_cmp_ne_u16_e64 s16, 0, v0
	v_mov_b32_e32 v1, v0
.LBB127_103:
	s_delay_alu instid0(VALU_DEP_2)
	s_and_not1_b32 vcc_lo, exec_lo, s16
	s_cbranch_vccnz .LBB127_105
; %bb.104:
	v_mov_b32_e32 v1, v14
.LBB127_105:
	global_store_b16 v[10:11], v1, off
.LBB127_106:
	s_mov_b32 s16, 0
.LBB127_107:
	s_delay_alu instid0(SALU_CYCLE_1)
	s_and_not1_b32 vcc_lo, exec_lo, s16
	s_cbranch_vccnz .LBB127_158
; %bb.108:
	v_cmp_gt_i16_e32 vcc_lo, 2, v13
	s_mov_b32 s16, -1
	s_cbranch_vccnz .LBB127_139
; %bb.109:
	v_cmp_gt_i16_e32 vcc_lo, 3, v13
	s_cbranch_vccnz .LBB127_129
; %bb.110:
	v_cmp_lt_i16_e32 vcc_lo, 3, v13
	s_cbranch_vccz .LBB127_119
; %bb.111:
	v_and_b32_e64 v0, 0xff, s25
	s_delay_alu instid0(VALU_DEP_1)
	v_cmp_gt_i16_e32 vcc_lo, 0x80, v0
	s_cbranch_vccnz .LBB127_113
; %bb.112:
	v_cmp_ne_u16_e64 s19, 0x80, v0
	s_mov_b32 s34, 0
	s_mov_b64 s[16:17], 0
	s_branch .LBB127_114
.LBB127_113:
	s_mov_b32 s34, -1
	s_mov_b32 s19, 0
                                        ; implicit-def: $sgpr16_sgpr17
.LBB127_114:
	s_and_not1_b32 vcc_lo, exec_lo, s34
	s_cbranch_vccnz .LBB127_116
; %bb.115:
	v_cmp_ne_u16_e64 s19, 0, v0
	s_mov_b64 s[16:17], 0
.LBB127_116:
	s_delay_alu instid0(SALU_CYCLE_1) | instskip(NEXT) | instid1(VALU_DEP_2)
	v_dual_mov_b32 v0, s16 :: v_dual_mov_b32 v1, s17
	s_and_not1_b32 vcc_lo, exec_lo, s19
	s_cbranch_vccnz .LBB127_118
; %bb.117:
	v_dual_mov_b32 v0, v4 :: v_dual_mov_b32 v1, v5
.LBB127_118:
	s_mov_b32 s16, 0
	global_store_b64 v[10:11], v[0:1], off
.LBB127_119:
	s_and_b32 vcc_lo, exec_lo, s16
	s_cbranch_vccz .LBB127_128
; %bb.120:
	v_and_b32_e64 v0, 0xff, s25
	s_delay_alu instid0(VALU_DEP_1)
	v_cmp_gt_i16_e32 vcc_lo, 0x80, v0
	s_cbranch_vccnz .LBB127_122
; %bb.121:
	v_cmp_ne_u16_e64 s16, 0x80, v0
	s_mov_b32 s19, 0
	s_mov_b32 s17, 0
	s_branch .LBB127_123
.LBB127_122:
	s_mov_b32 s19, -1
	s_mov_b32 s16, 0
                                        ; implicit-def: $sgpr17
.LBB127_123:
	s_and_not1_b32 vcc_lo, exec_lo, s19
	s_cbranch_vccnz .LBB127_125
; %bb.124:
	v_cmp_ne_u16_e64 s16, 0, v0
	s_mov_b32 s17, 0
.LBB127_125:
	s_delay_alu instid0(SALU_CYCLE_1) | instskip(NEXT) | instid1(VALU_DEP_2)
	v_mov_b32_e32 v0, s17
	s_and_not1_b32 vcc_lo, exec_lo, s16
	s_cbranch_vccnz .LBB127_127
; %bb.126:
	v_mov_b32_e32 v0, v12
.LBB127_127:
	global_store_b32 v[10:11], v0, off
.LBB127_128:
	s_mov_b32 s16, 0
.LBB127_129:
	s_delay_alu instid0(SALU_CYCLE_1)
	s_and_not1_b32 vcc_lo, exec_lo, s16
	s_cbranch_vccnz .LBB127_138
; %bb.130:
	v_and_b32_e64 v0, 0xff, s25
	s_delay_alu instid0(VALU_DEP_1)
	v_cmp_gt_i16_e32 vcc_lo, 0x80, v0
	s_cbranch_vccnz .LBB127_132
; %bb.131:
	v_cmp_ne_u16_e64 s16, 0x80, v0
	s_mov_b32 s19, 0
	s_mov_b32 s17, 0
	s_branch .LBB127_133
.LBB127_132:
	s_mov_b32 s19, -1
	s_mov_b32 s16, 0
                                        ; implicit-def: $sgpr17
.LBB127_133:
	s_and_not1_b32 vcc_lo, exec_lo, s19
	s_cbranch_vccnz .LBB127_135
; %bb.134:
	v_cmp_ne_u16_e64 s16, 0, v0
	s_mov_b32 s17, 0
.LBB127_135:
	s_delay_alu instid0(SALU_CYCLE_1) | instskip(NEXT) | instid1(VALU_DEP_2)
	v_mov_b32_e32 v0, s17
	s_and_not1_b32 vcc_lo, exec_lo, s16
	s_cbranch_vccnz .LBB127_137
; %bb.136:
	v_mov_b32_e32 v0, v12
.LBB127_137:
	global_store_b16 v[10:11], v0, off
.LBB127_138:
	s_mov_b32 s16, 0
.LBB127_139:
	s_delay_alu instid0(SALU_CYCLE_1)
	s_and_not1_b32 vcc_lo, exec_lo, s16
	s_cbranch_vccnz .LBB127_158
; %bb.140:
	v_cmp_lt_i16_e32 vcc_lo, 0, v13
	s_mov_b32 s16, 0
	s_mov_b32 s17, -1
	s_cbranch_vccz .LBB127_149
; %bb.141:
	v_and_b32_e64 v0, 0xff, s25
	s_delay_alu instid0(VALU_DEP_1)
	v_cmp_gt_i16_e32 vcc_lo, 0x80, v0
	s_cbranch_vccnz .LBB127_143
; %bb.142:
	v_cmp_ne_u16_e64 s16, 0x80, v0
	s_mov_b32 s19, 0
	s_mov_b32 s17, 0
	s_branch .LBB127_144
.LBB127_143:
	s_mov_b32 s19, -1
                                        ; implicit-def: $sgpr17
.LBB127_144:
	s_delay_alu instid0(SALU_CYCLE_1)
	s_and_not1_b32 vcc_lo, exec_lo, s19
	s_cbranch_vccnz .LBB127_146
; %bb.145:
	v_cmp_ne_u16_e64 s16, 0, v0
	s_mov_b32 s17, 0
.LBB127_146:
	s_delay_alu instid0(SALU_CYCLE_1) | instskip(NEXT) | instid1(VALU_DEP_2)
	v_mov_b32_e32 v0, s17
	s_and_not1_b32 vcc_lo, exec_lo, s16
	s_cbranch_vccnz .LBB127_148
; %bb.147:
	v_mov_b32_e32 v0, v12
.LBB127_148:
	s_mov_b32 s17, 0
	global_store_b8 v[10:11], v0, off
.LBB127_149:
	s_and_b32 vcc_lo, exec_lo, s17
	s_cbranch_vccz .LBB127_158
; %bb.150:
	v_and_b32_e64 v0, 0xff, s25
	s_delay_alu instid0(VALU_DEP_1)
	v_cmp_gt_i16_e32 vcc_lo, 0x80, v0
	s_cbranch_vccnz .LBB127_152
; %bb.151:
	v_cmp_ne_u16_e64 s16, 0x80, v0
	s_mov_b32 s19, 0
	s_mov_b32 s17, 0
	s_branch .LBB127_153
.LBB127_152:
	s_mov_b32 s19, -1
	s_mov_b32 s16, 0
                                        ; implicit-def: $sgpr17
.LBB127_153:
	s_and_not1_b32 vcc_lo, exec_lo, s19
	s_cbranch_vccnz .LBB127_155
; %bb.154:
	v_cmp_ne_u16_e64 s16, 0, v0
	s_mov_b32 s17, 0
.LBB127_155:
	s_delay_alu instid0(SALU_CYCLE_1) | instskip(NEXT) | instid1(VALU_DEP_2)
	v_mov_b32_e32 v0, s17
	s_and_not1_b32 vcc_lo, exec_lo, s16
	s_cbranch_vccnz .LBB127_157
; %bb.156:
	v_mov_b32_e32 v0, v4
.LBB127_157:
	global_store_b8 v[10:11], v0, off
.LBB127_158:
	s_branch .LBB127_318
.LBB127_159:
	s_mov_b32 s16, 0
                                        ; implicit-def: $vgpr16
	s_branch .LBB127_319
.LBB127_160:
                                        ; implicit-def: $sgpr16
.LBB127_161:
	s_mov_b32 s19, 0
.LBB127_162:
	s_delay_alu instid0(SALU_CYCLE_1)
	s_and_b32 vcc_lo, exec_lo, s19
	s_cbranch_vccz .LBB127_164
; %bb.163:
	v_cmp_ne_u16_e64 s18, 0, v0
	s_mov_b32 s16, 0
.LBB127_164:
	s_delay_alu instid0(VALU_DEP_1)
	s_and_not1_b32 vcc_lo, exec_lo, s18
	s_cbranch_vccnz .LBB127_166
; %bb.165:
	s_mov_b32 s16, s26
.LBB127_166:
	s_delay_alu instid0(SALU_CYCLE_1) | instskip(NEXT) | instid1(SALU_CYCLE_1)
	s_bfe_u32 s18, s16, 0x10010
	s_add_i32 s18, s16, s18
	v_cmp_o_f32_e64 s16, s16, s16
	s_addk_i32 s18, 0x7fff
	s_delay_alu instid0(SALU_CYCLE_1) | instskip(NEXT) | instid1(VALU_DEP_1)
	s_lshr_b32 s18, s18, 16
	s_and_b32 s16, s16, exec_lo
	s_cselect_b32 s16, s18, 0x7fc0
	s_mov_b32 s18, 0
	v_mov_b32_e32 v0, s16
	s_mov_b32 s16, -1
	global_store_b32 v[10:11], v0, off
.LBB127_167:
	s_and_b32 vcc_lo, exec_lo, s17
	s_cbranch_vccz .LBB127_180
; %bb.168:
	v_cmp_eq_u16_e32 vcc_lo, 44, v13
	s_mov_b32 s18, -1
	s_cbranch_vccz .LBB127_180
; %bb.169:
	v_and_b32_e64 v0, 0xff, s25
	s_delay_alu instid0(VALU_DEP_1)
	v_cmp_gt_i16_e32 vcc_lo, 0x80, v0
	v_readfirstlane_b32 s17, v0
	s_cbranch_vccnz .LBB127_172
; %bb.170:
	s_delay_alu instid0(VALU_DEP_1) | instskip(NEXT) | instid1(VALU_DEP_1)
	v_cmp_eq_u16_e64 s16, 0x80, s17
	s_and_b32 vcc_lo, exec_lo, s16
	s_cbranch_vccz .LBB127_173
; %bb.171:
	s_mov_b32 s18, 0
	s_mov_b32 s16, 0x7f800001
	s_branch .LBB127_174
.LBB127_172:
	s_mov_b32 s19, -1
	s_mov_b32 s18, 0
                                        ; implicit-def: $sgpr16
	s_branch .LBB127_175
.LBB127_173:
                                        ; implicit-def: $sgpr16
.LBB127_174:
	s_mov_b32 s19, 0
.LBB127_175:
	s_delay_alu instid0(SALU_CYCLE_1)
	s_and_b32 vcc_lo, exec_lo, s19
	s_cbranch_vccz .LBB127_185
; %bb.176:
	v_cmp_ne_u16_e64 s18, s17, 0
	s_and_b32 s16, 0xffff, s17
	s_delay_alu instid0(VALU_DEP_1)
	s_and_not1_b32 vcc_lo, exec_lo, s18
	s_cbranch_vccz .LBB127_186
.LBB127_177:
	v_mov_b32_e32 v0, 0xff
	s_bfe_u32 s17, s16, 0x80017
	s_delay_alu instid0(SALU_CYCLE_1)
	s_cmpk_eq_i32 s17, 0xff
	s_cbranch_scc1 .LBB127_179
.LBB127_178:
	s_lshr_b32 s18, s16, 23
	s_bitcmp1_b32 s16, 22
	s_cselect_b32 s19, -1, 0
	s_and_b32 s16, s16, 0x3fffff
	s_delay_alu instid0(SALU_CYCLE_1) | instskip(NEXT) | instid1(SALU_CYCLE_1)
	s_or_b32 s16, s17, s16
	s_cmp_lg_u32 s16, 0
	s_cselect_b32 s16, -1, 0
	s_delay_alu instid0(SALU_CYCLE_1) | instskip(NEXT) | instid1(SALU_CYCLE_1)
	s_and_b32 s16, s19, s16
	v_cndmask_b32_e64 v0, 0, 1, s16
	s_delay_alu instid0(VALU_DEP_1)
	v_add_nc_u32_e32 v0, s18, v0
.LBB127_179:
	s_mov_b32 s16, -1
	s_mov_b32 s18, 0
	global_store_b8 v[10:11], v0, off
.LBB127_180:
	s_mov_b32 s17, 0
.LBB127_181:
	s_delay_alu instid0(SALU_CYCLE_1)
	s_and_b32 vcc_lo, exec_lo, s17
	s_cbranch_vccz .LBB127_193
; %bb.182:
	v_cmp_eq_u16_e32 vcc_lo, 29, v13
	s_mov_b32 s18, -1
	s_cbranch_vccz .LBB127_193
; %bb.183:
	v_and_b32_e64 v0, 0xff, s25
	s_delay_alu instid0(VALU_DEP_1)
	v_cmp_gt_i16_e32 vcc_lo, 0x80, v0
	s_cbranch_vccnz .LBB127_187
; %bb.184:
	v_cmp_ne_u16_e64 s18, 0x80, v0
	s_mov_b32 s19, 0
	s_mov_b64 s[16:17], 0
	s_branch .LBB127_188
.LBB127_185:
	s_and_not1_b32 vcc_lo, exec_lo, s18
	s_cbranch_vccnz .LBB127_177
.LBB127_186:
	s_mov_b32 s16, s28
	v_mov_b32_e32 v0, 0xff
	s_bfe_u32 s17, s16, 0x80017
	s_delay_alu instid0(SALU_CYCLE_1)
	s_cmpk_eq_i32 s17, 0xff
	s_cbranch_scc0 .LBB127_178
	s_branch .LBB127_179
.LBB127_187:
	s_mov_b32 s19, -1
	s_mov_b32 s18, 0
                                        ; implicit-def: $sgpr16_sgpr17
.LBB127_188:
	s_and_not1_b32 vcc_lo, exec_lo, s19
	s_cbranch_vccnz .LBB127_190
; %bb.189:
	v_cmp_ne_u16_e64 s18, 0, v0
	s_mov_b64 s[16:17], 0
.LBB127_190:
	s_delay_alu instid0(SALU_CYCLE_1) | instskip(NEXT) | instid1(VALU_DEP_2)
	v_dual_mov_b32 v0, s16 :: v_dual_mov_b32 v1, s17
	s_and_not1_b32 vcc_lo, exec_lo, s18
	s_cbranch_vccnz .LBB127_192
; %bb.191:
	v_dual_mov_b32 v0, v8 :: v_dual_mov_b32 v1, v9
.LBB127_192:
	s_mov_b32 s16, -1
	s_mov_b32 s18, 0
	global_store_b64 v[10:11], v[0:1], off
.LBB127_193:
	s_mov_b32 s17, 0
.LBB127_194:
	s_delay_alu instid0(SALU_CYCLE_1)
	s_and_b32 vcc_lo, exec_lo, s17
	s_cbranch_vccz .LBB127_236
; %bb.195:
	v_cmp_gt_i16_e32 vcc_lo, 27, v13
	s_mov_b32 s16, -1
	s_cbranch_vccnz .LBB127_215
; %bb.196:
	v_cmp_lt_i16_e32 vcc_lo, 27, v13
	s_cbranch_vccz .LBB127_205
; %bb.197:
	v_and_b32_e64 v0, 0xff, s25
	s_delay_alu instid0(VALU_DEP_1)
	v_cmp_gt_i16_e32 vcc_lo, 0x80, v0
	s_cbranch_vccnz .LBB127_199
; %bb.198:
	v_cmp_ne_u16_e64 s16, 0x80, v0
	s_mov_b32 s19, 0
	s_mov_b32 s17, 0
	s_branch .LBB127_200
.LBB127_199:
	s_mov_b32 s19, -1
	s_mov_b32 s16, 0
                                        ; implicit-def: $sgpr17
.LBB127_200:
	s_and_not1_b32 vcc_lo, exec_lo, s19
	s_cbranch_vccnz .LBB127_202
; %bb.201:
	v_cmp_ne_u16_e64 s16, 0, v0
	s_mov_b32 s17, 0
.LBB127_202:
	s_delay_alu instid0(SALU_CYCLE_1) | instskip(NEXT) | instid1(VALU_DEP_2)
	v_mov_b32_e32 v0, s17
	s_and_not1_b32 vcc_lo, exec_lo, s16
	s_cbranch_vccnz .LBB127_204
; %bb.203:
	v_mov_b32_e32 v0, v17
.LBB127_204:
	s_mov_b32 s16, 0
	global_store_b32 v[10:11], v0, off
.LBB127_205:
	s_and_b32 vcc_lo, exec_lo, s16
	s_cbranch_vccz .LBB127_214
; %bb.206:
	v_and_b32_e64 v0, 0xff, s25
	s_delay_alu instid0(VALU_DEP_1)
	v_cmp_gt_i16_e32 vcc_lo, 0x80, v0
	s_cbranch_vccnz .LBB127_208
; %bb.207:
	v_cmp_ne_u16_e64 s16, 0x80, v0
	s_mov_b32 s19, 0
	s_mov_b32 s17, 0
	s_branch .LBB127_209
.LBB127_208:
	s_mov_b32 s19, -1
	s_mov_b32 s16, 0
                                        ; implicit-def: $sgpr17
.LBB127_209:
	s_and_not1_b32 vcc_lo, exec_lo, s19
	s_cbranch_vccnz .LBB127_211
; %bb.210:
	v_cmp_ne_u16_e64 s16, 0, v0
	s_mov_b32 s17, 0
.LBB127_211:
	s_delay_alu instid0(SALU_CYCLE_1) | instskip(NEXT) | instid1(VALU_DEP_2)
	v_mov_b32_e32 v0, s17
	s_and_not1_b32 vcc_lo, exec_lo, s16
	s_cbranch_vccnz .LBB127_213
; %bb.212:
	v_mov_b32_e32 v0, v17
.LBB127_213:
	global_store_b16 v[10:11], v0, off
.LBB127_214:
	s_mov_b32 s16, 0
.LBB127_215:
	s_delay_alu instid0(SALU_CYCLE_1)
	s_and_not1_b32 vcc_lo, exec_lo, s16
	s_cbranch_vccnz .LBB127_235
; %bb.216:
	v_and_b32_e64 v0, 0xff, s25
	s_delay_alu instid0(VALU_DEP_1)
	v_cmp_gt_i16_e32 vcc_lo, 0x80, v0
	s_cbranch_vccnz .LBB127_219
; %bb.217:
	v_cmp_eq_u16_e32 vcc_lo, 0x80, v0
	s_cbranch_vccz .LBB127_220
; %bb.218:
	s_mov_b32 s17, 0
	s_mov_b32 s16, 0x7f800001
	s_branch .LBB127_221
.LBB127_219:
	s_mov_b32 s19, -1
	s_mov_b32 s17, 0
                                        ; implicit-def: $sgpr16
	s_branch .LBB127_222
.LBB127_220:
	s_mov_b32 s17, -1
                                        ; implicit-def: $sgpr16
.LBB127_221:
	s_mov_b32 s19, 0
.LBB127_222:
	s_delay_alu instid0(SALU_CYCLE_1)
	s_and_b32 vcc_lo, exec_lo, s19
	s_cbranch_vccz .LBB127_225
; %bb.223:
	v_cmp_ne_u16_e64 s17, 0, v0
	s_mov_b32 s16, 0
	s_delay_alu instid0(VALU_DEP_1)
	s_and_not1_b32 vcc_lo, exec_lo, s17
	s_cbranch_vccz .LBB127_226
.LBB127_224:
	v_mov_b32_e32 v1, 0x80
	s_and_b32 s17, s16, 0x7fffffff
	s_delay_alu instid0(SALU_CYCLE_1)
	s_cmp_gt_u32 s17, 0x437fffff
	s_cbranch_scc0 .LBB127_227
	s_branch .LBB127_234
.LBB127_225:
	s_and_not1_b32 vcc_lo, exec_lo, s17
	s_cbranch_vccnz .LBB127_224
.LBB127_226:
	s_mov_b32 s16, s26
	v_mov_b32_e32 v1, 0x80
	s_and_b32 s17, s16, 0x7fffffff
	s_delay_alu instid0(SALU_CYCLE_1)
	s_cmp_gt_u32 s17, 0x437fffff
	s_cbranch_scc1 .LBB127_234
.LBB127_227:
	s_cmp_gt_u32 s17, 0x3bffffff
	s_cbranch_scc0 .LBB127_229
; %bb.228:
	s_bfe_u32 s17, s16, 0x10014
	s_mov_b32 s19, 0
	s_add_i32 s17, s16, s17
	s_delay_alu instid0(SALU_CYCLE_1) | instskip(NEXT) | instid1(SALU_CYCLE_1)
	s_add_i32 s17, s17, 0x487ffff
	s_lshr_b32 s34, s17, 20
	s_mov_b32 s17, -1
	s_branch .LBB127_230
.LBB127_229:
	s_mov_b32 s19, -1
	s_mov_b32 s17, 0
                                        ; implicit-def: $sgpr34
.LBB127_230:
	v_mov_b32_e32 v0, s34
	s_and_not1_b32 vcc_lo, exec_lo, s19
                                        ; implicit-def: $sgpr19
	s_cbranch_vccnz .LBB127_232
; %bb.231:
	v_add_f32_e64 v0, 0x46000000, |s16|
	s_mov_b32 s19, 0
	s_delay_alu instid0(VALU_DEP_1) | instskip(NEXT) | instid1(VALU_DEP_1)
	v_and_b32_e32 v0, 0xff, v0
	v_cmp_ne_u32_e64 s17, 0, v0
.LBB127_232:
	v_mov_b32_e32 v1, s19
	s_delay_alu instid0(VALU_DEP_2)
	s_and_not1_b32 vcc_lo, exec_lo, s17
	s_cbranch_vccnz .LBB127_234
; %bb.233:
	s_lshr_b32 s16, s16, 24
	s_delay_alu instid0(SALU_CYCLE_1) | instskip(NEXT) | instid1(SALU_CYCLE_1)
	s_and_b32 s16, s16, 0x80
	v_or_b32_e32 v1, s16, v0
.LBB127_234:
	global_store_b8 v[10:11], v1, off
.LBB127_235:
	s_mov_b32 s16, -1
.LBB127_236:
	s_mov_b32 s17, 0
.LBB127_237:
	s_delay_alu instid0(SALU_CYCLE_1)
	s_and_b32 vcc_lo, exec_lo, s17
	s_cbranch_vccz .LBB127_316
; %bb.238:
	v_cmp_lt_i16_e32 vcc_lo, 22, v13
	s_mov_b32 s17, -1
	s_cbranch_vccz .LBB127_288
; %bb.239:
	v_cmp_gt_i16_e32 vcc_lo, 24, v13
	s_mov_b32 s16, -1
	s_cbranch_vccnz .LBB127_265
; %bb.240:
	v_cmp_lt_i16_e32 vcc_lo, 24, v13
	s_cbranch_vccz .LBB127_242
; %bb.241:
	v_mov_b32_e32 v0, s25
	s_mov_b32 s16, 0
	global_store_b8 v[10:11], v0, off
.LBB127_242:
	s_and_not1_b32 vcc_lo, exec_lo, s16
	s_cbranch_vccnz .LBB127_264
; %bb.243:
	v_and_b32_e64 v0, 0xff, s25
	s_delay_alu instid0(VALU_DEP_1)
	v_cmp_gt_i16_e32 vcc_lo, 0x80, v0
	s_cbranch_vccnz .LBB127_246
; %bb.244:
	v_cmp_eq_u16_e32 vcc_lo, 0x80, v0
	s_cbranch_vccz .LBB127_247
; %bb.245:
	s_mov_b32 s17, 0
	s_mov_b32 s16, 0x7f800001
	s_branch .LBB127_248
.LBB127_246:
	s_mov_b32 s19, -1
	s_mov_b32 s17, 0
                                        ; implicit-def: $sgpr16
	s_branch .LBB127_249
.LBB127_247:
                                        ; implicit-def: $sgpr16
.LBB127_248:
	s_mov_b32 s19, 0
.LBB127_249:
	s_delay_alu instid0(SALU_CYCLE_1)
	s_and_b32 vcc_lo, exec_lo, s19
	s_cbranch_vccz .LBB127_254
; %bb.250:
	v_cmp_ne_u16_e64 s17, 0, v0
	s_mov_b32 s16, 0
	s_delay_alu instid0(VALU_DEP_1)
	s_and_not1_b32 vcc_lo, exec_lo, s17
	s_cbranch_vccz .LBB127_255
.LBB127_251:
	s_and_b32 s17, s16, 0x7fffffff
	s_delay_alu instid0(SALU_CYCLE_1)
	s_cmp_lt_u32 s17, 0x43f00000
	s_cbranch_scc0 .LBB127_256
.LBB127_252:
	s_cmp_gt_u32 s17, 0x3c7fffff
	s_cbranch_scc0 .LBB127_257
; %bb.253:
	s_bfe_u32 s19, s16, 0x10014
	s_delay_alu instid0(SALU_CYCLE_1) | instskip(NEXT) | instid1(SALU_CYCLE_1)
	s_add_i32 s19, s16, s19
	s_add_i32 s19, s19, 0x407ffff
	s_delay_alu instid0(SALU_CYCLE_1)
	s_and_b32 s34, s19, 0xff00000
	s_lshr_b32 s19, s19, 20
	s_cmp_lg_u32 s34, 0x7f00000
	s_cselect_b32 s34, s19, 0x7e
	s_mov_b32 s19, 0
	s_branch .LBB127_258
.LBB127_254:
	s_and_not1_b32 vcc_lo, exec_lo, s17
	s_cbranch_vccnz .LBB127_251
.LBB127_255:
	s_mov_b32 s16, s26
	s_delay_alu instid0(SALU_CYCLE_1) | instskip(NEXT) | instid1(SALU_CYCLE_1)
	s_and_b32 s17, s16, 0x7fffffff
	s_cmp_lt_u32 s17, 0x43f00000
	s_cbranch_scc1 .LBB127_252
.LBB127_256:
	s_mov_b32 s19, -1
                                        ; implicit-def: $vgpr0
	s_branch .LBB127_261
.LBB127_257:
	s_mov_b32 s19, -1
                                        ; implicit-def: $sgpr34
.LBB127_258:
	v_mov_b32_e32 v0, s34
	s_and_not1_b32 vcc_lo, exec_lo, s19
	s_cbranch_vccnz .LBB127_260
; %bb.259:
	v_add_f32_e64 v0, 0x46800000, |s16|
.LBB127_260:
	s_mov_b32 s19, 0
.LBB127_261:
	s_delay_alu instid0(SALU_CYCLE_1)
	s_and_not1_b32 vcc_lo, exec_lo, s19
	s_cbranch_vccnz .LBB127_263
; %bb.262:
	s_cmp_gt_u32 s17, 0x7f800000
	s_movk_i32 s17, 0x7f
	s_delay_alu instid0(SALU_CYCLE_1) | instskip(NEXT) | instid1(SALU_CYCLE_1)
	s_cselect_b32 s17, s17, 0x7e
	v_mov_b32_e32 v0, s17
.LBB127_263:
	s_lshr_b32 s16, s16, 24
	s_delay_alu instid0(SALU_CYCLE_1)
	s_and_b32 s16, s16, 0x80
	s_delay_alu instid0(VALU_DEP_1) | instid1(SALU_CYCLE_1)
	v_or_b32_e32 v0, s16, v0
	global_store_b8 v[10:11], v0, off
.LBB127_264:
	s_mov_b32 s16, 0
.LBB127_265:
	s_delay_alu instid0(SALU_CYCLE_1)
	s_and_not1_b32 vcc_lo, exec_lo, s16
	s_cbranch_vccnz .LBB127_287
; %bb.266:
	v_and_b32_e64 v0, 0xff, s25
	s_delay_alu instid0(VALU_DEP_1)
	v_cmp_gt_i16_e32 vcc_lo, 0x80, v0
	s_cbranch_vccnz .LBB127_269
; %bb.267:
	v_cmp_eq_u16_e32 vcc_lo, 0x80, v0
	s_cbranch_vccz .LBB127_270
; %bb.268:
	s_mov_b32 s17, 0
	s_mov_b32 s16, 0x7f800001
	s_branch .LBB127_271
.LBB127_269:
	s_mov_b32 s19, -1
	s_mov_b32 s17, 0
                                        ; implicit-def: $sgpr16
	s_branch .LBB127_272
.LBB127_270:
	s_mov_b32 s17, -1
                                        ; implicit-def: $sgpr16
.LBB127_271:
	s_mov_b32 s19, 0
.LBB127_272:
	s_delay_alu instid0(SALU_CYCLE_1)
	s_and_b32 vcc_lo, exec_lo, s19
	s_cbranch_vccz .LBB127_277
; %bb.273:
	v_cmp_ne_u16_e64 s17, 0, v0
	s_mov_b32 s16, 0
	s_delay_alu instid0(VALU_DEP_1)
	s_and_not1_b32 vcc_lo, exec_lo, s17
	s_cbranch_vccz .LBB127_278
.LBB127_274:
	s_and_b32 s17, s16, 0x7fffffff
	s_delay_alu instid0(SALU_CYCLE_1)
	s_cmp_lt_u32 s17, 0x47800000
	s_cbranch_scc0 .LBB127_279
.LBB127_275:
	s_cmp_gt_u32 s17, 0x387fffff
	s_cbranch_scc0 .LBB127_280
; %bb.276:
	s_bfe_u32 s19, s16, 0x10015
	s_delay_alu instid0(SALU_CYCLE_1) | instskip(NEXT) | instid1(SALU_CYCLE_1)
	s_add_i32 s19, s16, s19
	s_add_i32 s19, s19, 0x80fffff
	s_delay_alu instid0(SALU_CYCLE_1)
	s_lshr_b32 s34, s19, 21
	s_mov_b32 s19, 0
	s_branch .LBB127_281
.LBB127_277:
	s_and_not1_b32 vcc_lo, exec_lo, s17
	s_cbranch_vccnz .LBB127_274
.LBB127_278:
	s_mov_b32 s16, s26
	s_delay_alu instid0(SALU_CYCLE_1) | instskip(NEXT) | instid1(SALU_CYCLE_1)
	s_and_b32 s17, s16, 0x7fffffff
	s_cmp_lt_u32 s17, 0x47800000
	s_cbranch_scc1 .LBB127_275
.LBB127_279:
	s_mov_b32 s19, -1
                                        ; implicit-def: $vgpr0
	s_branch .LBB127_284
.LBB127_280:
	s_mov_b32 s19, -1
                                        ; implicit-def: $sgpr34
.LBB127_281:
	v_mov_b32_e32 v0, s34
	s_and_not1_b32 vcc_lo, exec_lo, s19
	s_cbranch_vccnz .LBB127_283
; %bb.282:
	v_add_f32_e64 v0, 0x43000000, |s16|
.LBB127_283:
	s_mov_b32 s19, 0
.LBB127_284:
	s_delay_alu instid0(SALU_CYCLE_1)
	s_and_not1_b32 vcc_lo, exec_lo, s19
	s_cbranch_vccnz .LBB127_286
; %bb.285:
	s_cmp_gt_u32 s17, 0x7f800000
	s_movk_i32 s17, 0x7f
	s_delay_alu instid0(SALU_CYCLE_1) | instskip(NEXT) | instid1(SALU_CYCLE_1)
	s_cselect_b32 s17, s17, 0x7c
	v_mov_b32_e32 v0, s17
.LBB127_286:
	s_lshr_b32 s16, s16, 24
	s_delay_alu instid0(SALU_CYCLE_1)
	s_and_b32 s16, s16, 0x80
	s_delay_alu instid0(VALU_DEP_1) | instid1(SALU_CYCLE_1)
	v_or_b32_e32 v0, s16, v0
	global_store_b8 v[10:11], v0, off
.LBB127_287:
	s_mov_b32 s17, 0
	s_mov_b32 s16, -1
.LBB127_288:
	s_and_not1_b32 vcc_lo, exec_lo, s17
	s_cbranch_vccnz .LBB127_316
; %bb.289:
	v_cmp_lt_i16_e32 vcc_lo, 14, v13
	s_mov_b32 s17, -1
	s_cbranch_vccz .LBB127_303
; %bb.290:
	v_cmp_eq_u16_e32 vcc_lo, 15, v13
	s_mov_b32 s18, -1
	s_cbranch_vccz .LBB127_302
; %bb.291:
	v_and_b32_e64 v0, 0xff, s25
	s_delay_alu instid0(VALU_DEP_1)
	v_cmp_gt_i16_e32 vcc_lo, 0x80, v0
	s_cbranch_vccnz .LBB127_294
; %bb.292:
	v_cmp_eq_u16_e32 vcc_lo, 0x80, v0
	s_cbranch_vccz .LBB127_295
; %bb.293:
	s_mov_b32 s17, 0
	s_mov_b32 s16, 0x7f800001
	s_branch .LBB127_296
.LBB127_294:
	s_mov_b32 s17, 0
                                        ; implicit-def: $sgpr16
	s_branch .LBB127_297
.LBB127_295:
                                        ; implicit-def: $sgpr16
.LBB127_296:
	s_mov_b32 s18, 0
.LBB127_297:
	s_delay_alu instid0(SALU_CYCLE_1)
	s_and_b32 vcc_lo, exec_lo, s18
	s_cbranch_vccz .LBB127_299
; %bb.298:
	v_cmp_ne_u16_e64 s17, 0, v0
	s_mov_b32 s16, 0
.LBB127_299:
	s_delay_alu instid0(VALU_DEP_1)
	s_and_not1_b32 vcc_lo, exec_lo, s17
	s_cbranch_vccnz .LBB127_301
; %bb.300:
	s_mov_b32 s16, s26
.LBB127_301:
	s_delay_alu instid0(SALU_CYCLE_1) | instskip(SKIP_4) | instid1(SALU_CYCLE_1)
	s_bfe_u32 s17, s16, 0x10010
	s_mov_b32 s18, 0
	s_add_i32 s17, s16, s17
	v_cmp_o_f32_e64 s16, s16, s16
	s_addk_i32 s17, 0x7fff
	s_lshr_b32 s17, s17, 16
	s_delay_alu instid0(VALU_DEP_1) | instskip(SKIP_1) | instid1(SALU_CYCLE_1)
	s_and_b32 s16, s16, exec_lo
	s_cselect_b32 s16, s17, 0x7fc0
	v_mov_b32_e32 v0, s16
	s_mov_b32 s16, -1
	global_store_b16 v[10:11], v0, off
.LBB127_302:
	s_mov_b32 s17, 0
.LBB127_303:
	s_delay_alu instid0(SALU_CYCLE_1)
	s_and_b32 vcc_lo, exec_lo, s17
	s_cbranch_vccz .LBB127_316
; %bb.304:
	v_cmp_eq_u16_e32 vcc_lo, 11, v13
	s_mov_b32 s18, -1
	s_cbranch_vccz .LBB127_316
; %bb.305:
	v_and_b32_e64 v0, 0xff, s25
	s_delay_alu instid0(VALU_DEP_1)
	v_cmp_gt_i16_e32 vcc_lo, 0x80, v0
	s_cbranch_vccnz .LBB127_308
; %bb.306:
	v_cmp_eq_u16_e32 vcc_lo, 0x80, v0
	s_cbranch_vccz .LBB127_309
; %bb.307:
	s_mov_b32 s17, 0
	s_mov_b32 s16, -1
	s_branch .LBB127_310
.LBB127_308:
	s_mov_b32 s17, 0
                                        ; implicit-def: $sgpr16
	s_branch .LBB127_311
.LBB127_309:
	s_mov_b32 s17, -1
                                        ; implicit-def: $sgpr16
.LBB127_310:
	s_mov_b32 s18, 0
.LBB127_311:
	s_delay_alu instid0(SALU_CYCLE_1)
	s_and_b32 vcc_lo, exec_lo, s18
	s_cbranch_vccz .LBB127_313
; %bb.312:
	v_cmp_ne_u16_e64 s17, 0, v0
	s_mov_b32 s16, 0
.LBB127_313:
	s_delay_alu instid0(VALU_DEP_1)
	s_and_not1_b32 vcc_lo, exec_lo, s17
	s_cbranch_vccnz .LBB127_315
; %bb.314:
	s_mov_b32 s16, s27
.LBB127_315:
	s_delay_alu instid0(SALU_CYCLE_1)
	v_cndmask_b32_e64 v0, 0, 1, s16
	s_mov_b32 s16, -1
	s_mov_b32 s18, 0
	global_store_b8 v[10:11], v0, off
.LBB127_316:
.LBB127_317:
	s_and_not1_b32 vcc_lo, exec_lo, s16
	s_cbranch_vccnz .LBB127_159
.LBB127_318:
	v_add_nc_u32_e32 v16, 0x80, v16
	s_mov_b32 s16, -1
.LBB127_319:
	s_and_b32 s34, s18, exec_lo
	s_or_not1_b32 s16, s16, exec_lo
.LBB127_320:
	s_or_b32 exec_lo, exec_lo, s35
	s_mov_b32 s17, 0
                                        ; implicit-def: $vgpr10_vgpr11
	s_and_saveexec_b32 s35, s16
	s_cbranch_execz .LBB127_327
; %bb.321:
	s_mov_b32 s18, -1
	s_mov_b32 s36, s34
	s_mov_b32 s37, exec_lo
	v_cmpx_gt_i32_e64 s30, v16
	s_cbranch_execz .LBB127_1466
; %bb.322:
	s_and_not1_b32 vcc_lo, exec_lo, s23
	s_cbranch_vccnz .LBB127_345
; %bb.323:
	v_mov_b32_e32 v0, 0
	s_and_not1_b32 vcc_lo, exec_lo, s33
	s_cbranch_vccnz .LBB127_351
; %bb.324:
	s_add_i32 s38, s31, 1
	s_cmp_eq_u32 s21, 2
	s_mov_b32 s36, 0
	s_cbranch_scc1 .LBB127_347
; %bb.325:
	v_dual_mov_b32 v0, 0 :: v_dual_mov_b32 v1, v16
	s_and_b32 s36, s38, 28
	s_mov_b32 s39, 0
	s_mov_b64 s[16:17], s[2:3]
	s_mov_b64 s[18:19], s[14:15]
.LBB127_326:                            ; =>This Inner Loop Header: Depth=1
	s_clause 0x1
	s_load_b256 s[40:47], s[16:17], 0x4
	s_load_b128 s[48:51], s[16:17], 0x24
	s_load_b128 s[52:55], s[18:19], 0x0
	s_add_u32 s16, s16, 48
	s_addc_u32 s17, s17, 0
	s_add_i32 s39, s39, 4
	s_add_u32 s18, s18, 16
	s_addc_u32 s19, s19, 0
	s_cmp_eq_u32 s36, s39
	s_waitcnt lgkmcnt(0)
	v_mul_hi_u32 v2, s41, v1
	s_delay_alu instid0(VALU_DEP_1) | instskip(NEXT) | instid1(VALU_DEP_1)
	v_add_nc_u32_e32 v2, v1, v2
	v_lshrrev_b32_e32 v2, s42, v2
	s_delay_alu instid0(VALU_DEP_1) | instskip(SKIP_1) | instid1(VALU_DEP_2)
	v_mul_hi_u32 v3, s44, v2
	v_mul_lo_u32 v18, v2, s40
	v_add_nc_u32_e32 v3, v2, v3
	s_delay_alu instid0(VALU_DEP_2) | instskip(NEXT) | instid1(VALU_DEP_2)
	v_sub_nc_u32_e32 v18, v1, v18
	v_lshrrev_b32_e32 v3, s45, v3
	s_delay_alu instid0(VALU_DEP_2) | instskip(NEXT) | instid1(VALU_DEP_2)
	v_mul_lo_u32 v18, v18, s52
	v_mul_hi_u32 v10, s47, v3
	v_mul_lo_u32 v19, v3, s43
	s_delay_alu instid0(VALU_DEP_2) | instskip(NEXT) | instid1(VALU_DEP_2)
	v_add_nc_u32_e32 v10, v3, v10
	v_sub_nc_u32_e32 v2, v2, v19
	s_delay_alu instid0(VALU_DEP_2) | instskip(NEXT) | instid1(VALU_DEP_2)
	v_lshrrev_b32_e32 v10, s48, v10
	v_mul_lo_u32 v2, v2, s53
	s_delay_alu instid0(VALU_DEP_2) | instskip(NEXT) | instid1(VALU_DEP_2)
	v_mul_hi_u32 v11, s50, v10
	v_add3_u32 v0, v18, v0, v2
	s_delay_alu instid0(VALU_DEP_2) | instskip(NEXT) | instid1(VALU_DEP_1)
	v_add_nc_u32_e32 v11, v10, v11
	v_lshrrev_b32_e32 v1, s51, v11
	v_mul_lo_u32 v11, v10, s46
	s_delay_alu instid0(VALU_DEP_2) | instskip(NEXT) | instid1(VALU_DEP_2)
	v_mul_lo_u32 v20, v1, s49
	v_sub_nc_u32_e32 v3, v3, v11
	s_delay_alu instid0(VALU_DEP_2) | instskip(NEXT) | instid1(VALU_DEP_2)
	v_sub_nc_u32_e32 v10, v10, v20
	v_mul_lo_u32 v3, v3, s54
	s_delay_alu instid0(VALU_DEP_2) | instskip(NEXT) | instid1(VALU_DEP_1)
	v_mul_lo_u32 v10, v10, s55
	v_add3_u32 v0, v3, v0, v10
	s_cbranch_scc0 .LBB127_326
	s_branch .LBB127_348
.LBB127_327:
	s_or_b32 exec_lo, exec_lo, s35
	s_waitcnt lgkmcnt(0)
	s_mov_b32 s6, 0
	s_and_saveexec_b32 s4, s34
	s_cbranch_execnz .LBB127_2572
.LBB127_328:
	s_or_b32 exec_lo, exec_lo, s4
	s_and_saveexec_b32 s4, s36
	s_cbranch_execz .LBB127_337
.LBB127_329:
	v_and_b32_e64 v0, 0xff, s25
	s_delay_alu instid0(VALU_DEP_1)
	v_cmp_gt_i16_e32 vcc_lo, 0x80, v0
	s_cbranch_vccnz .LBB127_332
; %bb.330:
	v_cmp_eq_u16_e32 vcc_lo, 0x80, v0
	s_cbranch_vccz .LBB127_346
; %bb.331:
	s_mov_b32 s7, 0
	s_mov_b32 s5, -1
	s_branch .LBB127_334
.LBB127_332:
	s_mov_b32 s7, 0
                                        ; implicit-def: $sgpr5
	s_cbranch_execz .LBB127_334
; %bb.333:
	v_cmp_ne_u16_e64 s7, 0, v0
	s_mov_b32 s5, 0
.LBB127_334:
	s_delay_alu instid0(VALU_DEP_1)
	s_and_not1_b32 vcc_lo, exec_lo, s7
	s_cbranch_vccnz .LBB127_336
; %bb.335:
	s_mov_b32 s5, s27
.LBB127_336:
	s_delay_alu instid0(SALU_CYCLE_1)
	v_cndmask_b32_e64 v0, 0, 1, s5
	global_store_b8 v[10:11], v0, off
.LBB127_337:
	s_or_b32 exec_lo, exec_lo, s4
	s_and_saveexec_b32 s4, s17
	s_delay_alu instid0(SALU_CYCLE_1)
	s_xor_b32 s7, exec_lo, s4
	s_cbranch_execz .LBB127_500
; %bb.338:
	v_cmp_gt_i16_e32 vcc_lo, 5, v13
	s_mov_b32 s4, -1
	s_cbranch_vccnz .LBB127_449
; %bb.339:
	v_cmp_gt_i16_e32 vcc_lo, 8, v13
	s_cbranch_vccnz .LBB127_409
; %bb.340:
	v_cmp_gt_i16_e32 vcc_lo, 9, v13
	s_cbranch_vccnz .LBB127_396
; %bb.341:
	v_cmp_lt_i16_e32 vcc_lo, 9, v13
	s_cbranch_vccz .LBB127_383
; %bb.342:
	v_and_b32_e64 v0, 0xff, s25
	s_delay_alu instid0(VALU_DEP_1)
	v_cmp_gt_i16_e32 vcc_lo, 0x80, v0
	s_cbranch_vccnz .LBB127_374
; %bb.343:
	v_cmp_eq_u16_e32 vcc_lo, 0x80, v0
	s_cbranch_vccz .LBB127_376
; %bb.344:
	s_mov_b32 s8, 0
	s_mov_b32 s5, 0x7ff80000
	s_brev_b32 s4, 4
	s_branch .LBB127_377
.LBB127_345:
                                        ; implicit-def: $vgpr0
	s_branch .LBB127_352
.LBB127_346:
	s_mov_b32 s7, -1
                                        ; implicit-def: $sgpr5
	s_branch .LBB127_334
.LBB127_347:
	v_mov_b32_e32 v1, v16
.LBB127_348:
	s_and_b32 s38, s38, 3
	s_delay_alu instid0(SALU_CYCLE_1)
	s_cmp_eq_u32 s38, 0
	s_cbranch_scc1 .LBB127_351
; %bb.349:
	s_lshl_b32 s16, s36, 2
	s_mul_i32 s18, s36, 12
	s_add_u32 s16, s16, s2
	s_addc_u32 s17, s3, 0
	s_add_u32 s16, s16, 0xc4
	s_addc_u32 s17, s17, 0
	;; [unrolled: 2-line block ×3, first 2 shown]
	.p2align	6
.LBB127_350:                            ; =>This Inner Loop Header: Depth=1
	s_clause 0x1
	s_load_b64 s[40:41], s[18:19], 0x4
	s_load_b32 s36, s[18:19], 0xc
	s_load_b32 s39, s[16:17], 0x0
	s_add_u32 s18, s18, 12
	s_addc_u32 s19, s19, 0
	s_add_u32 s16, s16, 4
	s_addc_u32 s17, s17, 0
	s_add_i32 s38, s38, -1
	s_delay_alu instid0(SALU_CYCLE_1) | instskip(SKIP_2) | instid1(VALU_DEP_1)
	s_cmp_lg_u32 s38, 0
	s_waitcnt lgkmcnt(0)
	v_mul_hi_u32 v2, s41, v1
	v_add_nc_u32_e32 v2, v1, v2
	s_delay_alu instid0(VALU_DEP_1) | instskip(NEXT) | instid1(VALU_DEP_1)
	v_lshrrev_b32_e32 v10, s36, v2
	v_mul_lo_u32 v2, v10, s40
	s_delay_alu instid0(VALU_DEP_1) | instskip(NEXT) | instid1(VALU_DEP_1)
	v_sub_nc_u32_e32 v1, v1, v2
	v_mad_u64_u32 v[2:3], null, v1, s39, v[0:1]
	v_mov_b32_e32 v1, v10
	s_delay_alu instid0(VALU_DEP_2)
	v_mov_b32_e32 v0, v2
	s_cbranch_scc1 .LBB127_350
.LBB127_351:
	s_cbranch_execnz .LBB127_354
.LBB127_352:
	s_waitcnt lgkmcnt(0)
	v_mul_hi_u32 v0, s5, v16
	s_and_not1_b32 vcc_lo, exec_lo, s29
	s_delay_alu instid0(VALU_DEP_1) | instskip(NEXT) | instid1(VALU_DEP_1)
	v_add_nc_u32_e32 v0, v16, v0
	v_lshrrev_b32_e32 v1, s6, v0
	s_delay_alu instid0(VALU_DEP_1) | instskip(NEXT) | instid1(VALU_DEP_1)
	v_mul_lo_u32 v0, v1, s4
	v_sub_nc_u32_e32 v0, v16, v0
	s_delay_alu instid0(VALU_DEP_1)
	v_mul_lo_u32 v0, v0, s10
	s_cbranch_vccnz .LBB127_354
; %bb.353:
	v_mul_hi_u32 v2, s12, v1
	s_delay_alu instid0(VALU_DEP_1) | instskip(NEXT) | instid1(VALU_DEP_1)
	v_add_nc_u32_e32 v2, v1, v2
	v_lshrrev_b32_e32 v2, s13, v2
	s_delay_alu instid0(VALU_DEP_1) | instskip(NEXT) | instid1(VALU_DEP_1)
	v_mul_lo_u32 v2, v2, s7
	v_sub_nc_u32_e32 v3, v1, v2
	s_delay_alu instid0(VALU_DEP_1) | instskip(NEXT) | instid1(VALU_DEP_1)
	v_mad_u64_u32 v[1:2], null, v3, s11, v[0:1]
	v_mov_b32_e32 v0, v1
.LBB127_354:
	v_cmp_gt_i16_e32 vcc_lo, 11, v13
	s_waitcnt lgkmcnt(0)
	s_delay_alu instid0(VALU_DEP_2) | instskip(NEXT) | instid1(VALU_DEP_1)
	v_add_co_u32 v10, s17, s8, v0
	v_add_co_ci_u32_e64 v11, null, s9, 0, s17
	s_mov_b32 s16, 0
	s_mov_b32 s17, -1
	s_mov_b32 s18, s34
	s_cbranch_vccnz .LBB127_363
; %bb.355:
	v_cmp_lt_i16_e32 vcc_lo, 25, v13
	s_cbranch_vccz .LBB127_371
; %bb.356:
	v_cmp_lt_i16_e32 vcc_lo, 28, v13
	s_cbranch_vccz .LBB127_372
	;; [unrolled: 3-line block ×4, first 2 shown]
; %bb.359:
	v_cmp_eq_u16_e32 vcc_lo, 46, v13
	s_mov_b32 s17, 0
	s_mov_b32 s18, -1
	s_cbranch_vccz .LBB127_1313
; %bb.360:
	v_and_b32_e64 v0, 0xff, s25
	s_delay_alu instid0(VALU_DEP_1)
	v_cmp_gt_i16_e32 vcc_lo, 0x80, v0
	s_cbranch_vccnz .LBB127_871
; %bb.361:
	v_cmp_eq_u16_e32 vcc_lo, 0x80, v0
	s_cbranch_vccz .LBB127_1306
; %bb.362:
	s_mov_b32 s18, 0
	s_mov_b32 s16, 0x7f800001
	s_branch .LBB127_1307
.LBB127_363:
	s_and_b32 vcc_lo, exec_lo, s17
	s_cbranch_vccz .LBB127_1463
; %bb.364:
	v_cmp_gt_i16_e32 vcc_lo, 5, v13
	s_mov_b32 s16, -1
	s_cbranch_vccnz .LBB127_945
; %bb.365:
	v_cmp_gt_i16_e32 vcc_lo, 8, v13
	s_cbranch_vccnz .LBB127_905
; %bb.366:
	v_cmp_gt_i16_e32 vcc_lo, 9, v13
	s_cbranch_vccnz .LBB127_892
; %bb.367:
	v_cmp_lt_i16_e32 vcc_lo, 9, v13
	s_cbranch_vccz .LBB127_879
; %bb.368:
	v_and_b32_e64 v0, 0xff, s25
	s_delay_alu instid0(VALU_DEP_1)
	v_cmp_gt_i16_e32 vcc_lo, 0x80, v0
	s_cbranch_vccnz .LBB127_564
; %bb.369:
	v_cmp_eq_u16_e32 vcc_lo, 0x80, v0
	s_cbranch_vccz .LBB127_872
; %bb.370:
	s_mov_b32 s19, 0
	s_mov_b32 s17, 0x7ff80000
	s_brev_b32 s16, 4
	s_branch .LBB127_873
.LBB127_371:
	s_mov_b32 s18, s34
	s_branch .LBB127_1383
.LBB127_372:
	s_mov_b32 s18, s34
	s_branch .LBB127_1340
.LBB127_373:
	s_mov_b32 s18, s34
	s_branch .LBB127_1327
.LBB127_374:
	s_mov_b32 s9, -1
	s_mov_b32 s8, 0
                                        ; implicit-def: $sgpr4_sgpr5
	s_branch .LBB127_378
.LBB127_375:
	s_mov_b32 s18, s34
	s_branch .LBB127_1313
.LBB127_376:
	s_mov_b32 s8, -1
                                        ; implicit-def: $sgpr4_sgpr5
.LBB127_377:
	s_mov_b32 s9, 0
.LBB127_378:
	s_delay_alu instid0(SALU_CYCLE_1)
	s_and_b32 vcc_lo, exec_lo, s9
	s_cbranch_vccz .LBB127_380
; %bb.379:
	v_cmp_ne_u16_e64 s8, 0, v0
	s_mov_b64 s[4:5], 0
.LBB127_380:
	s_delay_alu instid0(SALU_CYCLE_1) | instskip(NEXT) | instid1(VALU_DEP_2)
	v_dual_mov_b32 v0, s4 :: v_dual_mov_b32 v1, s5
	s_and_not1_b32 vcc_lo, exec_lo, s8
	s_cbranch_vccnz .LBB127_382
; %bb.381:
	v_dual_mov_b32 v0, v6 :: v_dual_mov_b32 v1, v7
.LBB127_382:
	v_mov_b32_e32 v2, 0
	s_mov_b32 s4, 0
	s_delay_alu instid0(VALU_DEP_1)
	v_mov_b32_e32 v3, v2
	global_store_b128 v[10:11], v[0:3], off
.LBB127_383:
	s_and_b32 vcc_lo, exec_lo, s4
	s_cbranch_vccz .LBB127_395
; %bb.384:
	v_and_b32_e64 v1, 0xff, s25
	s_delay_alu instid0(VALU_DEP_1)
	v_cmp_gt_i16_e32 vcc_lo, 0x80, v1
	s_cbranch_vccnz .LBB127_387
; %bb.385:
	v_cmp_eq_u16_e32 vcc_lo, 0x80, v1
	s_cbranch_vccz .LBB127_388
; %bb.386:
	s_mov_b32 s4, 0
	s_mov_b32 s5, 0x7f800001
	s_branch .LBB127_389
.LBB127_387:
	s_mov_b32 s8, -1
	s_mov_b32 s4, 0
                                        ; implicit-def: $sgpr5
	s_branch .LBB127_390
.LBB127_388:
	s_mov_b32 s4, -1
                                        ; implicit-def: $sgpr5
.LBB127_389:
	s_mov_b32 s8, 0
.LBB127_390:
	v_mov_b32_e32 v0, s5
	s_and_b32 vcc_lo, exec_lo, s8
	s_cbranch_vccz .LBB127_392
; %bb.391:
	v_and_b32_e32 v0, 0xffff, v1
	v_cmp_ne_u16_e64 s4, 0, v1
.LBB127_392:
	s_delay_alu instid0(VALU_DEP_1)
	s_and_not1_b32 vcc_lo, exec_lo, s4
	s_cbranch_vccnz .LBB127_394
; %bb.393:
	v_mov_b32_e32 v0, s26
.LBB127_394:
	v_mov_b32_e32 v1, 0
	global_store_b64 v[10:11], v[0:1], off
.LBB127_395:
	s_mov_b32 s4, 0
.LBB127_396:
	s_delay_alu instid0(SALU_CYCLE_1)
	s_and_not1_b32 vcc_lo, exec_lo, s4
	s_cbranch_vccnz .LBB127_408
; %bb.397:
	v_and_b32_e64 v0, 0xff, s25
	s_delay_alu instid0(VALU_DEP_1)
	v_cmp_gt_i16_e32 vcc_lo, 0x80, v0
	s_cbranch_vccnz .LBB127_400
; %bb.398:
	v_cmp_eq_u16_e32 vcc_lo, 0x80, v0
	s_cbranch_vccz .LBB127_401
; %bb.399:
	s_mov_b32 s4, 0
	s_movk_i32 s5, 0x7e00
	s_branch .LBB127_402
.LBB127_400:
	s_mov_b32 s8, -1
	s_mov_b32 s4, 0
                                        ; implicit-def: $sgpr5
	s_branch .LBB127_403
.LBB127_401:
	s_mov_b32 s4, -1
                                        ; implicit-def: $sgpr5
.LBB127_402:
	s_mov_b32 s8, 0
.LBB127_403:
	v_mov_b32_e32 v1, s5
	s_and_b32 vcc_lo, exec_lo, s8
	s_cbranch_vccz .LBB127_405
; %bb.404:
	v_and_b32_e32 v1, 0xffff, v0
	v_cmp_ne_u16_e64 s4, 0, v0
.LBB127_405:
	s_delay_alu instid0(VALU_DEP_1)
	s_and_not1_b32 vcc_lo, exec_lo, s4
	s_cbranch_vccnz .LBB127_407
; %bb.406:
	v_mov_b32_e32 v1, v15
.LBB127_407:
	global_store_b32 v[10:11], v1, off
.LBB127_408:
	s_mov_b32 s4, 0
.LBB127_409:
	s_delay_alu instid0(SALU_CYCLE_1)
	s_and_not1_b32 vcc_lo, exec_lo, s4
	s_cbranch_vccnz .LBB127_448
; %bb.410:
	v_cmp_gt_i16_e32 vcc_lo, 6, v13
	s_mov_b32 s4, -1
	s_cbranch_vccnz .LBB127_436
; %bb.411:
	v_cmp_lt_i16_e32 vcc_lo, 6, v13
	s_cbranch_vccz .LBB127_423
; %bb.412:
	v_and_b32_e64 v0, 0xff, s25
	s_delay_alu instid0(VALU_DEP_1)
	v_cmp_gt_i16_e32 vcc_lo, 0x80, v0
	s_cbranch_vccnz .LBB127_415
; %bb.413:
	v_cmp_eq_u16_e32 vcc_lo, 0x80, v0
	s_cbranch_vccz .LBB127_416
; %bb.414:
	s_mov_b32 s8, 0
	s_mov_b32 s5, 0x7ff80000
	s_brev_b32 s4, 4
	s_branch .LBB127_417
.LBB127_415:
	s_mov_b32 s9, -1
	s_mov_b32 s8, 0
                                        ; implicit-def: $sgpr4_sgpr5
	s_branch .LBB127_418
.LBB127_416:
	s_mov_b32 s8, -1
                                        ; implicit-def: $sgpr4_sgpr5
.LBB127_417:
	s_mov_b32 s9, 0
.LBB127_418:
	s_delay_alu instid0(SALU_CYCLE_1)
	s_and_b32 vcc_lo, exec_lo, s9
	s_cbranch_vccz .LBB127_420
; %bb.419:
	v_cmp_ne_u16_e64 s8, 0, v0
	s_mov_b64 s[4:5], 0
.LBB127_420:
	s_delay_alu instid0(SALU_CYCLE_1) | instskip(NEXT) | instid1(VALU_DEP_2)
	v_dual_mov_b32 v0, s4 :: v_dual_mov_b32 v1, s5
	s_and_not1_b32 vcc_lo, exec_lo, s8
	s_cbranch_vccnz .LBB127_422
; %bb.421:
	v_dual_mov_b32 v0, v6 :: v_dual_mov_b32 v1, v7
.LBB127_422:
	s_mov_b32 s4, 0
	global_store_b64 v[10:11], v[0:1], off
.LBB127_423:
	s_and_b32 vcc_lo, exec_lo, s4
	s_cbranch_vccz .LBB127_435
; %bb.424:
	v_and_b32_e64 v0, 0xff, s25
	s_delay_alu instid0(VALU_DEP_1)
	v_cmp_gt_i16_e32 vcc_lo, 0x80, v0
	s_cbranch_vccnz .LBB127_427
; %bb.425:
	v_cmp_eq_u16_e32 vcc_lo, 0x80, v0
	s_cbranch_vccz .LBB127_428
; %bb.426:
	s_mov_b32 s5, 0
	s_mov_b32 s4, 0x7f800001
	s_branch .LBB127_429
.LBB127_427:
	s_mov_b32 s8, -1
	s_mov_b32 s5, 0
                                        ; implicit-def: $sgpr4
	s_branch .LBB127_430
.LBB127_428:
	s_mov_b32 s5, -1
                                        ; implicit-def: $sgpr4
.LBB127_429:
	s_mov_b32 s8, 0
.LBB127_430:
	s_delay_alu instid0(SALU_CYCLE_1)
	s_and_b32 vcc_lo, exec_lo, s8
	s_cbranch_vccz .LBB127_432
; %bb.431:
	v_cmp_ne_u16_e64 s5, 0, v0
	s_mov_b32 s4, 0
.LBB127_432:
	s_delay_alu instid0(VALU_DEP_1)
	s_and_not1_b32 vcc_lo, exec_lo, s5
	s_cbranch_vccnz .LBB127_434
; %bb.433:
	s_mov_b32 s4, s26
.LBB127_434:
	s_delay_alu instid0(SALU_CYCLE_1)
	v_mov_b32_e32 v0, s4
	global_store_b32 v[10:11], v0, off
.LBB127_435:
	s_mov_b32 s4, 0
.LBB127_436:
	s_delay_alu instid0(SALU_CYCLE_1)
	s_and_not1_b32 vcc_lo, exec_lo, s4
	s_cbranch_vccnz .LBB127_448
; %bb.437:
	v_and_b32_e64 v0, 0xff, s25
	s_delay_alu instid0(VALU_DEP_1)
	v_cmp_gt_i16_e32 vcc_lo, 0x80, v0
	s_cbranch_vccnz .LBB127_440
; %bb.438:
	v_cmp_eq_u16_e32 vcc_lo, 0x80, v0
	s_cbranch_vccz .LBB127_441
; %bb.439:
	s_mov_b32 s4, 0
	s_movk_i32 s5, 0x7e00
	s_branch .LBB127_442
.LBB127_440:
	s_mov_b32 s8, -1
	s_mov_b32 s4, 0
                                        ; implicit-def: $sgpr5
	s_branch .LBB127_443
.LBB127_441:
	s_mov_b32 s4, -1
                                        ; implicit-def: $sgpr5
.LBB127_442:
	s_mov_b32 s8, 0
.LBB127_443:
	v_mov_b32_e32 v1, s5
	s_and_b32 vcc_lo, exec_lo, s8
	s_cbranch_vccz .LBB127_445
; %bb.444:
	v_cmp_ne_u16_e64 s4, 0, v0
	v_mov_b32_e32 v1, v0
.LBB127_445:
	s_delay_alu instid0(VALU_DEP_2)
	s_and_not1_b32 vcc_lo, exec_lo, s4
	s_cbranch_vccnz .LBB127_447
; %bb.446:
	v_mov_b32_e32 v1, v14
.LBB127_447:
	global_store_b16 v[10:11], v1, off
.LBB127_448:
	s_mov_b32 s4, 0
.LBB127_449:
	s_delay_alu instid0(SALU_CYCLE_1)
	s_and_not1_b32 vcc_lo, exec_lo, s4
	s_cbranch_vccnz .LBB127_500
; %bb.450:
	v_cmp_gt_i16_e32 vcc_lo, 2, v13
	s_mov_b32 s4, -1
	s_cbranch_vccnz .LBB127_481
; %bb.451:
	v_cmp_gt_i16_e32 vcc_lo, 3, v13
	s_cbranch_vccnz .LBB127_471
; %bb.452:
	v_cmp_lt_i16_e32 vcc_lo, 3, v13
	s_cbranch_vccz .LBB127_461
; %bb.453:
	v_and_b32_e64 v0, 0xff, s25
	s_delay_alu instid0(VALU_DEP_1)
	v_cmp_gt_i16_e32 vcc_lo, 0x80, v0
	s_cbranch_vccnz .LBB127_455
; %bb.454:
	v_cmp_ne_u16_e64 s8, 0x80, v0
	s_mov_b32 s9, 0
	s_mov_b64 s[4:5], 0
	s_branch .LBB127_456
.LBB127_455:
	s_mov_b32 s9, -1
	s_mov_b32 s8, 0
                                        ; implicit-def: $sgpr4_sgpr5
.LBB127_456:
	s_and_not1_b32 vcc_lo, exec_lo, s9
	s_cbranch_vccnz .LBB127_458
; %bb.457:
	v_cmp_ne_u16_e64 s8, 0, v0
	s_mov_b64 s[4:5], 0
.LBB127_458:
	s_delay_alu instid0(SALU_CYCLE_1) | instskip(NEXT) | instid1(VALU_DEP_2)
	v_dual_mov_b32 v0, s4 :: v_dual_mov_b32 v1, s5
	s_and_not1_b32 vcc_lo, exec_lo, s8
	s_cbranch_vccnz .LBB127_460
; %bb.459:
	v_dual_mov_b32 v0, v4 :: v_dual_mov_b32 v1, v5
.LBB127_460:
	s_mov_b32 s4, 0
	global_store_b64 v[10:11], v[0:1], off
.LBB127_461:
	s_and_b32 vcc_lo, exec_lo, s4
	s_cbranch_vccz .LBB127_470
; %bb.462:
	v_and_b32_e64 v0, 0xff, s25
	s_delay_alu instid0(VALU_DEP_1)
	v_cmp_gt_i16_e32 vcc_lo, 0x80, v0
	s_cbranch_vccnz .LBB127_464
; %bb.463:
	v_cmp_ne_u16_e64 s4, 0x80, v0
	s_mov_b32 s8, 0
	s_mov_b32 s5, 0
	s_branch .LBB127_465
.LBB127_464:
	s_mov_b32 s8, -1
	s_mov_b32 s4, 0
                                        ; implicit-def: $sgpr5
.LBB127_465:
	s_and_not1_b32 vcc_lo, exec_lo, s8
	s_cbranch_vccnz .LBB127_467
; %bb.466:
	v_cmp_ne_u16_e64 s4, 0, v0
	s_mov_b32 s5, 0
.LBB127_467:
	s_delay_alu instid0(SALU_CYCLE_1) | instskip(NEXT) | instid1(VALU_DEP_2)
	v_mov_b32_e32 v0, s5
	s_and_not1_b32 vcc_lo, exec_lo, s4
	s_cbranch_vccnz .LBB127_469
; %bb.468:
	v_mov_b32_e32 v0, v12
.LBB127_469:
	global_store_b32 v[10:11], v0, off
.LBB127_470:
	s_mov_b32 s4, 0
.LBB127_471:
	s_delay_alu instid0(SALU_CYCLE_1)
	s_and_not1_b32 vcc_lo, exec_lo, s4
	s_cbranch_vccnz .LBB127_480
; %bb.472:
	v_and_b32_e64 v0, 0xff, s25
	s_delay_alu instid0(VALU_DEP_1)
	v_cmp_gt_i16_e32 vcc_lo, 0x80, v0
	s_cbranch_vccnz .LBB127_474
; %bb.473:
	v_cmp_ne_u16_e64 s4, 0x80, v0
	s_mov_b32 s8, 0
	s_mov_b32 s5, 0
	s_branch .LBB127_475
.LBB127_474:
	s_mov_b32 s8, -1
	s_mov_b32 s4, 0
                                        ; implicit-def: $sgpr5
.LBB127_475:
	s_and_not1_b32 vcc_lo, exec_lo, s8
	s_cbranch_vccnz .LBB127_477
; %bb.476:
	v_cmp_ne_u16_e64 s4, 0, v0
	s_mov_b32 s5, 0
.LBB127_477:
	s_delay_alu instid0(SALU_CYCLE_1) | instskip(NEXT) | instid1(VALU_DEP_2)
	v_mov_b32_e32 v0, s5
	s_and_not1_b32 vcc_lo, exec_lo, s4
	s_cbranch_vccnz .LBB127_479
; %bb.478:
	v_mov_b32_e32 v0, v12
.LBB127_479:
	global_store_b16 v[10:11], v0, off
.LBB127_480:
	s_mov_b32 s4, 0
.LBB127_481:
	s_delay_alu instid0(SALU_CYCLE_1)
	s_and_not1_b32 vcc_lo, exec_lo, s4
	s_cbranch_vccnz .LBB127_500
; %bb.482:
	v_cmp_lt_i16_e32 vcc_lo, 0, v13
	s_mov_b32 s4, 0
	s_mov_b32 s5, -1
	s_cbranch_vccz .LBB127_491
; %bb.483:
	v_and_b32_e64 v0, 0xff, s25
	s_delay_alu instid0(VALU_DEP_1)
	v_cmp_gt_i16_e32 vcc_lo, 0x80, v0
	s_cbranch_vccnz .LBB127_485
; %bb.484:
	v_cmp_ne_u16_e64 s4, 0x80, v0
	s_mov_b32 s8, 0
	s_mov_b32 s5, 0
	s_branch .LBB127_486
.LBB127_485:
	s_mov_b32 s8, -1
                                        ; implicit-def: $sgpr5
.LBB127_486:
	s_delay_alu instid0(SALU_CYCLE_1)
	s_and_not1_b32 vcc_lo, exec_lo, s8
	s_cbranch_vccnz .LBB127_488
; %bb.487:
	v_cmp_ne_u16_e64 s4, 0, v0
	s_mov_b32 s5, 0
.LBB127_488:
	s_delay_alu instid0(SALU_CYCLE_1) | instskip(NEXT) | instid1(VALU_DEP_2)
	v_mov_b32_e32 v0, s5
	s_and_not1_b32 vcc_lo, exec_lo, s4
	s_cbranch_vccnz .LBB127_490
; %bb.489:
	v_mov_b32_e32 v0, v12
.LBB127_490:
	s_mov_b32 s5, 0
	global_store_b8 v[10:11], v0, off
.LBB127_491:
	s_and_b32 vcc_lo, exec_lo, s5
	s_cbranch_vccz .LBB127_500
; %bb.492:
	v_and_b32_e64 v0, 0xff, s25
	s_delay_alu instid0(VALU_DEP_1)
	v_cmp_gt_i16_e32 vcc_lo, 0x80, v0
	s_cbranch_vccnz .LBB127_494
; %bb.493:
	v_cmp_ne_u16_e64 s4, 0x80, v0
	s_mov_b32 s8, 0
	s_mov_b32 s5, 0
	s_branch .LBB127_495
.LBB127_494:
	s_mov_b32 s8, -1
	s_mov_b32 s4, 0
                                        ; implicit-def: $sgpr5
.LBB127_495:
	s_and_not1_b32 vcc_lo, exec_lo, s8
	s_cbranch_vccnz .LBB127_497
; %bb.496:
	v_cmp_ne_u16_e64 s4, 0, v0
	s_mov_b32 s5, 0
.LBB127_497:
	s_delay_alu instid0(SALU_CYCLE_1) | instskip(NEXT) | instid1(VALU_DEP_2)
	v_mov_b32_e32 v0, s5
	s_and_not1_b32 vcc_lo, exec_lo, s4
	s_cbranch_vccnz .LBB127_499
; %bb.498:
	v_mov_b32_e32 v0, v4
.LBB127_499:
	global_store_b8 v[10:11], v0, off
.LBB127_500:
	s_or_b32 exec_lo, exec_lo, s7
	s_delay_alu instid0(SALU_CYCLE_1)
	s_and_b32 s8, s6, exec_lo
                                        ; implicit-def: $vgpr1
                                        ; implicit-def: $vgpr16
.LBB127_501:
	s_or_saveexec_b32 s9, s24
	s_mov_b32 s5, 0
                                        ; implicit-def: $vgpr4_vgpr5
                                        ; implicit-def: $vgpr6
                                        ; implicit-def: $sgpr6
	s_xor_b32 exec_lo, exec_lo, s9
	s_cbranch_execz .LBB127_1940
; %bb.502:
	v_cndmask_b32_e64 v2, 0, 1, s23
	s_and_not1_b32 vcc_lo, exec_lo, s23
	s_cbranch_vccnz .LBB127_508
; %bb.503:
	v_mov_b32_e32 v0, 0
	s_cmp_eq_u32 s20, 0
	s_mov_b32 s10, 0
	s_cbranch_scc1 .LBB127_512
; %bb.504:
	s_min_u32 s11, s21, 15
	v_mov_b32_e32 v0, 0
	s_add_i32 s11, s11, 1
	s_cmp_eq_u32 s21, 2
	s_mov_b32 s12, 0
	s_cbranch_scc1 .LBB127_509
; %bb.505:
	v_dual_mov_b32 v0, 0 :: v_dual_mov_b32 v3, v16
	s_add_u32 s4, s2, 0xc4
	s_addc_u32 s5, s3, 0
	s_and_b32 s12, s11, 28
	s_mov_b32 s13, 0
	s_mov_b64 s[6:7], s[2:3]
.LBB127_506:                            ; =>This Inner Loop Header: Depth=1
	s_clause 0x1
	s_load_b256 s[24:31], s[6:7], 0x4
	s_load_b128 s[16:19], s[6:7], 0x24
	s_load_b128 s[36:39], s[4:5], 0x0
	s_add_u32 s6, s6, 48
	s_addc_u32 s7, s7, 0
	s_add_i32 s13, s13, 4
	s_add_u32 s4, s4, 16
	s_addc_u32 s5, s5, 0
	s_cmp_lg_u32 s12, s13
	s_waitcnt lgkmcnt(0)
	v_mul_hi_u32 v4, s25, v3
	s_delay_alu instid0(VALU_DEP_1) | instskip(NEXT) | instid1(VALU_DEP_1)
	v_add_nc_u32_e32 v4, v3, v4
	v_lshrrev_b32_e32 v4, s26, v4
	s_delay_alu instid0(VALU_DEP_1) | instskip(SKIP_1) | instid1(VALU_DEP_2)
	v_mul_hi_u32 v5, s28, v4
	v_mul_lo_u32 v8, v4, s24
	v_add_nc_u32_e32 v5, v4, v5
	s_delay_alu instid0(VALU_DEP_2) | instskip(NEXT) | instid1(VALU_DEP_2)
	v_sub_nc_u32_e32 v8, v3, v8
	v_lshrrev_b32_e32 v5, s29, v5
	s_delay_alu instid0(VALU_DEP_2) | instskip(NEXT) | instid1(VALU_DEP_2)
	v_mul_lo_u32 v8, v8, s36
	v_mul_hi_u32 v6, s31, v5
	v_mul_lo_u32 v9, v5, s27
	s_delay_alu instid0(VALU_DEP_2) | instskip(NEXT) | instid1(VALU_DEP_2)
	v_add_nc_u32_e32 v6, v5, v6
	v_sub_nc_u32_e32 v4, v4, v9
	s_delay_alu instid0(VALU_DEP_2) | instskip(NEXT) | instid1(VALU_DEP_2)
	v_lshrrev_b32_e32 v6, s16, v6
	v_mul_lo_u32 v4, v4, s37
	s_delay_alu instid0(VALU_DEP_2) | instskip(NEXT) | instid1(VALU_DEP_2)
	v_mul_hi_u32 v7, s18, v6
	v_add3_u32 v0, v8, v0, v4
	s_delay_alu instid0(VALU_DEP_2) | instskip(NEXT) | instid1(VALU_DEP_1)
	v_add_nc_u32_e32 v7, v6, v7
	v_lshrrev_b32_e32 v3, s19, v7
	v_mul_lo_u32 v7, v6, s30
	s_delay_alu instid0(VALU_DEP_2) | instskip(NEXT) | instid1(VALU_DEP_2)
	v_mul_lo_u32 v10, v3, s17
	v_sub_nc_u32_e32 v5, v5, v7
	s_delay_alu instid0(VALU_DEP_2) | instskip(NEXT) | instid1(VALU_DEP_2)
	v_sub_nc_u32_e32 v6, v6, v10
	v_mul_lo_u32 v5, v5, s38
	s_delay_alu instid0(VALU_DEP_2) | instskip(NEXT) | instid1(VALU_DEP_1)
	v_mul_lo_u32 v6, v6, s39
	v_add3_u32 v0, v5, v0, v6
	s_cbranch_scc1 .LBB127_506
; %bb.507:
	s_and_b32 s11, s11, 3
	s_delay_alu instid0(SALU_CYCLE_1)
	s_cmp_eq_u32 s11, 0
	s_cbranch_scc0 .LBB127_510
	s_branch .LBB127_512
.LBB127_508:
	s_mov_b32 s10, -1
                                        ; implicit-def: $vgpr0
	s_branch .LBB127_512
.LBB127_509:
	v_mov_b32_e32 v3, v16
	s_and_b32 s11, s11, 3
	s_delay_alu instid0(SALU_CYCLE_1)
	s_cmp_eq_u32 s11, 0
	s_cbranch_scc1 .LBB127_512
.LBB127_510:
	s_lshl_b32 s4, s12, 2
	s_mul_i32 s6, s12, 12
	s_add_u32 s4, s4, s2
	s_addc_u32 s5, 0, s3
	s_add_u32 s4, s4, 0xc4
	s_addc_u32 s5, s5, 0
	;; [unrolled: 2-line block ×3, first 2 shown]
	.p2align	6
.LBB127_511:                            ; =>This Inner Loop Header: Depth=1
	s_clause 0x1
	s_load_b64 s[12:13], s[6:7], 0x4
	s_load_b32 s14, s[6:7], 0xc
	s_add_u32 s6, s6, 12
	s_addc_u32 s7, s7, 0
	s_waitcnt lgkmcnt(0)
	v_mul_hi_u32 v4, s13, v3
	s_load_b32 s13, s[4:5], 0x0
	s_add_u32 s4, s4, 4
	s_addc_u32 s5, s5, 0
	s_add_i32 s11, s11, -1
	s_delay_alu instid0(SALU_CYCLE_1) | instskip(NEXT) | instid1(VALU_DEP_1)
	s_cmp_lg_u32 s11, 0
	v_add_nc_u32_e32 v4, v3, v4
	s_delay_alu instid0(VALU_DEP_1) | instskip(NEXT) | instid1(VALU_DEP_1)
	v_lshrrev_b32_e32 v6, s14, v4
	v_mul_lo_u32 v4, v6, s12
	s_delay_alu instid0(VALU_DEP_1) | instskip(SKIP_1) | instid1(VALU_DEP_1)
	v_sub_nc_u32_e32 v3, v3, v4
	s_waitcnt lgkmcnt(0)
	v_mad_u64_u32 v[4:5], null, v3, s13, v[0:1]
	s_delay_alu instid0(VALU_DEP_1)
	v_dual_mov_b32 v3, v6 :: v_dual_mov_b32 v0, v4
	s_cbranch_scc1 .LBB127_511
.LBB127_512:
	s_and_not1_b32 vcc_lo, exec_lo, s10
	s_cbranch_vccnz .LBB127_515
; %bb.513:
	s_load_b128 s[4:7], s[2:3], 0x4
	s_waitcnt lgkmcnt(0)
	s_load_b32 s7, s[2:3], 0xc4
	s_cmp_lt_u32 s20, 2
	v_mul_hi_u32 v0, s5, v16
	s_delay_alu instid0(VALU_DEP_1) | instskip(NEXT) | instid1(VALU_DEP_1)
	v_add_nc_u32_e32 v0, v16, v0
	v_lshrrev_b32_e32 v3, s6, v0
	s_delay_alu instid0(VALU_DEP_1) | instskip(NEXT) | instid1(VALU_DEP_1)
	v_mul_lo_u32 v0, v3, s4
	v_sub_nc_u32_e32 v0, v16, v0
	s_waitcnt lgkmcnt(0)
	s_delay_alu instid0(VALU_DEP_1)
	v_mul_lo_u32 v0, v0, s7
	s_cbranch_scc1 .LBB127_515
; %bb.514:
	s_load_b128 s[4:7], s[2:3], 0x10
	s_waitcnt lgkmcnt(0)
	s_load_b32 s7, s[2:3], 0xc8
	v_mul_hi_u32 v4, s5, v3
	s_delay_alu instid0(VALU_DEP_1) | instskip(NEXT) | instid1(VALU_DEP_1)
	v_add_nc_u32_e32 v4, v3, v4
	v_lshrrev_b32_e32 v4, s6, v4
	s_delay_alu instid0(VALU_DEP_1) | instskip(NEXT) | instid1(VALU_DEP_1)
	v_mul_lo_u32 v4, v4, s4
	v_sub_nc_u32_e32 v5, v3, v4
	s_waitcnt lgkmcnt(0)
	s_delay_alu instid0(VALU_DEP_1) | instskip(NEXT) | instid1(VALU_DEP_1)
	v_mad_u64_u32 v[3:4], null, v5, s7, v[0:1]
	v_mov_b32_e32 v0, v3
.LBB127_515:
	v_cmp_ne_u32_e32 vcc_lo, 1, v2
	v_add_nc_u32_e32 v3, 0x80, v16
	s_cbranch_vccnz .LBB127_521
; %bb.516:
	v_mov_b32_e32 v6, 0
	s_cmp_eq_u32 s20, 0
	s_mov_b32 s10, 0
	s_cbranch_scc1 .LBB127_525
; %bb.517:
	s_min_u32 s11, s21, 15
	v_mov_b32_e32 v6, 0
	s_add_i32 s11, s11, 1
	s_cmp_eq_u32 s21, 2
	s_mov_b32 s12, 0
	s_cbranch_scc1 .LBB127_522
; %bb.518:
	v_mov_b32_e32 v6, 0
	v_mov_b32_e32 v4, v3
	s_add_u32 s4, s2, 0xc4
	s_addc_u32 s5, s3, 0
	s_and_b32 s12, s11, 28
	s_mov_b32 s13, 0
	s_mov_b64 s[6:7], s[2:3]
.LBB127_519:                            ; =>This Inner Loop Header: Depth=1
	s_clause 0x1
	s_load_b256 s[24:31], s[6:7], 0x4
	s_load_b128 s[16:19], s[6:7], 0x24
	s_load_b128 s[36:39], s[4:5], 0x0
	s_add_u32 s6, s6, 48
	s_addc_u32 s7, s7, 0
	s_add_i32 s13, s13, 4
	s_add_u32 s4, s4, 16
	s_addc_u32 s5, s5, 0
	s_cmp_lg_u32 s12, s13
	s_waitcnt lgkmcnt(0)
	v_mul_hi_u32 v5, s25, v4
	s_delay_alu instid0(VALU_DEP_1) | instskip(NEXT) | instid1(VALU_DEP_1)
	v_add_nc_u32_e32 v5, v4, v5
	v_lshrrev_b32_e32 v5, s26, v5
	s_delay_alu instid0(VALU_DEP_1) | instskip(SKIP_1) | instid1(VALU_DEP_2)
	v_mul_hi_u32 v7, s28, v5
	v_mul_lo_u32 v10, v5, s24
	v_add_nc_u32_e32 v7, v5, v7
	s_delay_alu instid0(VALU_DEP_2) | instskip(NEXT) | instid1(VALU_DEP_2)
	v_sub_nc_u32_e32 v10, v4, v10
	v_lshrrev_b32_e32 v7, s29, v7
	s_delay_alu instid0(VALU_DEP_2) | instskip(NEXT) | instid1(VALU_DEP_2)
	v_mul_lo_u32 v10, v10, s36
	v_mul_hi_u32 v8, s31, v7
	v_mul_lo_u32 v11, v7, s27
	s_delay_alu instid0(VALU_DEP_2) | instskip(NEXT) | instid1(VALU_DEP_2)
	v_add_nc_u32_e32 v8, v7, v8
	v_sub_nc_u32_e32 v5, v5, v11
	s_delay_alu instid0(VALU_DEP_2) | instskip(NEXT) | instid1(VALU_DEP_2)
	v_lshrrev_b32_e32 v8, s16, v8
	v_mul_lo_u32 v5, v5, s37
	s_delay_alu instid0(VALU_DEP_2) | instskip(NEXT) | instid1(VALU_DEP_2)
	v_mul_hi_u32 v9, s18, v8
	v_add3_u32 v5, v10, v6, v5
	s_delay_alu instid0(VALU_DEP_2) | instskip(NEXT) | instid1(VALU_DEP_1)
	v_add_nc_u32_e32 v9, v8, v9
	v_lshrrev_b32_e32 v4, s19, v9
	v_mul_lo_u32 v9, v8, s30
	s_delay_alu instid0(VALU_DEP_2) | instskip(NEXT) | instid1(VALU_DEP_2)
	v_mul_lo_u32 v12, v4, s17
	v_sub_nc_u32_e32 v7, v7, v9
	s_delay_alu instid0(VALU_DEP_2) | instskip(NEXT) | instid1(VALU_DEP_2)
	v_sub_nc_u32_e32 v8, v8, v12
	v_mul_lo_u32 v7, v7, s38
	s_delay_alu instid0(VALU_DEP_2) | instskip(NEXT) | instid1(VALU_DEP_1)
	v_mul_lo_u32 v8, v8, s39
	v_add3_u32 v6, v7, v5, v8
	s_cbranch_scc1 .LBB127_519
; %bb.520:
	s_and_b32 s11, s11, 3
	s_delay_alu instid0(SALU_CYCLE_1)
	s_cmp_eq_u32 s11, 0
	s_cbranch_scc0 .LBB127_523
	s_branch .LBB127_525
.LBB127_521:
	s_mov_b32 s10, -1
                                        ; implicit-def: $vgpr6
	s_branch .LBB127_525
.LBB127_522:
	v_mov_b32_e32 v4, v3
	s_and_b32 s11, s11, 3
	s_delay_alu instid0(SALU_CYCLE_1)
	s_cmp_eq_u32 s11, 0
	s_cbranch_scc1 .LBB127_525
.LBB127_523:
	s_lshl_b32 s4, s12, 2
	s_mul_i32 s6, s12, 12
	s_add_u32 s4, s4, s2
	s_addc_u32 s5, 0, s3
	s_add_u32 s4, s4, 0xc4
	s_addc_u32 s5, s5, 0
	;; [unrolled: 2-line block ×3, first 2 shown]
	.p2align	6
.LBB127_524:                            ; =>This Inner Loop Header: Depth=1
	s_clause 0x1
	s_load_b64 s[12:13], s[6:7], 0x4
	s_load_b32 s14, s[6:7], 0xc
	s_add_u32 s6, s6, 12
	s_addc_u32 s7, s7, 0
	s_waitcnt lgkmcnt(0)
	v_mul_hi_u32 v5, s13, v4
	s_load_b32 s13, s[4:5], 0x0
	s_add_u32 s4, s4, 4
	s_addc_u32 s5, s5, 0
	s_add_i32 s11, s11, -1
	s_delay_alu instid0(SALU_CYCLE_1) | instskip(NEXT) | instid1(VALU_DEP_1)
	s_cmp_lg_u32 s11, 0
	v_add_nc_u32_e32 v5, v4, v5
	s_delay_alu instid0(VALU_DEP_1) | instskip(NEXT) | instid1(VALU_DEP_1)
	v_lshrrev_b32_e32 v5, s14, v5
	v_mul_lo_u32 v7, v5, s12
	s_delay_alu instid0(VALU_DEP_1) | instskip(SKIP_1) | instid1(VALU_DEP_1)
	v_sub_nc_u32_e32 v4, v4, v7
	s_waitcnt lgkmcnt(0)
	v_mad_u64_u32 v[7:8], null, v4, s13, v[6:7]
	v_mov_b32_e32 v4, v5
	s_delay_alu instid0(VALU_DEP_2)
	v_mov_b32_e32 v6, v7
	s_cbranch_scc1 .LBB127_524
.LBB127_525:
	s_and_not1_b32 vcc_lo, exec_lo, s10
	s_cbranch_vccnz .LBB127_528
; %bb.526:
	s_load_b128 s[4:7], s[2:3], 0x4
	s_waitcnt lgkmcnt(0)
	s_load_b32 s7, s[2:3], 0xc4
	s_cmp_lt_u32 s20, 2
	v_mul_hi_u32 v4, s5, v3
	s_delay_alu instid0(VALU_DEP_1) | instskip(NEXT) | instid1(VALU_DEP_1)
	v_add_nc_u32_e32 v4, v3, v4
	v_lshrrev_b32_e32 v4, s6, v4
	s_delay_alu instid0(VALU_DEP_1) | instskip(NEXT) | instid1(VALU_DEP_1)
	v_mul_lo_u32 v5, v4, s4
	v_sub_nc_u32_e32 v3, v3, v5
	s_waitcnt lgkmcnt(0)
	s_delay_alu instid0(VALU_DEP_1)
	v_mul_lo_u32 v6, v3, s7
	s_cbranch_scc1 .LBB127_528
; %bb.527:
	s_load_b128 s[4:7], s[2:3], 0x10
	s_waitcnt lgkmcnt(0)
	s_load_b32 s7, s[2:3], 0xc8
	v_mul_hi_u32 v3, s5, v4
	s_delay_alu instid0(VALU_DEP_1) | instskip(NEXT) | instid1(VALU_DEP_1)
	v_add_nc_u32_e32 v3, v4, v3
	v_lshrrev_b32_e32 v3, s6, v3
	s_delay_alu instid0(VALU_DEP_1) | instskip(NEXT) | instid1(VALU_DEP_1)
	v_mul_lo_u32 v3, v3, s4
	v_sub_nc_u32_e32 v5, v4, v3
	s_waitcnt lgkmcnt(0)
	s_delay_alu instid0(VALU_DEP_1) | instskip(NEXT) | instid1(VALU_DEP_1)
	v_mad_u64_u32 v[3:4], null, v5, s7, v[6:7]
	v_mov_b32_e32 v6, v3
.LBB127_528:
	v_cmp_ne_u32_e32 vcc_lo, 1, v2
	v_add_nc_u32_e32 v3, 0x100, v16
	s_cbranch_vccnz .LBB127_534
; %bb.529:
	v_mov_b32_e32 v5, 0
	s_cmp_eq_u32 s20, 0
	s_mov_b32 s10, 0
	s_cbranch_scc1 .LBB127_538
; %bb.530:
	s_min_u32 s11, s21, 15
	v_mov_b32_e32 v5, 0
	s_add_i32 s11, s11, 1
	s_cmp_eq_u32 s21, 2
	s_mov_b32 s12, 0
	s_cbranch_scc1 .LBB127_535
; %bb.531:
	v_dual_mov_b32 v5, 0 :: v_dual_mov_b32 v4, v3
	s_add_u32 s4, s2, 0xc4
	s_addc_u32 s5, s3, 0
	s_and_b32 s12, s11, 28
	s_mov_b32 s13, 0
	s_mov_b64 s[6:7], s[2:3]
.LBB127_532:                            ; =>This Inner Loop Header: Depth=1
	s_clause 0x1
	s_load_b256 s[24:31], s[6:7], 0x4
	s_load_b128 s[16:19], s[6:7], 0x24
	s_load_b128 s[36:39], s[4:5], 0x0
	s_add_u32 s6, s6, 48
	s_addc_u32 s7, s7, 0
	s_add_i32 s13, s13, 4
	s_add_u32 s4, s4, 16
	s_addc_u32 s5, s5, 0
	s_cmp_lg_u32 s12, s13
	s_waitcnt lgkmcnt(0)
	v_mul_hi_u32 v7, s25, v4
	s_delay_alu instid0(VALU_DEP_1) | instskip(NEXT) | instid1(VALU_DEP_1)
	v_add_nc_u32_e32 v7, v4, v7
	v_lshrrev_b32_e32 v7, s26, v7
	s_delay_alu instid0(VALU_DEP_1) | instskip(SKIP_1) | instid1(VALU_DEP_2)
	v_mul_hi_u32 v8, s28, v7
	v_mul_lo_u32 v11, v7, s24
	v_add_nc_u32_e32 v8, v7, v8
	s_delay_alu instid0(VALU_DEP_2) | instskip(NEXT) | instid1(VALU_DEP_2)
	v_sub_nc_u32_e32 v11, v4, v11
	v_lshrrev_b32_e32 v8, s29, v8
	s_delay_alu instid0(VALU_DEP_2) | instskip(NEXT) | instid1(VALU_DEP_2)
	v_mul_lo_u32 v11, v11, s36
	v_mul_hi_u32 v9, s31, v8
	v_mul_lo_u32 v12, v8, s27
	s_delay_alu instid0(VALU_DEP_2) | instskip(NEXT) | instid1(VALU_DEP_2)
	v_add_nc_u32_e32 v9, v8, v9
	v_sub_nc_u32_e32 v7, v7, v12
	s_delay_alu instid0(VALU_DEP_2) | instskip(NEXT) | instid1(VALU_DEP_2)
	v_lshrrev_b32_e32 v9, s16, v9
	v_mul_lo_u32 v7, v7, s37
	s_delay_alu instid0(VALU_DEP_2) | instskip(NEXT) | instid1(VALU_DEP_2)
	v_mul_hi_u32 v10, s18, v9
	v_add3_u32 v5, v11, v5, v7
	s_delay_alu instid0(VALU_DEP_2) | instskip(NEXT) | instid1(VALU_DEP_1)
	v_add_nc_u32_e32 v10, v9, v10
	v_lshrrev_b32_e32 v4, s19, v10
	v_mul_lo_u32 v10, v9, s30
	s_delay_alu instid0(VALU_DEP_2) | instskip(NEXT) | instid1(VALU_DEP_2)
	v_mul_lo_u32 v13, v4, s17
	v_sub_nc_u32_e32 v8, v8, v10
	s_delay_alu instid0(VALU_DEP_2) | instskip(NEXT) | instid1(VALU_DEP_2)
	v_sub_nc_u32_e32 v9, v9, v13
	v_mul_lo_u32 v8, v8, s38
	s_delay_alu instid0(VALU_DEP_2) | instskip(NEXT) | instid1(VALU_DEP_1)
	v_mul_lo_u32 v9, v9, s39
	v_add3_u32 v5, v8, v5, v9
	s_cbranch_scc1 .LBB127_532
; %bb.533:
	s_and_b32 s11, s11, 3
	s_delay_alu instid0(SALU_CYCLE_1)
	s_cmp_eq_u32 s11, 0
	s_cbranch_scc0 .LBB127_536
	s_branch .LBB127_538
.LBB127_534:
	s_mov_b32 s10, -1
                                        ; implicit-def: $vgpr5
	s_branch .LBB127_538
.LBB127_535:
	v_mov_b32_e32 v4, v3
	s_and_b32 s11, s11, 3
	s_delay_alu instid0(SALU_CYCLE_1)
	s_cmp_eq_u32 s11, 0
	s_cbranch_scc1 .LBB127_538
.LBB127_536:
	s_lshl_b32 s4, s12, 2
	s_mul_i32 s6, s12, 12
	s_add_u32 s4, s4, s2
	s_addc_u32 s5, 0, s3
	s_add_u32 s4, s4, 0xc4
	s_addc_u32 s5, s5, 0
	;; [unrolled: 2-line block ×3, first 2 shown]
	.p2align	6
.LBB127_537:                            ; =>This Inner Loop Header: Depth=1
	s_clause 0x1
	s_load_b64 s[12:13], s[6:7], 0x4
	s_load_b32 s14, s[6:7], 0xc
	s_add_u32 s6, s6, 12
	s_addc_u32 s7, s7, 0
	s_waitcnt lgkmcnt(0)
	v_mul_hi_u32 v7, s13, v4
	s_load_b32 s13, s[4:5], 0x0
	s_add_u32 s4, s4, 4
	s_addc_u32 s5, s5, 0
	s_add_i32 s11, s11, -1
	s_delay_alu instid0(SALU_CYCLE_1) | instskip(NEXT) | instid1(VALU_DEP_1)
	s_cmp_lg_u32 s11, 0
	v_add_nc_u32_e32 v7, v4, v7
	s_delay_alu instid0(VALU_DEP_1) | instskip(NEXT) | instid1(VALU_DEP_1)
	v_lshrrev_b32_e32 v9, s14, v7
	v_mul_lo_u32 v7, v9, s12
	s_delay_alu instid0(VALU_DEP_1) | instskip(SKIP_1) | instid1(VALU_DEP_1)
	v_sub_nc_u32_e32 v4, v4, v7
	s_waitcnt lgkmcnt(0)
	v_mad_u64_u32 v[7:8], null, v4, s13, v[5:6]
	s_delay_alu instid0(VALU_DEP_1)
	v_dual_mov_b32 v4, v9 :: v_dual_mov_b32 v5, v7
	s_cbranch_scc1 .LBB127_537
.LBB127_538:
	s_and_not1_b32 vcc_lo, exec_lo, s10
	s_cbranch_vccnz .LBB127_541
; %bb.539:
	s_load_b128 s[4:7], s[2:3], 0x4
	s_waitcnt lgkmcnt(0)
	s_load_b32 s7, s[2:3], 0xc4
	s_cmp_lt_u32 s20, 2
	v_mul_hi_u32 v4, s5, v3
	s_delay_alu instid0(VALU_DEP_1) | instskip(NEXT) | instid1(VALU_DEP_1)
	v_add_nc_u32_e32 v4, v3, v4
	v_lshrrev_b32_e32 v4, s6, v4
	s_delay_alu instid0(VALU_DEP_1) | instskip(NEXT) | instid1(VALU_DEP_1)
	v_mul_lo_u32 v5, v4, s4
	v_sub_nc_u32_e32 v3, v3, v5
	s_waitcnt lgkmcnt(0)
	s_delay_alu instid0(VALU_DEP_1)
	v_mul_lo_u32 v5, v3, s7
	s_cbranch_scc1 .LBB127_541
; %bb.540:
	s_load_b128 s[4:7], s[2:3], 0x10
	s_waitcnt lgkmcnt(0)
	s_load_b32 s7, s[2:3], 0xc8
	v_mul_hi_u32 v3, s5, v4
	s_delay_alu instid0(VALU_DEP_1) | instskip(NEXT) | instid1(VALU_DEP_1)
	v_add_nc_u32_e32 v3, v4, v3
	v_lshrrev_b32_e32 v3, s6, v3
	s_delay_alu instid0(VALU_DEP_1) | instskip(NEXT) | instid1(VALU_DEP_1)
	v_mul_lo_u32 v3, v3, s4
	v_sub_nc_u32_e32 v7, v4, v3
	s_waitcnt lgkmcnt(0)
	s_delay_alu instid0(VALU_DEP_1) | instskip(NEXT) | instid1(VALU_DEP_1)
	v_mad_u64_u32 v[3:4], null, v7, s7, v[5:6]
	v_mov_b32_e32 v5, v3
.LBB127_541:
	v_cmp_ne_u32_e32 vcc_lo, 1, v2
	s_cbranch_vccnz .LBB127_547
; %bb.542:
	v_mov_b32_e32 v4, 0
	s_cmp_eq_u32 s20, 0
	s_mov_b32 s10, 0
	s_cbranch_scc1 .LBB127_551
; %bb.543:
	s_min_u32 s11, s21, 15
	v_mov_b32_e32 v4, 0
	s_add_i32 s11, s11, 1
	s_cmp_eq_u32 s21, 2
	s_mov_b32 s12, 0
	s_cbranch_scc1 .LBB127_548
; %bb.544:
	v_mov_b32_e32 v4, 0
	v_mov_b32_e32 v2, v1
	s_add_u32 s4, s2, 0xc4
	s_addc_u32 s5, s3, 0
	s_and_b32 s12, s11, 28
	s_mov_b32 s13, 0
	s_mov_b64 s[6:7], s[2:3]
.LBB127_545:                            ; =>This Inner Loop Header: Depth=1
	s_clause 0x1
	s_load_b256 s[24:31], s[6:7], 0x4
	s_load_b128 s[16:19], s[6:7], 0x24
	s_load_b128 s[36:39], s[4:5], 0x0
	s_add_u32 s6, s6, 48
	s_addc_u32 s7, s7, 0
	s_add_i32 s13, s13, 4
	s_add_u32 s4, s4, 16
	s_addc_u32 s5, s5, 0
	s_cmp_lg_u32 s12, s13
	s_waitcnt lgkmcnt(0)
	v_mul_hi_u32 v3, s25, v2
	s_delay_alu instid0(VALU_DEP_1) | instskip(NEXT) | instid1(VALU_DEP_1)
	v_add_nc_u32_e32 v3, v2, v3
	v_lshrrev_b32_e32 v3, s26, v3
	s_delay_alu instid0(VALU_DEP_1) | instskip(SKIP_1) | instid1(VALU_DEP_2)
	v_mul_hi_u32 v7, s28, v3
	v_mul_lo_u32 v10, v3, s24
	v_add_nc_u32_e32 v7, v3, v7
	s_delay_alu instid0(VALU_DEP_2) | instskip(NEXT) | instid1(VALU_DEP_2)
	v_sub_nc_u32_e32 v10, v2, v10
	v_lshrrev_b32_e32 v7, s29, v7
	s_delay_alu instid0(VALU_DEP_2) | instskip(NEXT) | instid1(VALU_DEP_2)
	v_mul_lo_u32 v10, v10, s36
	v_mul_hi_u32 v8, s31, v7
	v_mul_lo_u32 v11, v7, s27
	s_delay_alu instid0(VALU_DEP_2) | instskip(NEXT) | instid1(VALU_DEP_2)
	v_add_nc_u32_e32 v8, v7, v8
	v_sub_nc_u32_e32 v3, v3, v11
	s_delay_alu instid0(VALU_DEP_2) | instskip(NEXT) | instid1(VALU_DEP_2)
	v_lshrrev_b32_e32 v8, s16, v8
	v_mul_lo_u32 v3, v3, s37
	s_delay_alu instid0(VALU_DEP_2) | instskip(NEXT) | instid1(VALU_DEP_2)
	v_mul_hi_u32 v9, s18, v8
	v_add3_u32 v3, v10, v4, v3
	s_delay_alu instid0(VALU_DEP_2) | instskip(NEXT) | instid1(VALU_DEP_1)
	v_add_nc_u32_e32 v9, v8, v9
	v_lshrrev_b32_e32 v2, s19, v9
	v_mul_lo_u32 v9, v8, s30
	s_delay_alu instid0(VALU_DEP_2) | instskip(NEXT) | instid1(VALU_DEP_2)
	v_mul_lo_u32 v12, v2, s17
	v_sub_nc_u32_e32 v7, v7, v9
	s_delay_alu instid0(VALU_DEP_2) | instskip(NEXT) | instid1(VALU_DEP_2)
	v_sub_nc_u32_e32 v8, v8, v12
	v_mul_lo_u32 v7, v7, s38
	s_delay_alu instid0(VALU_DEP_2) | instskip(NEXT) | instid1(VALU_DEP_1)
	v_mul_lo_u32 v8, v8, s39
	v_add3_u32 v4, v7, v3, v8
	s_cbranch_scc1 .LBB127_545
; %bb.546:
	s_and_b32 s11, s11, 3
	s_delay_alu instid0(SALU_CYCLE_1)
	s_cmp_eq_u32 s11, 0
	s_cbranch_scc0 .LBB127_549
	s_branch .LBB127_551
.LBB127_547:
	s_mov_b32 s10, -1
                                        ; implicit-def: $vgpr4
	s_branch .LBB127_551
.LBB127_548:
	v_mov_b32_e32 v2, v1
	s_and_b32 s11, s11, 3
	s_delay_alu instid0(SALU_CYCLE_1)
	s_cmp_eq_u32 s11, 0
	s_cbranch_scc1 .LBB127_551
.LBB127_549:
	s_lshl_b32 s4, s12, 2
	s_mul_i32 s6, s12, 12
	s_add_u32 s4, s4, s2
	s_addc_u32 s5, 0, s3
	s_add_u32 s4, s4, 0xc4
	s_addc_u32 s5, s5, 0
	;; [unrolled: 2-line block ×3, first 2 shown]
	.p2align	6
.LBB127_550:                            ; =>This Inner Loop Header: Depth=1
	s_clause 0x1
	s_load_b64 s[12:13], s[6:7], 0x4
	s_load_b32 s14, s[6:7], 0xc
	s_add_u32 s6, s6, 12
	s_addc_u32 s7, s7, 0
	s_waitcnt lgkmcnt(0)
	v_mul_hi_u32 v3, s13, v2
	s_load_b32 s13, s[4:5], 0x0
	s_add_u32 s4, s4, 4
	s_addc_u32 s5, s5, 0
	s_add_i32 s11, s11, -1
	s_delay_alu instid0(SALU_CYCLE_1) | instskip(NEXT) | instid1(VALU_DEP_1)
	s_cmp_lg_u32 s11, 0
	v_add_nc_u32_e32 v3, v2, v3
	s_delay_alu instid0(VALU_DEP_1) | instskip(NEXT) | instid1(VALU_DEP_1)
	v_lshrrev_b32_e32 v3, s14, v3
	v_mul_lo_u32 v7, v3, s12
	s_delay_alu instid0(VALU_DEP_1) | instskip(SKIP_1) | instid1(VALU_DEP_1)
	v_sub_nc_u32_e32 v2, v2, v7
	s_waitcnt lgkmcnt(0)
	v_mad_u64_u32 v[7:8], null, v2, s13, v[4:5]
	v_mov_b32_e32 v2, v3
	s_delay_alu instid0(VALU_DEP_2)
	v_mov_b32_e32 v4, v7
	s_cbranch_scc1 .LBB127_550
.LBB127_551:
	s_and_not1_b32 vcc_lo, exec_lo, s10
	s_cbranch_vccnz .LBB127_554
; %bb.552:
	s_load_b128 s[4:7], s[2:3], 0x4
	s_waitcnt lgkmcnt(0)
	s_load_b32 s7, s[2:3], 0xc4
	s_cmp_lt_u32 s20, 2
	v_mul_hi_u32 v2, s5, v1
	s_delay_alu instid0(VALU_DEP_1) | instskip(NEXT) | instid1(VALU_DEP_1)
	v_add_nc_u32_e32 v2, v1, v2
	v_lshrrev_b32_e32 v2, s6, v2
	s_delay_alu instid0(VALU_DEP_1) | instskip(NEXT) | instid1(VALU_DEP_1)
	v_mul_lo_u32 v3, v2, s4
	v_sub_nc_u32_e32 v1, v1, v3
	s_waitcnt lgkmcnt(0)
	s_delay_alu instid0(VALU_DEP_1)
	v_mul_lo_u32 v4, v1, s7
	s_cbranch_scc1 .LBB127_554
; %bb.553:
	s_load_b128 s[4:7], s[2:3], 0x10
	s_waitcnt lgkmcnt(0)
	s_load_b32 s7, s[2:3], 0xc8
	v_mul_hi_u32 v1, s5, v2
	s_delay_alu instid0(VALU_DEP_1) | instskip(NEXT) | instid1(VALU_DEP_1)
	v_add_nc_u32_e32 v1, v2, v1
	v_lshrrev_b32_e32 v1, s6, v1
	s_delay_alu instid0(VALU_DEP_1) | instskip(NEXT) | instid1(VALU_DEP_1)
	v_mul_lo_u32 v1, v1, s4
	v_sub_nc_u32_e32 v3, v2, v1
	s_waitcnt lgkmcnt(0)
	s_delay_alu instid0(VALU_DEP_1) | instskip(NEXT) | instid1(VALU_DEP_1)
	v_mad_u64_u32 v[1:2], null, v3, s7, v[4:5]
	v_mov_b32_e32 v4, v1
.LBB127_554:
	s_clause 0x1
	s_load_b32 s6, s[2:3], 0x110
	s_load_b64 s[2:3], s[2:3], 0x108
	s_mov_b32 s5, 0
	s_mov_b32 s7, s8
	s_waitcnt lgkmcnt(0)
	v_lshrrev_b16 v9, 8, s6
	v_add_co_u32 v7, s4, s2, v0
	s_delay_alu instid0(VALU_DEP_1) | instskip(NEXT) | instid1(VALU_DEP_3)
	v_add_co_ci_u32_e64 v8, null, s3, 0, s4
	v_cmp_gt_i16_e32 vcc_lo, 11, v9
	s_mov_b32 s4, -1
	s_cbranch_vccnz .LBB127_722
; %bb.555:
	v_cmp_lt_i16_e32 vcc_lo, 25, v9
	s_mov_b32 s7, -1
	s_mov_b32 s10, 0
	s_mov_b32 s4, 0
	s_cbranch_vccz .LBB127_642
; %bb.556:
	v_cmp_lt_i16_e32 vcc_lo, 28, v9
	s_cbranch_vccz .LBB127_599
; %bb.557:
	v_cmp_lt_i16_e32 vcc_lo, 43, v9
	;; [unrolled: 3-line block ×3, first 2 shown]
	s_cbranch_vccz .LBB127_572
; %bb.559:
	v_cmp_eq_u16_e32 vcc_lo, 46, v9
	s_mov_b32 s4, -1
	s_mov_b32 s7, 0
	s_cbranch_vccz .LBB127_572
; %bb.560:
	v_and_b32_e64 v0, 0xff, s6
	s_delay_alu instid0(VALU_DEP_1)
	v_cmp_gt_i16_e32 vcc_lo, 0x80, v0
	s_cbranch_vccnz .LBB127_563
; %bb.561:
	v_cmp_eq_u16_e32 vcc_lo, 0x80, v0
	s_cbranch_vccz .LBB127_565
; %bb.562:
	s_mov_b32 s4, 0x7f800001
	s_branch .LBB127_566
.LBB127_563:
	s_mov_b32 s11, -1
                                        ; implicit-def: $sgpr4
	s_branch .LBB127_567
.LBB127_564:
	s_mov_b32 s36, -1
	s_mov_b32 s19, 0
                                        ; implicit-def: $sgpr16_sgpr17
	s_branch .LBB127_874
.LBB127_565:
	s_mov_b32 s5, -1
                                        ; implicit-def: $sgpr4
.LBB127_566:
	s_mov_b32 s11, 0
.LBB127_567:
	s_delay_alu instid0(SALU_CYCLE_1)
	s_and_b32 vcc_lo, exec_lo, s11
	s_cbranch_vccz .LBB127_569
; %bb.568:
	v_cmp_ne_u16_e64 s5, 0, v0
	s_mov_b32 s4, 0
.LBB127_569:
	s_delay_alu instid0(VALU_DEP_1)
	s_and_not1_b32 vcc_lo, exec_lo, s5
	s_cbranch_vccnz .LBB127_571
; %bb.570:
	v_lshrrev_b16 v0, 2, s6
	s_and_b32 s4, s6, 3
	s_lshl_b32 s13, s6, 24
	s_clz_i32_u32 s5, s4
	s_delay_alu instid0(SALU_CYCLE_1) | instskip(SKIP_4) | instid1(VALU_DEP_1)
	s_min_u32 s5, s5, 32
	v_readfirstlane_b32 s11, v0
	s_sub_i32 s12, s5, 29
	s_sub_i32 s5, 30, s5
	s_lshl_b32 s12, s6, s12
	s_and_b32 s11, s11, 31
	s_and_b32 s12, s12, 3
	s_cmp_eq_u32 s11, 0
	s_cselect_b32 s5, s5, s11
	s_cselect_b32 s4, s12, s4
	s_lshl_b32 s5, s5, 23
	s_and_b32 s11, s13, 0x80000000
	s_add_i32 s5, s5, 0x37800000
	s_lshl_b32 s4, s4, 21
	s_or_b32 s5, s11, s5
	s_delay_alu instid0(SALU_CYCLE_1)
	s_or_b32 s4, s5, s4
.LBB127_571:
	s_delay_alu instid0(SALU_CYCLE_1) | instskip(NEXT) | instid1(SALU_CYCLE_1)
	s_bfe_u32 s5, s4, 0x10010
	s_add_i32 s5, s4, s5
	v_cmp_o_f32_e64 s4, s4, s4
	s_addk_i32 s5, 0x7fff
	s_delay_alu instid0(SALU_CYCLE_1) | instskip(NEXT) | instid1(VALU_DEP_1)
	s_lshr_b32 s5, s5, 16
	s_and_b32 s4, s4, exec_lo
	s_cselect_b32 s4, s5, 0x7fc0
	s_mov_b32 s5, -1
	v_mov_b32_e32 v0, s4
	s_mov_b32 s4, 0
	global_store_b32 v[7:8], v0, off
.LBB127_572:
	s_and_b32 vcc_lo, exec_lo, s7
	s_cbranch_vccz .LBB127_585
; %bb.573:
	v_cmp_eq_u16_e32 vcc_lo, 44, v9
	s_mov_b32 s4, -1
	s_cbranch_vccz .LBB127_585
; %bb.574:
	v_and_b32_e64 v0, 0xff, s6
	s_delay_alu instid0(VALU_DEP_1)
	v_cmp_gt_i16_e32 vcc_lo, 0x80, v0
	v_readfirstlane_b32 s5, v0
	s_cbranch_vccnz .LBB127_577
; %bb.575:
	s_delay_alu instid0(VALU_DEP_1) | instskip(NEXT) | instid1(VALU_DEP_1)
	v_cmp_eq_u16_e64 s4, 0x80, s5
	s_and_b32 vcc_lo, exec_lo, s4
	s_cbranch_vccz .LBB127_578
; %bb.576:
	s_mov_b32 s7, 0
	s_mov_b32 s4, 0x7f800001
	s_branch .LBB127_579
.LBB127_577:
	s_mov_b32 s11, -1
	s_mov_b32 s7, 0
                                        ; implicit-def: $sgpr4
	s_branch .LBB127_580
.LBB127_578:
	s_mov_b32 s7, -1
                                        ; implicit-def: $sgpr4
.LBB127_579:
	s_mov_b32 s11, 0
.LBB127_580:
	s_delay_alu instid0(SALU_CYCLE_1)
	s_and_b32 vcc_lo, exec_lo, s11
	s_cbranch_vccz .LBB127_590
; %bb.581:
	v_cmp_ne_u16_e64 s7, s5, 0
	s_and_b32 s4, 0xffff, s5
	s_delay_alu instid0(VALU_DEP_1)
	s_and_not1_b32 vcc_lo, exec_lo, s7
	s_cbranch_vccz .LBB127_591
.LBB127_582:
	v_mov_b32_e32 v0, 0xff
	s_bfe_u32 s5, s4, 0x80017
	s_delay_alu instid0(SALU_CYCLE_1)
	s_cmpk_eq_i32 s5, 0xff
	s_cbranch_scc1 .LBB127_584
.LBB127_583:
	s_lshr_b32 s7, s4, 23
	s_bitcmp1_b32 s4, 22
	s_cselect_b32 s11, -1, 0
	s_and_b32 s4, s4, 0x3fffff
	s_delay_alu instid0(SALU_CYCLE_1) | instskip(NEXT) | instid1(SALU_CYCLE_1)
	s_or_b32 s4, s5, s4
	s_cmp_lg_u32 s4, 0
	s_cselect_b32 s4, -1, 0
	s_delay_alu instid0(SALU_CYCLE_1) | instskip(NEXT) | instid1(SALU_CYCLE_1)
	s_and_b32 s4, s11, s4
	v_cndmask_b32_e64 v0, 0, 1, s4
	s_delay_alu instid0(VALU_DEP_1)
	v_add_nc_u32_e32 v0, s7, v0
.LBB127_584:
	s_mov_b32 s4, 0
	s_mov_b32 s5, -1
	global_store_b8 v[7:8], v0, off
.LBB127_585:
	s_mov_b32 s7, 0
.LBB127_586:
	s_delay_alu instid0(SALU_CYCLE_1)
	s_and_b32 vcc_lo, exec_lo, s7
	s_cbranch_vccz .LBB127_598
; %bb.587:
	v_cmp_eq_u16_e32 vcc_lo, 29, v9
	s_mov_b32 s4, -1
	s_cbranch_vccz .LBB127_598
; %bb.588:
	v_and_b32_e64 v0, 0xff, s6
	s_delay_alu instid0(VALU_DEP_1)
	v_cmp_gt_i16_e32 vcc_lo, 0x80, v0
	s_cbranch_vccnz .LBB127_592
; %bb.589:
	v_cmp_ne_u16_e64 s7, 0x80, v0
	s_mov_b32 s11, 0
	s_mov_b64 s[4:5], 0
	s_branch .LBB127_593
.LBB127_590:
	s_and_not1_b32 vcc_lo, exec_lo, s7
	s_cbranch_vccnz .LBB127_582
.LBB127_591:
	v_lshrrev_b16 v0, 2, s6
	s_and_b32 s4, s6, 3
	s_delay_alu instid0(SALU_CYCLE_1) | instskip(NEXT) | instid1(SALU_CYCLE_1)
	s_clz_i32_u32 s5, s4
	s_min_u32 s5, s5, 32
	s_delay_alu instid0(VALU_DEP_1) | instskip(SKIP_3) | instid1(VALU_DEP_1)
	v_readfirstlane_b32 s7, v0
	s_sub_i32 s11, s5, 29
	s_sub_i32 s5, 30, s5
	s_lshl_b32 s11, s6, s11
	s_and_b32 s7, s7, 31
	s_and_b32 s11, s11, 3
	s_cmp_eq_u32 s7, 0
	s_cselect_b32 s4, s11, s4
	s_cselect_b32 s5, s5, s7
	s_lshl_b32 s4, s4, 21
	s_lshl_b32 s5, s5, 23
	s_delay_alu instid0(SALU_CYCLE_1) | instskip(NEXT) | instid1(SALU_CYCLE_1)
	s_or_b32 s4, s5, s4
	s_add_i32 s4, s4, 0x37800000
	v_mov_b32_e32 v0, 0xff
	s_bfe_u32 s5, s4, 0x80017
	s_delay_alu instid0(SALU_CYCLE_1)
	s_cmpk_eq_i32 s5, 0xff
	s_cbranch_scc0 .LBB127_583
	s_branch .LBB127_584
.LBB127_592:
	s_mov_b32 s11, -1
	s_mov_b32 s7, 0
                                        ; implicit-def: $sgpr4_sgpr5
.LBB127_593:
	s_and_not1_b32 vcc_lo, exec_lo, s11
	s_cbranch_vccnz .LBB127_595
; %bb.594:
	v_cmp_ne_u16_e64 s7, 0, v0
	s_mov_b64 s[4:5], 0
.LBB127_595:
	s_delay_alu instid0(SALU_CYCLE_1) | instskip(NEXT) | instid1(VALU_DEP_2)
	v_dual_mov_b32 v0, s4 :: v_dual_mov_b32 v1, s5
	s_and_not1_b32 vcc_lo, exec_lo, s7
	s_cbranch_vccnz .LBB127_597
; %bb.596:
	v_lshrrev_b16 v0, 2, s6
	s_and_b32 s4, s6, 3
	s_lshl_b32 s11, s6, 24
	s_clz_i32_u32 s5, s4
	s_delay_alu instid0(SALU_CYCLE_1) | instskip(SKIP_4) | instid1(VALU_DEP_1)
	s_min_u32 s5, s5, 32
	v_readfirstlane_b32 s7, v0
	s_sub_i32 s12, s5, 29
	s_sub_i32 s5, 30, s5
	s_lshl_b32 s12, s6, s12
	s_and_b32 s7, s7, 31
	s_and_b32 s12, s12, 3
	s_cmp_eq_u32 s7, 0
	s_cselect_b32 s5, s5, s7
	s_cselect_b32 s4, s12, s4
	s_lshl_b32 s5, s5, 23
	s_and_b32 s7, s11, 0x80000000
	s_add_i32 s5, s5, 0x37800000
	s_lshl_b32 s4, s4, 21
	s_or_b32 s5, s7, s5
	s_delay_alu instid0(SALU_CYCLE_1) | instskip(NEXT) | instid1(SALU_CYCLE_1)
	s_or_b32 s4, s5, s4
	v_trunc_f32_e32 v0, s4
	s_delay_alu instid0(VALU_DEP_1) | instskip(NEXT) | instid1(VALU_DEP_1)
	v_mul_f32_e32 v1, 0x2f800000, v0
	v_floor_f32_e32 v1, v1
	s_delay_alu instid0(VALU_DEP_1) | instskip(SKIP_1) | instid1(VALU_DEP_2)
	v_fmamk_f32 v0, v1, 0xcf800000, v0
	v_cvt_u32_f32_e32 v1, v1
	v_cvt_u32_f32_e32 v0, v0
.LBB127_597:
	s_mov_b32 s4, 0
	s_mov_b32 s5, -1
	global_store_b64 v[7:8], v[0:1], off
.LBB127_598:
	s_mov_b32 s7, 0
.LBB127_599:
	s_delay_alu instid0(SALU_CYCLE_1)
	s_and_b32 vcc_lo, exec_lo, s7
	s_cbranch_vccz .LBB127_641
; %bb.600:
	v_cmp_gt_i16_e32 vcc_lo, 27, v9
	s_mov_b32 s5, -1
	s_cbranch_vccnz .LBB127_620
; %bb.601:
	v_cmp_lt_i16_e32 vcc_lo, 27, v9
	s_cbranch_vccz .LBB127_610
; %bb.602:
	v_and_b32_e64 v0, 0xff, s6
	s_delay_alu instid0(VALU_DEP_1)
	v_cmp_gt_i16_e32 vcc_lo, 0x80, v0
	s_cbranch_vccnz .LBB127_604
; %bb.603:
	v_cmp_ne_u16_e64 s5, 0x80, v0
	s_mov_b32 s11, 0
	s_mov_b32 s7, 0
	s_branch .LBB127_605
.LBB127_604:
	s_mov_b32 s11, -1
	s_mov_b32 s5, 0
                                        ; implicit-def: $sgpr7
.LBB127_605:
	s_and_not1_b32 vcc_lo, exec_lo, s11
	s_cbranch_vccnz .LBB127_607
; %bb.606:
	v_cmp_ne_u16_e64 s5, 0, v0
	s_mov_b32 s7, 0
.LBB127_607:
	s_delay_alu instid0(SALU_CYCLE_1) | instskip(NEXT) | instid1(VALU_DEP_2)
	v_mov_b32_e32 v0, s7
	s_and_not1_b32 vcc_lo, exec_lo, s5
	s_cbranch_vccnz .LBB127_609
; %bb.608:
	v_lshrrev_b16 v0, 2, s6
	s_and_b32 s5, s6, 3
	s_lshl_b32 s13, s6, 24
	s_clz_i32_u32 s7, s5
	s_delay_alu instid0(SALU_CYCLE_1) | instskip(SKIP_4) | instid1(VALU_DEP_1)
	s_min_u32 s7, s7, 32
	v_readfirstlane_b32 s11, v0
	s_sub_i32 s12, s7, 29
	s_sub_i32 s7, 30, s7
	s_lshl_b32 s12, s6, s12
	s_and_b32 s11, s11, 31
	s_and_b32 s12, s12, 3
	s_cmp_eq_u32 s11, 0
	s_cselect_b32 s7, s7, s11
	s_cselect_b32 s5, s12, s5
	s_lshl_b32 s7, s7, 23
	s_and_b32 s11, s13, 0x80000000
	s_add_i32 s7, s7, 0x37800000
	s_lshl_b32 s5, s5, 21
	s_or_b32 s7, s11, s7
	s_delay_alu instid0(SALU_CYCLE_1) | instskip(NEXT) | instid1(SALU_CYCLE_1)
	s_or_b32 s5, s7, s5
	v_cvt_u32_f32_e32 v0, s5
.LBB127_609:
	s_mov_b32 s5, 0
	global_store_b32 v[7:8], v0, off
.LBB127_610:
	s_and_b32 vcc_lo, exec_lo, s5
	s_cbranch_vccz .LBB127_619
; %bb.611:
	v_and_b32_e64 v0, 0xff, s6
	s_delay_alu instid0(VALU_DEP_1)
	v_cmp_gt_i16_e32 vcc_lo, 0x80, v0
	s_cbranch_vccnz .LBB127_613
; %bb.612:
	v_cmp_ne_u16_e64 s5, 0x80, v0
	s_mov_b32 s11, 0
	s_mov_b32 s7, 0
	s_branch .LBB127_614
.LBB127_613:
	s_mov_b32 s11, -1
	s_mov_b32 s5, 0
                                        ; implicit-def: $sgpr7
.LBB127_614:
	s_and_not1_b32 vcc_lo, exec_lo, s11
	s_cbranch_vccnz .LBB127_616
; %bb.615:
	v_cmp_ne_u16_e64 s5, 0, v0
	s_mov_b32 s7, 0
.LBB127_616:
	s_delay_alu instid0(SALU_CYCLE_1) | instskip(NEXT) | instid1(VALU_DEP_2)
	v_mov_b32_e32 v0, s7
	s_and_not1_b32 vcc_lo, exec_lo, s5
	s_cbranch_vccnz .LBB127_618
; %bb.617:
	v_lshrrev_b16 v0, 2, s6
	s_and_b32 s5, s6, 3
	s_lshl_b32 s13, s6, 24
	s_clz_i32_u32 s7, s5
	s_delay_alu instid0(SALU_CYCLE_1) | instskip(SKIP_4) | instid1(VALU_DEP_1)
	s_min_u32 s7, s7, 32
	v_readfirstlane_b32 s11, v0
	s_sub_i32 s12, s7, 29
	s_sub_i32 s7, 30, s7
	s_lshl_b32 s12, s6, s12
	s_and_b32 s11, s11, 31
	s_and_b32 s12, s12, 3
	s_cmp_eq_u32 s11, 0
	s_cselect_b32 s7, s7, s11
	s_cselect_b32 s5, s12, s5
	s_lshl_b32 s7, s7, 23
	s_and_b32 s11, s13, 0x80000000
	s_add_i32 s7, s7, 0x37800000
	s_lshl_b32 s5, s5, 21
	s_or_b32 s7, s11, s7
	s_delay_alu instid0(SALU_CYCLE_1) | instskip(NEXT) | instid1(SALU_CYCLE_1)
	s_or_b32 s5, s7, s5
	v_cvt_u32_f32_e32 v0, s5
.LBB127_618:
	global_store_b16 v[7:8], v0, off
.LBB127_619:
	s_mov_b32 s5, 0
.LBB127_620:
	s_delay_alu instid0(SALU_CYCLE_1)
	s_and_not1_b32 vcc_lo, exec_lo, s5
	s_cbranch_vccnz .LBB127_640
; %bb.621:
	v_and_b32_e64 v0, 0xff, s6
	s_delay_alu instid0(VALU_DEP_1)
	v_cmp_gt_i16_e32 vcc_lo, 0x80, v0
	s_cbranch_vccnz .LBB127_624
; %bb.622:
	v_cmp_eq_u16_e32 vcc_lo, 0x80, v0
	s_cbranch_vccz .LBB127_625
; %bb.623:
	s_mov_b32 s7, 0
	s_mov_b32 s5, 0x7f800001
	s_branch .LBB127_626
.LBB127_624:
	s_mov_b32 s11, -1
	s_mov_b32 s7, 0
                                        ; implicit-def: $sgpr5
	s_branch .LBB127_627
.LBB127_625:
	s_mov_b32 s7, -1
                                        ; implicit-def: $sgpr5
.LBB127_626:
	s_mov_b32 s11, 0
.LBB127_627:
	s_delay_alu instid0(SALU_CYCLE_1)
	s_and_b32 vcc_lo, exec_lo, s11
	s_cbranch_vccz .LBB127_630
; %bb.628:
	v_cmp_ne_u16_e64 s7, 0, v0
	s_mov_b32 s5, 0
	s_delay_alu instid0(VALU_DEP_1)
	s_and_not1_b32 vcc_lo, exec_lo, s7
	s_cbranch_vccz .LBB127_631
.LBB127_629:
	v_mov_b32_e32 v1, 0x80
	s_and_b32 s7, s5, 0x7fffffff
	s_delay_alu instid0(SALU_CYCLE_1)
	s_cmp_gt_u32 s7, 0x437fffff
	s_cbranch_scc0 .LBB127_632
	s_branch .LBB127_639
.LBB127_630:
	s_and_not1_b32 vcc_lo, exec_lo, s7
	s_cbranch_vccnz .LBB127_629
.LBB127_631:
	v_lshrrev_b16 v0, 2, s6
	s_and_b32 s5, s6, 3
	s_lshl_b32 s13, s6, 24
	s_clz_i32_u32 s7, s5
	s_delay_alu instid0(SALU_CYCLE_1) | instskip(SKIP_4) | instid1(VALU_DEP_1)
	s_min_u32 s7, s7, 32
	v_readfirstlane_b32 s11, v0
	s_sub_i32 s12, s7, 29
	s_sub_i32 s7, 30, s7
	s_lshl_b32 s12, s6, s12
	s_and_b32 s11, s11, 31
	s_and_b32 s12, s12, 3
	s_cmp_eq_u32 s11, 0
	s_cselect_b32 s7, s7, s11
	s_cselect_b32 s5, s12, s5
	s_lshl_b32 s7, s7, 23
	s_and_b32 s11, s13, 0x80000000
	s_add_i32 s7, s7, 0x37800000
	s_lshl_b32 s5, s5, 21
	s_or_b32 s7, s11, s7
	s_delay_alu instid0(SALU_CYCLE_1) | instskip(SKIP_2) | instid1(SALU_CYCLE_1)
	s_or_b32 s5, s7, s5
	v_mov_b32_e32 v1, 0x80
	s_and_b32 s7, s5, 0x7fffffff
	s_cmp_gt_u32 s7, 0x437fffff
	s_cbranch_scc1 .LBB127_639
.LBB127_632:
	s_cmp_gt_u32 s7, 0x3bffffff
	s_cbranch_scc0 .LBB127_634
; %bb.633:
	s_bfe_u32 s7, s5, 0x10014
	s_mov_b32 s11, 0
	s_add_i32 s7, s5, s7
	s_delay_alu instid0(SALU_CYCLE_1) | instskip(NEXT) | instid1(SALU_CYCLE_1)
	s_add_i32 s7, s7, 0x487ffff
	s_lshr_b32 s12, s7, 20
	s_mov_b32 s7, -1
	s_branch .LBB127_635
.LBB127_634:
	s_mov_b32 s11, -1
	s_mov_b32 s7, 0
                                        ; implicit-def: $sgpr12
.LBB127_635:
	v_mov_b32_e32 v0, s12
	s_and_not1_b32 vcc_lo, exec_lo, s11
                                        ; implicit-def: $sgpr11
	s_cbranch_vccnz .LBB127_637
; %bb.636:
	v_add_f32_e64 v0, 0x46000000, |s5|
	s_mov_b32 s11, 0
	s_delay_alu instid0(VALU_DEP_1) | instskip(NEXT) | instid1(VALU_DEP_1)
	v_and_b32_e32 v0, 0xff, v0
	v_cmp_ne_u32_e64 s7, 0, v0
.LBB127_637:
	v_mov_b32_e32 v1, s11
	s_delay_alu instid0(VALU_DEP_2)
	s_and_not1_b32 vcc_lo, exec_lo, s7
	s_cbranch_vccnz .LBB127_639
; %bb.638:
	s_lshr_b32 s5, s5, 24
	s_delay_alu instid0(SALU_CYCLE_1) | instskip(NEXT) | instid1(SALU_CYCLE_1)
	s_and_b32 s5, s5, 0x80
	v_or_b32_e32 v1, s5, v0
.LBB127_639:
	global_store_b8 v[7:8], v1, off
.LBB127_640:
	s_mov_b32 s5, -1
.LBB127_641:
	s_mov_b32 s7, 0
.LBB127_642:
	s_delay_alu instid0(SALU_CYCLE_1)
	s_and_b32 vcc_lo, exec_lo, s7
	s_cbranch_vccz .LBB127_709
; %bb.643:
	v_cmp_lt_i16_e32 vcc_lo, 22, v9
	s_mov_b32 s7, -1
	s_cbranch_vccz .LBB127_692
; %bb.644:
	v_cmp_gt_i16_e32 vcc_lo, 24, v9
	s_mov_b32 s5, -1
	s_cbranch_vccnz .LBB127_669
; %bb.645:
	v_cmp_lt_i16_e32 vcc_lo, 24, v9
	s_cbranch_vccz .LBB127_647
; %bb.646:
	v_mov_b32_e32 v0, s6
	s_mov_b32 s5, 0
	global_store_b8 v[7:8], v0, off
.LBB127_647:
	s_and_not1_b32 vcc_lo, exec_lo, s5
	s_cbranch_vccnz .LBB127_668
; %bb.648:
	v_and_b32_e64 v0, 0xff, s6
	s_delay_alu instid0(VALU_DEP_1)
	v_cmp_gt_i16_e32 vcc_lo, 0x80, v0
	s_cbranch_vccnz .LBB127_651
; %bb.649:
	v_cmp_eq_u16_e32 vcc_lo, 0x80, v0
	s_cbranch_vccz .LBB127_652
; %bb.650:
	s_mov_b32 s7, 0
	s_mov_b32 s5, 0x7f800001
	s_branch .LBB127_653
.LBB127_651:
	s_mov_b32 s10, -1
	s_mov_b32 s7, 0
.LBB127_652:
                                        ; implicit-def: $sgpr5
.LBB127_653:
	s_and_b32 vcc_lo, exec_lo, s10
	s_cbranch_vccz .LBB127_658
; %bb.654:
	v_cmp_ne_u16_e64 s7, 0, v0
	s_mov_b32 s5, 0
	s_delay_alu instid0(VALU_DEP_1)
	s_and_not1_b32 vcc_lo, exec_lo, s7
	s_cbranch_vccz .LBB127_659
.LBB127_655:
	s_and_b32 s7, s5, 0x7fffffff
	s_delay_alu instid0(SALU_CYCLE_1)
	s_cmp_lt_u32 s7, 0x43f00000
	s_cbranch_scc0 .LBB127_660
.LBB127_656:
	s_cmp_gt_u32 s7, 0x3c7fffff
	s_cbranch_scc0 .LBB127_661
; %bb.657:
	s_bfe_u32 s10, s5, 0x10014
	s_delay_alu instid0(SALU_CYCLE_1) | instskip(NEXT) | instid1(SALU_CYCLE_1)
	s_add_i32 s10, s5, s10
	s_add_i32 s10, s10, 0x407ffff
	s_delay_alu instid0(SALU_CYCLE_1)
	s_and_b32 s11, s10, 0xff00000
	s_lshr_b32 s10, s10, 20
	s_cmp_lg_u32 s11, 0x7f00000
	s_cselect_b32 s11, s10, 0x7e
	s_mov_b32 s10, 0
	s_branch .LBB127_662
.LBB127_658:
	s_and_not1_b32 vcc_lo, exec_lo, s7
	s_cbranch_vccnz .LBB127_655
.LBB127_659:
	v_lshrrev_b16 v0, 2, s6
	s_and_b32 s5, s6, 3
	s_lshl_b32 s12, s6, 24
	s_clz_i32_u32 s7, s5
	s_delay_alu instid0(SALU_CYCLE_1) | instskip(SKIP_4) | instid1(VALU_DEP_1)
	s_min_u32 s7, s7, 32
	v_readfirstlane_b32 s10, v0
	s_sub_i32 s11, s7, 29
	s_sub_i32 s7, 30, s7
	s_lshl_b32 s11, s6, s11
	s_and_b32 s10, s10, 31
	s_and_b32 s11, s11, 3
	s_cmp_eq_u32 s10, 0
	s_cselect_b32 s7, s7, s10
	s_cselect_b32 s5, s11, s5
	s_lshl_b32 s7, s7, 23
	s_and_b32 s10, s12, 0x80000000
	s_add_i32 s7, s7, 0x37800000
	s_lshl_b32 s5, s5, 21
	s_or_b32 s7, s10, s7
	s_delay_alu instid0(SALU_CYCLE_1) | instskip(NEXT) | instid1(SALU_CYCLE_1)
	s_or_b32 s5, s7, s5
	s_and_b32 s7, s5, 0x7fffffff
	s_delay_alu instid0(SALU_CYCLE_1)
	s_cmp_lt_u32 s7, 0x43f00000
	s_cbranch_scc1 .LBB127_656
.LBB127_660:
	s_mov_b32 s10, -1
                                        ; implicit-def: $vgpr0
	s_branch .LBB127_665
.LBB127_661:
	s_mov_b32 s10, -1
                                        ; implicit-def: $sgpr11
.LBB127_662:
	v_mov_b32_e32 v0, s11
	s_and_not1_b32 vcc_lo, exec_lo, s10
	s_cbranch_vccnz .LBB127_664
; %bb.663:
	v_add_f32_e64 v0, 0x46800000, |s5|
.LBB127_664:
	s_mov_b32 s10, 0
.LBB127_665:
	s_delay_alu instid0(SALU_CYCLE_1)
	s_and_not1_b32 vcc_lo, exec_lo, s10
	s_cbranch_vccnz .LBB127_667
; %bb.666:
	s_cmp_gt_u32 s7, 0x7f800000
	s_movk_i32 s7, 0x7f
	s_delay_alu instid0(SALU_CYCLE_1) | instskip(NEXT) | instid1(SALU_CYCLE_1)
	s_cselect_b32 s7, s7, 0x7e
	v_mov_b32_e32 v0, s7
.LBB127_667:
	s_lshr_b32 s5, s5, 24
	s_delay_alu instid0(SALU_CYCLE_1)
	s_and_b32 s5, s5, 0x80
	s_delay_alu instid0(VALU_DEP_1) | instid1(SALU_CYCLE_1)
	v_or_b32_e32 v0, s5, v0
	global_store_b8 v[7:8], v0, off
.LBB127_668:
	s_mov_b32 s5, 0
.LBB127_669:
	s_delay_alu instid0(SALU_CYCLE_1)
	s_and_not1_b32 vcc_lo, exec_lo, s5
	s_cbranch_vccnz .LBB127_691
; %bb.670:
	v_and_b32_e64 v0, 0xff, s6
	s_delay_alu instid0(VALU_DEP_1)
	v_cmp_gt_i16_e32 vcc_lo, 0x80, v0
	s_cbranch_vccnz .LBB127_673
; %bb.671:
	v_cmp_eq_u16_e32 vcc_lo, 0x80, v0
	s_cbranch_vccz .LBB127_674
; %bb.672:
	s_mov_b32 s7, 0
	s_mov_b32 s5, 0x7f800001
	s_branch .LBB127_675
.LBB127_673:
	s_mov_b32 s10, -1
	s_mov_b32 s7, 0
                                        ; implicit-def: $sgpr5
	s_branch .LBB127_676
.LBB127_674:
	s_mov_b32 s7, -1
                                        ; implicit-def: $sgpr5
.LBB127_675:
	s_mov_b32 s10, 0
.LBB127_676:
	s_delay_alu instid0(SALU_CYCLE_1)
	s_and_b32 vcc_lo, exec_lo, s10
	s_cbranch_vccz .LBB127_681
; %bb.677:
	v_cmp_ne_u16_e64 s7, 0, v0
	s_mov_b32 s5, 0
	s_delay_alu instid0(VALU_DEP_1)
	s_and_not1_b32 vcc_lo, exec_lo, s7
	s_cbranch_vccz .LBB127_682
.LBB127_678:
	s_and_b32 s7, s5, 0x7fffffff
	s_delay_alu instid0(SALU_CYCLE_1)
	s_cmp_lt_u32 s7, 0x47800000
	s_cbranch_scc0 .LBB127_683
.LBB127_679:
	s_cmp_gt_u32 s7, 0x387fffff
	s_cbranch_scc0 .LBB127_684
; %bb.680:
	s_bfe_u32 s10, s5, 0x10015
	s_delay_alu instid0(SALU_CYCLE_1) | instskip(NEXT) | instid1(SALU_CYCLE_1)
	s_add_i32 s10, s5, s10
	s_add_i32 s10, s10, 0x80fffff
	s_delay_alu instid0(SALU_CYCLE_1)
	s_lshr_b32 s11, s10, 21
	s_mov_b32 s10, 0
	s_branch .LBB127_685
.LBB127_681:
	s_and_not1_b32 vcc_lo, exec_lo, s7
	s_cbranch_vccnz .LBB127_678
.LBB127_682:
	v_lshrrev_b16 v0, 2, s6
	s_and_b32 s5, s6, 3
	s_lshl_b32 s12, s6, 24
	s_clz_i32_u32 s7, s5
	s_delay_alu instid0(SALU_CYCLE_1) | instskip(SKIP_4) | instid1(VALU_DEP_1)
	s_min_u32 s7, s7, 32
	v_readfirstlane_b32 s10, v0
	s_sub_i32 s11, s7, 29
	s_sub_i32 s7, 30, s7
	s_lshl_b32 s11, s6, s11
	s_and_b32 s10, s10, 31
	s_and_b32 s11, s11, 3
	s_cmp_eq_u32 s10, 0
	s_cselect_b32 s7, s7, s10
	s_cselect_b32 s5, s11, s5
	s_lshl_b32 s7, s7, 23
	s_and_b32 s10, s12, 0x80000000
	s_add_i32 s7, s7, 0x37800000
	s_lshl_b32 s5, s5, 21
	s_or_b32 s7, s10, s7
	s_delay_alu instid0(SALU_CYCLE_1) | instskip(NEXT) | instid1(SALU_CYCLE_1)
	s_or_b32 s5, s7, s5
	s_and_b32 s7, s5, 0x7fffffff
	s_delay_alu instid0(SALU_CYCLE_1)
	s_cmp_lt_u32 s7, 0x47800000
	s_cbranch_scc1 .LBB127_679
.LBB127_683:
	s_mov_b32 s10, -1
                                        ; implicit-def: $vgpr0
	s_branch .LBB127_688
.LBB127_684:
	s_mov_b32 s10, -1
                                        ; implicit-def: $sgpr11
.LBB127_685:
	v_mov_b32_e32 v0, s11
	s_and_not1_b32 vcc_lo, exec_lo, s10
	s_cbranch_vccnz .LBB127_687
; %bb.686:
	v_add_f32_e64 v0, 0x43000000, |s5|
.LBB127_687:
	s_mov_b32 s10, 0
.LBB127_688:
	s_delay_alu instid0(SALU_CYCLE_1)
	s_and_not1_b32 vcc_lo, exec_lo, s10
	s_cbranch_vccnz .LBB127_690
; %bb.689:
	s_cmp_gt_u32 s7, 0x7f800000
	s_movk_i32 s7, 0x7f
	s_delay_alu instid0(SALU_CYCLE_1) | instskip(NEXT) | instid1(SALU_CYCLE_1)
	s_cselect_b32 s7, s7, 0x7c
	v_mov_b32_e32 v0, s7
.LBB127_690:
	s_lshr_b32 s5, s5, 24
	s_delay_alu instid0(SALU_CYCLE_1)
	s_and_b32 s5, s5, 0x80
	s_delay_alu instid0(VALU_DEP_1) | instid1(SALU_CYCLE_1)
	v_or_b32_e32 v0, s5, v0
	global_store_b8 v[7:8], v0, off
.LBB127_691:
	s_mov_b32 s7, 0
	s_mov_b32 s5, -1
.LBB127_692:
	s_and_not1_b32 vcc_lo, exec_lo, s7
	s_mov_b32 s10, 0
	s_cbranch_vccnz .LBB127_709
; %bb.693:
	v_cmp_lt_i16_e32 vcc_lo, 14, v9
	s_mov_b32 s7, -1
	s_cbranch_vccz .LBB127_707
; %bb.694:
	v_cmp_eq_u16_e32 vcc_lo, 15, v9
	s_mov_b32 s4, -1
	s_cbranch_vccz .LBB127_706
; %bb.695:
	v_and_b32_e64 v0, 0xff, s6
	s_delay_alu instid0(VALU_DEP_1)
	v_cmp_gt_i16_e32 vcc_lo, 0x80, v0
	s_cbranch_vccnz .LBB127_698
; %bb.696:
	v_cmp_eq_u16_e32 vcc_lo, 0x80, v0
	s_cbranch_vccz .LBB127_699
; %bb.697:
	s_mov_b32 s5, 0
	s_mov_b32 s4, 0x7f800001
	s_branch .LBB127_700
.LBB127_698:
	s_mov_b32 s5, 0
                                        ; implicit-def: $sgpr4
	s_branch .LBB127_701
.LBB127_699:
	s_mov_b32 s5, -1
                                        ; implicit-def: $sgpr4
.LBB127_700:
	s_mov_b32 s7, 0
.LBB127_701:
	s_delay_alu instid0(SALU_CYCLE_1)
	s_and_b32 vcc_lo, exec_lo, s7
	s_cbranch_vccz .LBB127_703
; %bb.702:
	v_cmp_ne_u16_e64 s5, 0, v0
	s_mov_b32 s4, 0
.LBB127_703:
	s_delay_alu instid0(VALU_DEP_1)
	s_and_not1_b32 vcc_lo, exec_lo, s5
	s_cbranch_vccnz .LBB127_705
; %bb.704:
	v_lshrrev_b16 v0, 2, s6
	s_and_b32 s4, s6, 3
	s_lshl_b32 s11, s6, 24
	s_clz_i32_u32 s5, s4
	s_delay_alu instid0(SALU_CYCLE_1) | instskip(SKIP_4) | instid1(VALU_DEP_1)
	s_min_u32 s5, s5, 32
	v_readfirstlane_b32 s7, v0
	s_sub_i32 s10, s5, 29
	s_sub_i32 s5, 30, s5
	s_lshl_b32 s10, s6, s10
	s_and_b32 s7, s7, 31
	s_and_b32 s10, s10, 3
	s_cmp_eq_u32 s7, 0
	s_cselect_b32 s5, s5, s7
	s_cselect_b32 s4, s10, s4
	s_lshl_b32 s5, s5, 23
	s_and_b32 s7, s11, 0x80000000
	s_add_i32 s5, s5, 0x37800000
	s_lshl_b32 s4, s4, 21
	s_or_b32 s5, s7, s5
	s_delay_alu instid0(SALU_CYCLE_1)
	s_or_b32 s4, s5, s4
.LBB127_705:
	s_delay_alu instid0(SALU_CYCLE_1) | instskip(NEXT) | instid1(SALU_CYCLE_1)
	s_bfe_u32 s5, s4, 0x10010
	s_add_i32 s5, s4, s5
	v_cmp_o_f32_e64 s4, s4, s4
	s_addk_i32 s5, 0x7fff
	s_delay_alu instid0(SALU_CYCLE_1) | instskip(NEXT) | instid1(VALU_DEP_1)
	s_lshr_b32 s5, s5, 16
	s_and_b32 s4, s4, exec_lo
	s_cselect_b32 s4, s5, 0x7fc0
	s_mov_b32 s5, -1
	v_mov_b32_e32 v0, s4
	s_mov_b32 s4, 0
	global_store_b16 v[7:8], v0, off
.LBB127_706:
	s_mov_b32 s7, 0
.LBB127_707:
	s_delay_alu instid0(SALU_CYCLE_1)
	s_and_b32 vcc_lo, exec_lo, s7
	s_mov_b32 s10, 0
	s_cbranch_vccz .LBB127_709
; %bb.708:
	v_cmp_ne_u16_e64 s4, 11, v9
	s_mov_b32 s10, -1
.LBB127_709:
	s_delay_alu instid0(VALU_DEP_1)
	s_and_b32 vcc_lo, exec_lo, s4
	s_mov_b32 s7, s8
	s_cbranch_vccnz .LBB127_730
; %bb.710:
	s_and_not1_b32 vcc_lo, exec_lo, s10
	s_cbranch_vccnz .LBB127_721
.LBB127_711:
	v_and_b32_e64 v0, 0xff, s6
	s_delay_alu instid0(VALU_DEP_1)
	v_cmp_gt_i16_e32 vcc_lo, 0x80, v0
	s_cbranch_vccnz .LBB127_714
; %bb.712:
	v_cmp_eq_u16_e32 vcc_lo, 0x80, v0
	s_cbranch_vccz .LBB127_715
; %bb.713:
	s_mov_b32 s5, 0
	s_mov_b32 s4, -1
	s_branch .LBB127_716
.LBB127_714:
	s_mov_b32 s5, 0
                                        ; implicit-def: $sgpr4
	s_cbranch_execnz .LBB127_717
	s_branch .LBB127_718
.LBB127_715:
	s_mov_b32 s5, -1
                                        ; implicit-def: $sgpr4
.LBB127_716:
	s_branch .LBB127_718
.LBB127_717:
	v_cmp_ne_u16_e64 s5, 0, v0
	s_mov_b32 s4, 0
.LBB127_718:
	s_delay_alu instid0(VALU_DEP_1)
	s_and_not1_b32 vcc_lo, exec_lo, s5
	s_cbranch_vccnz .LBB127_720
; %bb.719:
	v_lshrrev_b16 v0, 2, s6
	s_and_b32 s4, s6, 3
	s_delay_alu instid0(SALU_CYCLE_1) | instskip(NEXT) | instid1(SALU_CYCLE_1)
	s_clz_i32_u32 s5, s4
	s_min_u32 s5, s5, 32
	s_delay_alu instid0(VALU_DEP_1) | instskip(SKIP_3) | instid1(VALU_DEP_1)
	v_readfirstlane_b32 s10, v0
	s_sub_i32 s11, s5, 29
	s_sub_i32 s5, 30, s5
	s_lshl_b32 s11, s6, s11
	s_and_b32 s10, s10, 31
	s_and_b32 s11, s11, 3
	s_cmp_eq_u32 s10, 0
	s_cselect_b32 s5, s5, s10
	s_cselect_b32 s4, s11, s4
	s_lshl_b32 s5, s5, 23
	s_lshl_b32 s4, s4, 21
	s_add_i32 s5, s5, 0x37800000
	s_delay_alu instid0(SALU_CYCLE_1) | instskip(NEXT) | instid1(SALU_CYCLE_1)
	s_and_b32 s5, s5, 0x7f800000
	s_or_b32 s4, s5, s4
	s_delay_alu instid0(SALU_CYCLE_1)
	s_cmp_lg_u32 s4, 0
	s_cselect_b32 s4, -1, 0
.LBB127_720:
	s_delay_alu instid0(SALU_CYCLE_1)
	v_cndmask_b32_e64 v0, 0, 1, s4
	s_mov_b32 s5, -1
	global_store_b8 v[7:8], v0, off
.LBB127_721:
	s_mov_b32 s4, 0
.LBB127_722:
	s_delay_alu instid0(SALU_CYCLE_1)
	s_and_b32 vcc_lo, exec_lo, s4
	s_cbranch_vccz .LBB127_860
; %bb.723:
	v_cmp_gt_i16_e32 vcc_lo, 5, v9
	s_mov_b32 s4, -1
	s_cbranch_vccnz .LBB127_808
; %bb.724:
	v_cmp_gt_i16_e32 vcc_lo, 8, v9
	s_cbranch_vccnz .LBB127_768
; %bb.725:
	v_cmp_gt_i16_e32 vcc_lo, 9, v9
	s_cbranch_vccnz .LBB127_755
; %bb.726:
	v_cmp_lt_i16_e32 vcc_lo, 9, v9
	s_cbranch_vccz .LBB127_742
; %bb.727:
	v_and_b32_e64 v0, 0xff, s6
	s_delay_alu instid0(VALU_DEP_1)
	v_cmp_gt_i16_e32 vcc_lo, 0x80, v0
	s_cbranch_vccnz .LBB127_732
; %bb.728:
	v_cmp_eq_u16_e32 vcc_lo, 0x80, v0
	s_cbranch_vccz .LBB127_735
; %bb.729:
	s_mov_b32 s10, 0
	s_mov_b32 s5, 0x7ff80000
	s_brev_b32 s4, 4
	s_branch .LBB127_736
.LBB127_730:
	s_cbranch_execnz .LBB127_733
; %bb.731:
	s_or_b32 s7, s8, exec_lo
	s_cbranch_execz .LBB127_711
	s_branch .LBB127_721
.LBB127_732:
	s_mov_b32 s11, -1
	s_mov_b32 s10, 0
                                        ; implicit-def: $sgpr4_sgpr5
	s_branch .LBB127_737
.LBB127_733:
	s_trap 2
	s_sendmsg_rtn_b32 s0, sendmsg(MSG_RTN_GET_DOORBELL)
	s_mov_b32 ttmp2, m0
	s_waitcnt lgkmcnt(0)
	s_and_b32 s0, s0, 0x3ff
	s_delay_alu instid0(SALU_CYCLE_1) | instskip(NEXT) | instid1(SALU_CYCLE_1)
	s_bitset1_b32 s0, 10
	s_mov_b32 m0, s0
	s_sendmsg sendmsg(MSG_INTERRUPT)
	s_mov_b32 m0, ttmp2
.LBB127_734:                            ; =>This Inner Loop Header: Depth=1
	s_sethalt 5
	s_branch .LBB127_734
.LBB127_735:
	s_mov_b32 s10, -1
                                        ; implicit-def: $sgpr4_sgpr5
.LBB127_736:
	s_mov_b32 s11, 0
.LBB127_737:
	s_delay_alu instid0(SALU_CYCLE_1)
	s_and_b32 vcc_lo, exec_lo, s11
	s_cbranch_vccz .LBB127_739
; %bb.738:
	v_cmp_ne_u16_e64 s10, 0, v0
	s_mov_b64 s[4:5], 0
.LBB127_739:
	s_delay_alu instid0(SALU_CYCLE_1) | instskip(NEXT) | instid1(VALU_DEP_2)
	v_dual_mov_b32 v0, s4 :: v_dual_mov_b32 v1, s5
	s_and_not1_b32 vcc_lo, exec_lo, s10
	s_cbranch_vccnz .LBB127_741
; %bb.740:
	v_lshrrev_b16 v0, 2, s6
	s_and_b32 s4, s6, 3
	s_lshl_b32 s12, s6, 24
	s_clz_i32_u32 s5, s4
	s_delay_alu instid0(SALU_CYCLE_1) | instskip(SKIP_4) | instid1(VALU_DEP_1)
	s_min_u32 s5, s5, 32
	v_readfirstlane_b32 s10, v0
	s_sub_i32 s11, s5, 29
	s_sub_i32 s5, 30, s5
	s_lshl_b32 s11, s6, s11
	s_and_b32 s10, s10, 31
	s_and_b32 s11, s11, 3
	s_cmp_eq_u32 s10, 0
	s_cselect_b32 s5, s5, s10
	s_cselect_b32 s4, s11, s4
	s_lshl_b32 s5, s5, 23
	s_and_b32 s10, s12, 0x80000000
	s_add_i32 s5, s5, 0x37800000
	s_lshl_b32 s4, s4, 21
	s_or_b32 s5, s10, s5
	s_delay_alu instid0(SALU_CYCLE_1) | instskip(NEXT) | instid1(SALU_CYCLE_1)
	s_or_b32 s4, s5, s4
	v_cvt_f64_f32_e32 v[0:1], s4
.LBB127_741:
	v_mov_b32_e32 v2, 0
	s_mov_b32 s4, 0
	s_delay_alu instid0(VALU_DEP_1)
	v_mov_b32_e32 v3, v2
	global_store_b128 v[7:8], v[0:3], off
.LBB127_742:
	s_and_b32 vcc_lo, exec_lo, s4
	s_cbranch_vccz .LBB127_754
; %bb.743:
	v_and_b32_e64 v1, 0xff, s6
	s_delay_alu instid0(VALU_DEP_1)
	v_cmp_gt_i16_e32 vcc_lo, 0x80, v1
	s_cbranch_vccnz .LBB127_746
; %bb.744:
	v_cmp_eq_u16_e32 vcc_lo, 0x80, v1
	s_cbranch_vccz .LBB127_747
; %bb.745:
	s_mov_b32 s4, 0
	s_mov_b32 s5, 0x7f800001
	s_branch .LBB127_748
.LBB127_746:
	s_mov_b32 s10, -1
	s_mov_b32 s4, 0
                                        ; implicit-def: $sgpr5
	s_branch .LBB127_749
.LBB127_747:
	s_mov_b32 s4, -1
                                        ; implicit-def: $sgpr5
.LBB127_748:
	s_mov_b32 s10, 0
.LBB127_749:
	v_mov_b32_e32 v0, s5
	s_and_b32 vcc_lo, exec_lo, s10
	s_cbranch_vccz .LBB127_751
; %bb.750:
	v_and_b32_e32 v0, 0xffff, v1
	v_cmp_ne_u16_e64 s4, 0, v1
.LBB127_751:
	s_delay_alu instid0(VALU_DEP_1)
	s_and_not1_b32 vcc_lo, exec_lo, s4
	s_cbranch_vccnz .LBB127_753
; %bb.752:
	v_lshrrev_b16 v0, 2, s6
	s_and_b32 s4, s6, 3
	s_lshl_b32 s12, s6, 24
	s_clz_i32_u32 s5, s4
	s_delay_alu instid0(SALU_CYCLE_1) | instskip(SKIP_4) | instid1(VALU_DEP_1)
	s_min_u32 s5, s5, 32
	v_readfirstlane_b32 s10, v0
	s_sub_i32 s11, s5, 29
	s_sub_i32 s5, 30, s5
	s_lshl_b32 s11, s6, s11
	s_and_b32 s10, s10, 31
	s_and_b32 s11, s11, 3
	s_cmp_eq_u32 s10, 0
	s_cselect_b32 s5, s5, s10
	s_cselect_b32 s4, s11, s4
	s_lshl_b32 s5, s5, 23
	s_and_b32 s10, s12, 0x80000000
	s_add_i32 s5, s5, 0x37800000
	s_lshl_b32 s4, s4, 21
	s_or_b32 s5, s10, s5
	s_delay_alu instid0(SALU_CYCLE_1) | instskip(NEXT) | instid1(SALU_CYCLE_1)
	s_or_b32 s4, s5, s4
	v_mov_b32_e32 v0, s4
.LBB127_753:
	v_mov_b32_e32 v1, 0
	global_store_b64 v[7:8], v[0:1], off
.LBB127_754:
	s_mov_b32 s4, 0
.LBB127_755:
	s_delay_alu instid0(SALU_CYCLE_1)
	s_and_not1_b32 vcc_lo, exec_lo, s4
	s_cbranch_vccnz .LBB127_767
; %bb.756:
	v_and_b32_e64 v0, 0xff, s6
	s_delay_alu instid0(VALU_DEP_1)
	v_cmp_gt_i16_e32 vcc_lo, 0x80, v0
	s_cbranch_vccnz .LBB127_759
; %bb.757:
	v_cmp_eq_u16_e32 vcc_lo, 0x80, v0
	s_cbranch_vccz .LBB127_760
; %bb.758:
	s_mov_b32 s4, 0
	s_movk_i32 s5, 0x7e00
	s_branch .LBB127_761
.LBB127_759:
	s_mov_b32 s10, -1
	s_mov_b32 s4, 0
                                        ; implicit-def: $sgpr5
	s_branch .LBB127_762
.LBB127_760:
	s_mov_b32 s4, -1
                                        ; implicit-def: $sgpr5
.LBB127_761:
	s_mov_b32 s10, 0
.LBB127_762:
	v_mov_b32_e32 v1, s5
	s_and_b32 vcc_lo, exec_lo, s10
	s_cbranch_vccz .LBB127_764
; %bb.763:
	v_and_b32_e32 v1, 0xffff, v0
	v_cmp_ne_u16_e64 s4, 0, v0
.LBB127_764:
	s_delay_alu instid0(VALU_DEP_1)
	s_and_not1_b32 vcc_lo, exec_lo, s4
	s_cbranch_vccnz .LBB127_766
; %bb.765:
	v_lshrrev_b16 v0, 2, s6
	s_and_b32 s4, s6, 3
	s_lshl_b32 s12, s6, 24
	s_clz_i32_u32 s5, s4
	s_delay_alu instid0(SALU_CYCLE_1) | instskip(SKIP_4) | instid1(VALU_DEP_1)
	s_min_u32 s5, s5, 32
	v_readfirstlane_b32 s10, v0
	s_sub_i32 s11, s5, 29
	s_sub_i32 s5, 30, s5
	s_lshl_b32 s11, s6, s11
	s_and_b32 s10, s10, 31
	s_and_b32 s11, s11, 3
	s_cmp_eq_u32 s10, 0
	s_cselect_b32 s5, s5, s10
	s_cselect_b32 s4, s11, s4
	s_lshl_b32 s5, s5, 23
	s_and_b32 s10, s12, 0x80000000
	s_add_i32 s5, s5, 0x37800000
	s_lshl_b32 s4, s4, 21
	s_or_b32 s5, s10, s5
	s_delay_alu instid0(SALU_CYCLE_1) | instskip(NEXT) | instid1(SALU_CYCLE_1)
	s_or_b32 s4, s5, s4
	v_cvt_f16_f32_e32 v0, s4
	s_delay_alu instid0(VALU_DEP_1)
	v_and_b32_e32 v1, 0xffff, v0
.LBB127_766:
	global_store_b32 v[7:8], v1, off
.LBB127_767:
	s_mov_b32 s4, 0
.LBB127_768:
	s_delay_alu instid0(SALU_CYCLE_1)
	s_and_not1_b32 vcc_lo, exec_lo, s4
	s_cbranch_vccnz .LBB127_807
; %bb.769:
	v_cmp_gt_i16_e32 vcc_lo, 6, v9
	s_mov_b32 s4, -1
	s_cbranch_vccnz .LBB127_795
; %bb.770:
	v_cmp_lt_i16_e32 vcc_lo, 6, v9
	s_cbranch_vccz .LBB127_782
; %bb.771:
	v_and_b32_e64 v0, 0xff, s6
	s_delay_alu instid0(VALU_DEP_1)
	v_cmp_gt_i16_e32 vcc_lo, 0x80, v0
	s_cbranch_vccnz .LBB127_774
; %bb.772:
	v_cmp_eq_u16_e32 vcc_lo, 0x80, v0
	s_cbranch_vccz .LBB127_775
; %bb.773:
	s_mov_b32 s10, 0
	s_mov_b32 s5, 0x7ff80000
	s_brev_b32 s4, 4
	s_branch .LBB127_776
.LBB127_774:
	s_mov_b32 s11, -1
	s_mov_b32 s10, 0
                                        ; implicit-def: $sgpr4_sgpr5
	s_branch .LBB127_777
.LBB127_775:
	s_mov_b32 s10, -1
                                        ; implicit-def: $sgpr4_sgpr5
.LBB127_776:
	s_mov_b32 s11, 0
.LBB127_777:
	s_delay_alu instid0(SALU_CYCLE_1)
	s_and_b32 vcc_lo, exec_lo, s11
	s_cbranch_vccz .LBB127_779
; %bb.778:
	v_cmp_ne_u16_e64 s10, 0, v0
	s_mov_b64 s[4:5], 0
.LBB127_779:
	s_delay_alu instid0(SALU_CYCLE_1) | instskip(NEXT) | instid1(VALU_DEP_2)
	v_dual_mov_b32 v0, s4 :: v_dual_mov_b32 v1, s5
	s_and_not1_b32 vcc_lo, exec_lo, s10
	s_cbranch_vccnz .LBB127_781
; %bb.780:
	v_lshrrev_b16 v0, 2, s6
	s_and_b32 s4, s6, 3
	s_lshl_b32 s12, s6, 24
	s_clz_i32_u32 s5, s4
	s_delay_alu instid0(SALU_CYCLE_1) | instskip(SKIP_4) | instid1(VALU_DEP_1)
	s_min_u32 s5, s5, 32
	v_readfirstlane_b32 s10, v0
	s_sub_i32 s11, s5, 29
	s_sub_i32 s5, 30, s5
	s_lshl_b32 s11, s6, s11
	s_and_b32 s10, s10, 31
	s_and_b32 s11, s11, 3
	s_cmp_eq_u32 s10, 0
	s_cselect_b32 s5, s5, s10
	s_cselect_b32 s4, s11, s4
	s_lshl_b32 s5, s5, 23
	s_and_b32 s10, s12, 0x80000000
	s_add_i32 s5, s5, 0x37800000
	s_lshl_b32 s4, s4, 21
	s_or_b32 s5, s10, s5
	s_delay_alu instid0(SALU_CYCLE_1) | instskip(NEXT) | instid1(SALU_CYCLE_1)
	s_or_b32 s4, s5, s4
	v_cvt_f64_f32_e32 v[0:1], s4
.LBB127_781:
	s_mov_b32 s4, 0
	global_store_b64 v[7:8], v[0:1], off
.LBB127_782:
	s_and_b32 vcc_lo, exec_lo, s4
	s_cbranch_vccz .LBB127_794
; %bb.783:
	v_and_b32_e64 v0, 0xff, s6
	s_delay_alu instid0(VALU_DEP_1)
	v_cmp_gt_i16_e32 vcc_lo, 0x80, v0
	s_cbranch_vccnz .LBB127_786
; %bb.784:
	v_cmp_eq_u16_e32 vcc_lo, 0x80, v0
	s_cbranch_vccz .LBB127_787
; %bb.785:
	s_mov_b32 s4, 0
	s_mov_b32 s5, 0x7f800001
	s_branch .LBB127_788
.LBB127_786:
	s_mov_b32 s10, -1
	s_mov_b32 s4, 0
                                        ; implicit-def: $sgpr5
	s_branch .LBB127_789
.LBB127_787:
	s_mov_b32 s4, -1
                                        ; implicit-def: $sgpr5
.LBB127_788:
	s_mov_b32 s10, 0
.LBB127_789:
	v_mov_b32_e32 v1, s5
	s_and_b32 vcc_lo, exec_lo, s10
	s_cbranch_vccz .LBB127_791
; %bb.790:
	v_and_b32_e32 v1, 0xffff, v0
	v_cmp_ne_u16_e64 s4, 0, v0
.LBB127_791:
	s_delay_alu instid0(VALU_DEP_1)
	s_and_not1_b32 vcc_lo, exec_lo, s4
	s_cbranch_vccnz .LBB127_793
; %bb.792:
	v_lshrrev_b16 v0, 2, s6
	s_and_b32 s4, s6, 3
	s_lshl_b32 s12, s6, 24
	s_clz_i32_u32 s5, s4
	s_delay_alu instid0(SALU_CYCLE_1) | instskip(SKIP_4) | instid1(VALU_DEP_1)
	s_min_u32 s5, s5, 32
	v_readfirstlane_b32 s10, v0
	s_sub_i32 s11, s5, 29
	s_sub_i32 s5, 30, s5
	s_lshl_b32 s11, s6, s11
	s_and_b32 s10, s10, 31
	s_and_b32 s11, s11, 3
	s_cmp_eq_u32 s10, 0
	s_cselect_b32 s5, s5, s10
	s_cselect_b32 s4, s11, s4
	s_lshl_b32 s5, s5, 23
	s_and_b32 s10, s12, 0x80000000
	s_add_i32 s5, s5, 0x37800000
	s_lshl_b32 s4, s4, 21
	s_or_b32 s5, s10, s5
	s_delay_alu instid0(SALU_CYCLE_1) | instskip(NEXT) | instid1(SALU_CYCLE_1)
	s_or_b32 s4, s5, s4
	v_mov_b32_e32 v1, s4
.LBB127_793:
	global_store_b32 v[7:8], v1, off
.LBB127_794:
	s_mov_b32 s4, 0
.LBB127_795:
	s_delay_alu instid0(SALU_CYCLE_1)
	s_and_not1_b32 vcc_lo, exec_lo, s4
	s_cbranch_vccnz .LBB127_807
; %bb.796:
	v_and_b32_e64 v0, 0xff, s6
	s_delay_alu instid0(VALU_DEP_1)
	v_cmp_gt_i16_e32 vcc_lo, 0x80, v0
	s_cbranch_vccnz .LBB127_799
; %bb.797:
	v_cmp_eq_u16_e32 vcc_lo, 0x80, v0
	s_cbranch_vccz .LBB127_800
; %bb.798:
	s_mov_b32 s4, 0
	s_movk_i32 s5, 0x7e00
	s_branch .LBB127_801
.LBB127_799:
	s_mov_b32 s10, -1
	s_mov_b32 s4, 0
                                        ; implicit-def: $sgpr5
	s_branch .LBB127_802
.LBB127_800:
	s_mov_b32 s4, -1
                                        ; implicit-def: $sgpr5
.LBB127_801:
	s_mov_b32 s10, 0
.LBB127_802:
	v_mov_b32_e32 v1, s5
	s_and_b32 vcc_lo, exec_lo, s10
	s_cbranch_vccz .LBB127_804
; %bb.803:
	v_cmp_ne_u16_e64 s4, 0, v0
	v_mov_b32_e32 v1, v0
.LBB127_804:
	s_delay_alu instid0(VALU_DEP_2)
	s_and_not1_b32 vcc_lo, exec_lo, s4
	s_cbranch_vccnz .LBB127_806
; %bb.805:
	v_lshrrev_b16 v0, 2, s6
	s_and_b32 s4, s6, 3
	s_lshl_b32 s12, s6, 24
	s_clz_i32_u32 s5, s4
	s_delay_alu instid0(SALU_CYCLE_1) | instskip(SKIP_4) | instid1(VALU_DEP_1)
	s_min_u32 s5, s5, 32
	v_readfirstlane_b32 s10, v0
	s_sub_i32 s11, s5, 29
	s_sub_i32 s5, 30, s5
	s_lshl_b32 s11, s6, s11
	s_and_b32 s10, s10, 31
	s_and_b32 s11, s11, 3
	s_cmp_eq_u32 s10, 0
	s_cselect_b32 s5, s5, s10
	s_cselect_b32 s4, s11, s4
	s_lshl_b32 s5, s5, 23
	s_and_b32 s10, s12, 0x80000000
	s_add_i32 s5, s5, 0x37800000
	s_lshl_b32 s4, s4, 21
	s_or_b32 s5, s10, s5
	s_delay_alu instid0(SALU_CYCLE_1) | instskip(NEXT) | instid1(SALU_CYCLE_1)
	s_or_b32 s4, s5, s4
	v_cvt_f16_f32_e32 v1, s4
.LBB127_806:
	global_store_b16 v[7:8], v1, off
.LBB127_807:
	s_mov_b32 s4, 0
.LBB127_808:
	s_delay_alu instid0(SALU_CYCLE_1)
	s_and_not1_b32 vcc_lo, exec_lo, s4
	s_cbranch_vccnz .LBB127_859
; %bb.809:
	v_cmp_gt_i16_e32 vcc_lo, 2, v9
	s_mov_b32 s4, -1
	s_cbranch_vccnz .LBB127_840
; %bb.810:
	v_cmp_gt_i16_e32 vcc_lo, 3, v9
	s_cbranch_vccnz .LBB127_830
; %bb.811:
	v_cmp_lt_i16_e32 vcc_lo, 3, v9
	s_cbranch_vccz .LBB127_820
; %bb.812:
	v_and_b32_e64 v0, 0xff, s6
	s_delay_alu instid0(VALU_DEP_1)
	v_cmp_gt_i16_e32 vcc_lo, 0x80, v0
	s_cbranch_vccnz .LBB127_814
; %bb.813:
	v_cmp_ne_u16_e64 s10, 0x80, v0
	s_mov_b32 s11, 0
	s_mov_b64 s[4:5], 0
	s_branch .LBB127_815
.LBB127_814:
	s_mov_b32 s11, -1
	s_mov_b32 s10, 0
                                        ; implicit-def: $sgpr4_sgpr5
.LBB127_815:
	s_and_not1_b32 vcc_lo, exec_lo, s11
	s_cbranch_vccnz .LBB127_817
; %bb.816:
	v_cmp_ne_u16_e64 s10, 0, v0
	s_mov_b64 s[4:5], 0
.LBB127_817:
	s_delay_alu instid0(SALU_CYCLE_1) | instskip(NEXT) | instid1(VALU_DEP_2)
	v_dual_mov_b32 v0, s4 :: v_dual_mov_b32 v1, s5
	s_and_not1_b32 vcc_lo, exec_lo, s10
	s_cbranch_vccnz .LBB127_819
; %bb.818:
	v_lshrrev_b16 v0, 2, s6
	s_and_b32 s4, s6, 3
	s_lshl_b32 s11, s6, 24
	s_clz_i32_u32 s5, s4
	s_delay_alu instid0(SALU_CYCLE_1) | instskip(SKIP_4) | instid1(VALU_DEP_1)
	s_min_u32 s5, s5, 32
	v_readfirstlane_b32 s10, v0
	s_sub_i32 s12, s5, 29
	s_sub_i32 s5, 30, s5
	s_lshl_b32 s12, s6, s12
	s_and_b32 s10, s10, 31
	s_and_b32 s12, s12, 3
	s_cmp_eq_u32 s10, 0
	s_cselect_b32 s5, s5, s10
	s_cselect_b32 s4, s12, s4
	s_lshl_b32 s5, s5, 23
	s_and_b32 s10, s11, 0x80000000
	s_add_i32 s5, s5, 0x37800000
	s_lshl_b32 s4, s4, 21
	s_or_b32 s5, s10, s5
	s_delay_alu instid0(SALU_CYCLE_1) | instskip(NEXT) | instid1(SALU_CYCLE_1)
	s_or_b32 s4, s5, s4
	v_trunc_f32_e32 v0, s4
	s_delay_alu instid0(VALU_DEP_1) | instskip(SKIP_1) | instid1(VALU_DEP_2)
	v_mul_f32_e64 v1, 0x2f800000, |v0|
	v_ashrrev_i32_e32 v3, 31, v0
	v_floor_f32_e32 v1, v1
	s_delay_alu instid0(VALU_DEP_1) | instskip(SKIP_1) | instid1(VALU_DEP_2)
	v_fma_f32 v2, 0xcf800000, v1, |v0|
	v_cvt_u32_f32_e32 v1, v1
	v_cvt_u32_f32_e32 v0, v2
	s_delay_alu instid0(VALU_DEP_2) | instskip(NEXT) | instid1(VALU_DEP_2)
	v_xor_b32_e32 v1, v1, v3
	v_xor_b32_e32 v0, v0, v3
	s_delay_alu instid0(VALU_DEP_1) | instskip(NEXT) | instid1(VALU_DEP_3)
	v_sub_co_u32 v0, vcc_lo, v0, v3
	v_sub_co_ci_u32_e32 v1, vcc_lo, v1, v3, vcc_lo
.LBB127_819:
	s_mov_b32 s4, 0
	global_store_b64 v[7:8], v[0:1], off
.LBB127_820:
	s_and_b32 vcc_lo, exec_lo, s4
	s_cbranch_vccz .LBB127_829
; %bb.821:
	v_and_b32_e64 v0, 0xff, s6
	s_delay_alu instid0(VALU_DEP_1)
	v_cmp_gt_i16_e32 vcc_lo, 0x80, v0
	s_cbranch_vccnz .LBB127_823
; %bb.822:
	v_cmp_ne_u16_e64 s4, 0x80, v0
	s_mov_b32 s10, 0
	s_mov_b32 s5, 0
	s_branch .LBB127_824
.LBB127_823:
	s_mov_b32 s10, -1
	s_mov_b32 s4, 0
                                        ; implicit-def: $sgpr5
.LBB127_824:
	s_and_not1_b32 vcc_lo, exec_lo, s10
	s_cbranch_vccnz .LBB127_826
; %bb.825:
	v_cmp_ne_u16_e64 s4, 0, v0
	s_mov_b32 s5, 0
.LBB127_826:
	s_delay_alu instid0(SALU_CYCLE_1) | instskip(NEXT) | instid1(VALU_DEP_2)
	v_mov_b32_e32 v0, s5
	s_and_not1_b32 vcc_lo, exec_lo, s4
	s_cbranch_vccnz .LBB127_828
; %bb.827:
	v_lshrrev_b16 v0, 2, s6
	s_and_b32 s4, s6, 3
	s_lshl_b32 s12, s6, 24
	s_clz_i32_u32 s5, s4
	s_delay_alu instid0(SALU_CYCLE_1) | instskip(SKIP_4) | instid1(VALU_DEP_1)
	s_min_u32 s5, s5, 32
	v_readfirstlane_b32 s10, v0
	s_sub_i32 s11, s5, 29
	s_sub_i32 s5, 30, s5
	s_lshl_b32 s11, s6, s11
	s_and_b32 s10, s10, 31
	s_and_b32 s11, s11, 3
	s_cmp_eq_u32 s10, 0
	s_cselect_b32 s5, s5, s10
	s_cselect_b32 s4, s11, s4
	s_lshl_b32 s5, s5, 23
	s_and_b32 s10, s12, 0x80000000
	s_add_i32 s5, s5, 0x37800000
	s_lshl_b32 s4, s4, 21
	s_or_b32 s5, s10, s5
	s_delay_alu instid0(SALU_CYCLE_1) | instskip(NEXT) | instid1(SALU_CYCLE_1)
	s_or_b32 s4, s5, s4
	v_cvt_i32_f32_e32 v0, s4
.LBB127_828:
	global_store_b32 v[7:8], v0, off
.LBB127_829:
	s_mov_b32 s4, 0
.LBB127_830:
	s_delay_alu instid0(SALU_CYCLE_1)
	s_and_not1_b32 vcc_lo, exec_lo, s4
	s_cbranch_vccnz .LBB127_839
; %bb.831:
	v_and_b32_e64 v0, 0xff, s6
	s_delay_alu instid0(VALU_DEP_1)
	v_cmp_gt_i16_e32 vcc_lo, 0x80, v0
	s_cbranch_vccnz .LBB127_833
; %bb.832:
	v_cmp_ne_u16_e64 s4, 0x80, v0
	s_mov_b32 s10, 0
	s_mov_b32 s5, 0
	s_branch .LBB127_834
.LBB127_833:
	s_mov_b32 s10, -1
	s_mov_b32 s4, 0
                                        ; implicit-def: $sgpr5
.LBB127_834:
	s_and_not1_b32 vcc_lo, exec_lo, s10
	s_cbranch_vccnz .LBB127_836
; %bb.835:
	v_cmp_ne_u16_e64 s4, 0, v0
	s_mov_b32 s5, 0
.LBB127_836:
	s_delay_alu instid0(SALU_CYCLE_1) | instskip(NEXT) | instid1(VALU_DEP_2)
	v_mov_b32_e32 v0, s5
	s_and_not1_b32 vcc_lo, exec_lo, s4
	s_cbranch_vccnz .LBB127_838
; %bb.837:
	v_lshrrev_b16 v0, 2, s6
	s_and_b32 s4, s6, 3
	s_lshl_b32 s12, s6, 24
	s_clz_i32_u32 s5, s4
	s_delay_alu instid0(SALU_CYCLE_1) | instskip(SKIP_4) | instid1(VALU_DEP_1)
	s_min_u32 s5, s5, 32
	v_readfirstlane_b32 s10, v0
	s_sub_i32 s11, s5, 29
	s_sub_i32 s5, 30, s5
	s_lshl_b32 s11, s6, s11
	s_and_b32 s10, s10, 31
	s_and_b32 s11, s11, 3
	s_cmp_eq_u32 s10, 0
	s_cselect_b32 s5, s5, s10
	s_cselect_b32 s4, s11, s4
	s_lshl_b32 s5, s5, 23
	s_and_b32 s10, s12, 0x80000000
	s_add_i32 s5, s5, 0x37800000
	s_lshl_b32 s4, s4, 21
	s_or_b32 s5, s10, s5
	s_delay_alu instid0(SALU_CYCLE_1) | instskip(NEXT) | instid1(SALU_CYCLE_1)
	s_or_b32 s4, s5, s4
	v_cvt_i32_f32_e32 v0, s4
.LBB127_838:
	global_store_b16 v[7:8], v0, off
.LBB127_839:
	s_mov_b32 s4, 0
.LBB127_840:
	s_delay_alu instid0(SALU_CYCLE_1)
	s_and_not1_b32 vcc_lo, exec_lo, s4
	s_cbranch_vccnz .LBB127_859
; %bb.841:
	v_cmp_lt_i16_e32 vcc_lo, 0, v9
	s_mov_b32 s4, 0
	s_mov_b32 s5, -1
	s_cbranch_vccz .LBB127_850
; %bb.842:
	v_and_b32_e64 v0, 0xff, s6
	s_delay_alu instid0(VALU_DEP_1)
	v_cmp_gt_i16_e32 vcc_lo, 0x80, v0
	s_cbranch_vccnz .LBB127_844
; %bb.843:
	v_cmp_ne_u16_e64 s4, 0x80, v0
	s_mov_b32 s10, 0
	s_mov_b32 s5, 0
	s_branch .LBB127_845
.LBB127_844:
	s_mov_b32 s10, -1
                                        ; implicit-def: $sgpr5
.LBB127_845:
	s_delay_alu instid0(SALU_CYCLE_1)
	s_and_not1_b32 vcc_lo, exec_lo, s10
	s_cbranch_vccnz .LBB127_847
; %bb.846:
	v_cmp_ne_u16_e64 s4, 0, v0
	s_mov_b32 s5, 0
.LBB127_847:
	s_delay_alu instid0(SALU_CYCLE_1) | instskip(NEXT) | instid1(VALU_DEP_2)
	v_mov_b32_e32 v0, s5
	s_and_not1_b32 vcc_lo, exec_lo, s4
	s_cbranch_vccnz .LBB127_849
; %bb.848:
	v_lshrrev_b16 v0, 2, s6
	s_and_b32 s4, s6, 3
	s_lshl_b32 s12, s6, 24
	s_clz_i32_u32 s5, s4
	s_delay_alu instid0(SALU_CYCLE_1) | instskip(SKIP_4) | instid1(VALU_DEP_1)
	s_min_u32 s5, s5, 32
	v_readfirstlane_b32 s10, v0
	s_sub_i32 s11, s5, 29
	s_sub_i32 s5, 30, s5
	s_lshl_b32 s11, s6, s11
	s_and_b32 s10, s10, 31
	s_and_b32 s11, s11, 3
	s_cmp_eq_u32 s10, 0
	s_cselect_b32 s5, s5, s10
	s_cselect_b32 s4, s11, s4
	s_lshl_b32 s5, s5, 23
	s_and_b32 s10, s12, 0x80000000
	s_add_i32 s5, s5, 0x37800000
	s_lshl_b32 s4, s4, 21
	s_or_b32 s5, s10, s5
	s_delay_alu instid0(SALU_CYCLE_1) | instskip(NEXT) | instid1(SALU_CYCLE_1)
	s_or_b32 s4, s5, s4
	v_cvt_i32_f32_e32 v0, s4
.LBB127_849:
	s_mov_b32 s5, 0
	global_store_b8 v[7:8], v0, off
.LBB127_850:
	s_and_b32 vcc_lo, exec_lo, s5
	s_cbranch_vccz .LBB127_859
; %bb.851:
	v_and_b32_e64 v0, 0xff, s6
	s_delay_alu instid0(VALU_DEP_1)
	v_cmp_gt_i16_e32 vcc_lo, 0x80, v0
	s_cbranch_vccnz .LBB127_853
; %bb.852:
	v_cmp_ne_u16_e64 s4, 0x80, v0
	s_mov_b32 s10, 0
	s_mov_b32 s5, 0
	s_branch .LBB127_854
.LBB127_853:
	s_mov_b32 s10, -1
	s_mov_b32 s4, 0
                                        ; implicit-def: $sgpr5
.LBB127_854:
	s_and_not1_b32 vcc_lo, exec_lo, s10
	s_cbranch_vccnz .LBB127_856
; %bb.855:
	v_cmp_ne_u16_e64 s4, 0, v0
	s_mov_b32 s5, 0
.LBB127_856:
	s_delay_alu instid0(SALU_CYCLE_1) | instskip(NEXT) | instid1(VALU_DEP_2)
	v_mov_b32_e32 v0, s5
	s_and_not1_b32 vcc_lo, exec_lo, s4
	s_cbranch_vccnz .LBB127_858
; %bb.857:
	v_lshrrev_b16 v0, 2, s6
	s_and_b32 s4, s6, 3
	s_lshl_b32 s11, s6, 24
	s_clz_i32_u32 s5, s4
	s_delay_alu instid0(SALU_CYCLE_1) | instskip(SKIP_4) | instid1(VALU_DEP_1)
	s_min_u32 s5, s5, 32
	v_readfirstlane_b32 s10, v0
	s_sub_i32 s12, s5, 29
	s_sub_i32 s5, 30, s5
	s_lshl_b32 s12, s6, s12
	s_and_b32 s10, s10, 31
	s_and_b32 s12, s12, 3
	s_cmp_eq_u32 s10, 0
	s_cselect_b32 s5, s5, s10
	s_cselect_b32 s4, s12, s4
	s_lshl_b32 s5, s5, 23
	s_and_b32 s10, s11, 0x80000000
	s_add_i32 s5, s5, 0x37800000
	s_lshl_b32 s4, s4, 21
	s_or_b32 s5, s10, s5
	s_delay_alu instid0(SALU_CYCLE_1) | instskip(NEXT) | instid1(SALU_CYCLE_1)
	s_or_b32 s4, s5, s4
	v_trunc_f32_e32 v0, s4
	s_delay_alu instid0(VALU_DEP_1) | instskip(NEXT) | instid1(VALU_DEP_1)
	v_mul_f32_e64 v1, 0x2f800000, |v0|
	v_floor_f32_e32 v1, v1
	s_delay_alu instid0(VALU_DEP_1) | instskip(SKIP_1) | instid1(VALU_DEP_2)
	v_fma_f32 v1, 0xcf800000, v1, |v0|
	v_ashrrev_i32_e32 v0, 31, v0
	v_cvt_u32_f32_e32 v1, v1
	s_delay_alu instid0(VALU_DEP_1) | instskip(NEXT) | instid1(VALU_DEP_1)
	v_xor_b32_e32 v1, v1, v0
	v_sub_nc_u32_e32 v0, v1, v0
.LBB127_858:
	global_store_b8 v[7:8], v0, off
.LBB127_859:
	s_mov_b32 s5, -1
.LBB127_860:
	s_delay_alu instid0(SALU_CYCLE_1)
	s_and_not1_b32 vcc_lo, exec_lo, s5
	s_cbranch_vccnz .LBB127_1938
; %bb.861:
	v_cmp_gt_i16_e32 vcc_lo, 11, v9
	v_add_co_u32 v6, s4, s2, v6
	s_delay_alu instid0(VALU_DEP_1)
	v_add_co_ci_u32_e64 v7, null, s3, 0, s4
	s_mov_b32 s5, 0
	s_mov_b32 s4, -1
	s_cbranch_vccnz .LBB127_1157
; %bb.862:
	v_cmp_lt_i16_e32 vcc_lo, 25, v9
	s_mov_b32 s11, -1
	s_mov_b32 s10, 0
	s_mov_b32 s4, 0
	s_cbranch_vccz .LBB127_1075
; %bb.863:
	v_cmp_lt_i16_e32 vcc_lo, 28, v9
	s_cbranch_vccz .LBB127_1032
; %bb.864:
	v_cmp_lt_i16_e32 vcc_lo, 43, v9
	;; [unrolled: 3-line block ×3, first 2 shown]
	s_cbranch_vccz .LBB127_1005
; %bb.866:
	v_cmp_eq_u16_e32 vcc_lo, 46, v9
	s_mov_b32 s4, -1
	s_mov_b32 s11, 0
	s_cbranch_vccz .LBB127_1005
; %bb.867:
	v_and_b32_e64 v0, 0xff, s6
	s_delay_alu instid0(VALU_DEP_1)
	v_cmp_gt_i16_e32 vcc_lo, 0x80, v0
	s_cbranch_vccnz .LBB127_870
; %bb.868:
	v_cmp_eq_u16_e32 vcc_lo, 0x80, v0
	s_cbranch_vccz .LBB127_998
; %bb.869:
	s_mov_b32 s4, 0x7f800001
	s_branch .LBB127_999
.LBB127_870:
	s_mov_b32 s12, -1
                                        ; implicit-def: $sgpr4
	s_branch .LBB127_1000
.LBB127_871:
	s_mov_b32 s19, -1
	s_mov_b32 s18, 0
                                        ; implicit-def: $sgpr16
	s_branch .LBB127_1308
.LBB127_872:
	s_mov_b32 s19, -1
                                        ; implicit-def: $sgpr16_sgpr17
.LBB127_873:
	s_mov_b32 s36, 0
.LBB127_874:
	s_delay_alu instid0(SALU_CYCLE_1)
	s_and_b32 vcc_lo, exec_lo, s36
	s_cbranch_vccz .LBB127_876
; %bb.875:
	v_cmp_ne_u16_e64 s19, 0, v0
	s_mov_b64 s[16:17], 0
.LBB127_876:
	s_delay_alu instid0(SALU_CYCLE_1) | instskip(NEXT) | instid1(VALU_DEP_2)
	v_dual_mov_b32 v0, s16 :: v_dual_mov_b32 v1, s17
	s_and_not1_b32 vcc_lo, exec_lo, s19
	s_cbranch_vccnz .LBB127_878
; %bb.877:
	v_dual_mov_b32 v0, v6 :: v_dual_mov_b32 v1, v7
.LBB127_878:
	v_mov_b32_e32 v2, 0
	s_mov_b32 s16, 0
	s_delay_alu instid0(VALU_DEP_1)
	v_mov_b32_e32 v3, v2
	global_store_b128 v[10:11], v[0:3], off
.LBB127_879:
	s_and_b32 vcc_lo, exec_lo, s16
	s_cbranch_vccz .LBB127_891
; %bb.880:
	v_and_b32_e64 v1, 0xff, s25
	s_delay_alu instid0(VALU_DEP_1)
	v_cmp_gt_i16_e32 vcc_lo, 0x80, v1
	s_cbranch_vccnz .LBB127_883
; %bb.881:
	v_cmp_eq_u16_e32 vcc_lo, 0x80, v1
	s_cbranch_vccz .LBB127_884
; %bb.882:
	s_mov_b32 s16, 0
	s_mov_b32 s17, 0x7f800001
	s_branch .LBB127_885
.LBB127_883:
	s_mov_b32 s19, -1
	s_mov_b32 s16, 0
                                        ; implicit-def: $sgpr17
	s_branch .LBB127_886
.LBB127_884:
	s_mov_b32 s16, -1
                                        ; implicit-def: $sgpr17
.LBB127_885:
	s_mov_b32 s19, 0
.LBB127_886:
	v_mov_b32_e32 v0, s17
	s_and_b32 vcc_lo, exec_lo, s19
	s_cbranch_vccz .LBB127_888
; %bb.887:
	v_and_b32_e32 v0, 0xffff, v1
	v_cmp_ne_u16_e64 s16, 0, v1
.LBB127_888:
	s_delay_alu instid0(VALU_DEP_1)
	s_and_not1_b32 vcc_lo, exec_lo, s16
	s_cbranch_vccnz .LBB127_890
; %bb.889:
	v_mov_b32_e32 v0, s26
.LBB127_890:
	v_mov_b32_e32 v1, 0
	global_store_b64 v[10:11], v[0:1], off
.LBB127_891:
	s_mov_b32 s16, 0
.LBB127_892:
	s_delay_alu instid0(SALU_CYCLE_1)
	s_and_not1_b32 vcc_lo, exec_lo, s16
	s_cbranch_vccnz .LBB127_904
; %bb.893:
	v_and_b32_e64 v0, 0xff, s25
	s_delay_alu instid0(VALU_DEP_1)
	v_cmp_gt_i16_e32 vcc_lo, 0x80, v0
	s_cbranch_vccnz .LBB127_896
; %bb.894:
	v_cmp_eq_u16_e32 vcc_lo, 0x80, v0
	s_cbranch_vccz .LBB127_897
; %bb.895:
	s_mov_b32 s16, 0
	s_movk_i32 s17, 0x7e00
	s_branch .LBB127_898
.LBB127_896:
	s_mov_b32 s19, -1
	s_mov_b32 s16, 0
                                        ; implicit-def: $sgpr17
	s_branch .LBB127_899
.LBB127_897:
	s_mov_b32 s16, -1
                                        ; implicit-def: $sgpr17
.LBB127_898:
	s_mov_b32 s19, 0
.LBB127_899:
	v_mov_b32_e32 v1, s17
	s_and_b32 vcc_lo, exec_lo, s19
	s_cbranch_vccz .LBB127_901
; %bb.900:
	v_and_b32_e32 v1, 0xffff, v0
	v_cmp_ne_u16_e64 s16, 0, v0
.LBB127_901:
	s_delay_alu instid0(VALU_DEP_1)
	s_and_not1_b32 vcc_lo, exec_lo, s16
	s_cbranch_vccnz .LBB127_903
; %bb.902:
	v_mov_b32_e32 v1, v15
.LBB127_903:
	global_store_b32 v[10:11], v1, off
.LBB127_904:
	s_mov_b32 s16, 0
.LBB127_905:
	s_delay_alu instid0(SALU_CYCLE_1)
	s_and_not1_b32 vcc_lo, exec_lo, s16
	s_cbranch_vccnz .LBB127_944
; %bb.906:
	v_cmp_gt_i16_e32 vcc_lo, 6, v13
	s_mov_b32 s16, -1
	s_cbranch_vccnz .LBB127_932
; %bb.907:
	v_cmp_lt_i16_e32 vcc_lo, 6, v13
	s_cbranch_vccz .LBB127_919
; %bb.908:
	v_and_b32_e64 v0, 0xff, s25
	s_delay_alu instid0(VALU_DEP_1)
	v_cmp_gt_i16_e32 vcc_lo, 0x80, v0
	s_cbranch_vccnz .LBB127_911
; %bb.909:
	v_cmp_eq_u16_e32 vcc_lo, 0x80, v0
	s_cbranch_vccz .LBB127_912
; %bb.910:
	s_mov_b32 s19, 0
	s_mov_b32 s17, 0x7ff80000
	s_brev_b32 s16, 4
	s_branch .LBB127_913
.LBB127_911:
	s_mov_b32 s36, -1
	s_mov_b32 s19, 0
                                        ; implicit-def: $sgpr16_sgpr17
	s_branch .LBB127_914
.LBB127_912:
	s_mov_b32 s19, -1
                                        ; implicit-def: $sgpr16_sgpr17
.LBB127_913:
	s_mov_b32 s36, 0
.LBB127_914:
	s_delay_alu instid0(SALU_CYCLE_1)
	s_and_b32 vcc_lo, exec_lo, s36
	s_cbranch_vccz .LBB127_916
; %bb.915:
	v_cmp_ne_u16_e64 s19, 0, v0
	s_mov_b64 s[16:17], 0
.LBB127_916:
	s_delay_alu instid0(SALU_CYCLE_1) | instskip(NEXT) | instid1(VALU_DEP_2)
	v_dual_mov_b32 v0, s16 :: v_dual_mov_b32 v1, s17
	s_and_not1_b32 vcc_lo, exec_lo, s19
	s_cbranch_vccnz .LBB127_918
; %bb.917:
	v_dual_mov_b32 v0, v6 :: v_dual_mov_b32 v1, v7
.LBB127_918:
	s_mov_b32 s16, 0
	global_store_b64 v[10:11], v[0:1], off
.LBB127_919:
	s_and_b32 vcc_lo, exec_lo, s16
	s_cbranch_vccz .LBB127_931
; %bb.920:
	v_and_b32_e64 v0, 0xff, s25
	s_delay_alu instid0(VALU_DEP_1)
	v_cmp_gt_i16_e32 vcc_lo, 0x80, v0
	s_cbranch_vccnz .LBB127_923
; %bb.921:
	v_cmp_eq_u16_e32 vcc_lo, 0x80, v0
	s_cbranch_vccz .LBB127_924
; %bb.922:
	s_mov_b32 s17, 0
	s_mov_b32 s16, 0x7f800001
	s_branch .LBB127_925
.LBB127_923:
	s_mov_b32 s19, -1
	s_mov_b32 s17, 0
                                        ; implicit-def: $sgpr16
	s_branch .LBB127_926
.LBB127_924:
	s_mov_b32 s17, -1
                                        ; implicit-def: $sgpr16
.LBB127_925:
	s_mov_b32 s19, 0
.LBB127_926:
	s_delay_alu instid0(SALU_CYCLE_1)
	s_and_b32 vcc_lo, exec_lo, s19
	s_cbranch_vccz .LBB127_928
; %bb.927:
	v_cmp_ne_u16_e64 s17, 0, v0
	s_mov_b32 s16, 0
.LBB127_928:
	s_delay_alu instid0(VALU_DEP_1)
	s_and_not1_b32 vcc_lo, exec_lo, s17
	s_cbranch_vccnz .LBB127_930
; %bb.929:
	s_mov_b32 s16, s26
.LBB127_930:
	s_delay_alu instid0(SALU_CYCLE_1)
	v_mov_b32_e32 v0, s16
	global_store_b32 v[10:11], v0, off
.LBB127_931:
	s_mov_b32 s16, 0
.LBB127_932:
	s_delay_alu instid0(SALU_CYCLE_1)
	s_and_not1_b32 vcc_lo, exec_lo, s16
	s_cbranch_vccnz .LBB127_944
; %bb.933:
	v_and_b32_e64 v0, 0xff, s25
	s_delay_alu instid0(VALU_DEP_1)
	v_cmp_gt_i16_e32 vcc_lo, 0x80, v0
	s_cbranch_vccnz .LBB127_936
; %bb.934:
	v_cmp_eq_u16_e32 vcc_lo, 0x80, v0
	s_cbranch_vccz .LBB127_937
; %bb.935:
	s_mov_b32 s16, 0
	s_movk_i32 s17, 0x7e00
	s_branch .LBB127_938
.LBB127_936:
	s_mov_b32 s19, -1
	s_mov_b32 s16, 0
                                        ; implicit-def: $sgpr17
	s_branch .LBB127_939
.LBB127_937:
	s_mov_b32 s16, -1
                                        ; implicit-def: $sgpr17
.LBB127_938:
	s_mov_b32 s19, 0
.LBB127_939:
	v_mov_b32_e32 v1, s17
	s_and_b32 vcc_lo, exec_lo, s19
	s_cbranch_vccz .LBB127_941
; %bb.940:
	v_cmp_ne_u16_e64 s16, 0, v0
	v_mov_b32_e32 v1, v0
.LBB127_941:
	s_delay_alu instid0(VALU_DEP_2)
	s_and_not1_b32 vcc_lo, exec_lo, s16
	s_cbranch_vccnz .LBB127_943
; %bb.942:
	v_mov_b32_e32 v1, v14
.LBB127_943:
	global_store_b16 v[10:11], v1, off
.LBB127_944:
	s_mov_b32 s16, 0
.LBB127_945:
	s_delay_alu instid0(SALU_CYCLE_1)
	s_and_not1_b32 vcc_lo, exec_lo, s16
	s_cbranch_vccnz .LBB127_996
; %bb.946:
	v_cmp_gt_i16_e32 vcc_lo, 2, v13
	s_mov_b32 s16, -1
	s_cbranch_vccnz .LBB127_977
; %bb.947:
	v_cmp_gt_i16_e32 vcc_lo, 3, v13
	s_cbranch_vccnz .LBB127_967
; %bb.948:
	v_cmp_lt_i16_e32 vcc_lo, 3, v13
	s_cbranch_vccz .LBB127_957
; %bb.949:
	v_and_b32_e64 v0, 0xff, s25
	s_delay_alu instid0(VALU_DEP_1)
	v_cmp_gt_i16_e32 vcc_lo, 0x80, v0
	s_cbranch_vccnz .LBB127_951
; %bb.950:
	v_cmp_ne_u16_e64 s19, 0x80, v0
	s_mov_b32 s36, 0
	s_mov_b64 s[16:17], 0
	s_branch .LBB127_952
.LBB127_951:
	s_mov_b32 s36, -1
	s_mov_b32 s19, 0
                                        ; implicit-def: $sgpr16_sgpr17
.LBB127_952:
	s_and_not1_b32 vcc_lo, exec_lo, s36
	s_cbranch_vccnz .LBB127_954
; %bb.953:
	v_cmp_ne_u16_e64 s19, 0, v0
	s_mov_b64 s[16:17], 0
.LBB127_954:
	s_delay_alu instid0(SALU_CYCLE_1) | instskip(NEXT) | instid1(VALU_DEP_2)
	v_dual_mov_b32 v0, s16 :: v_dual_mov_b32 v1, s17
	s_and_not1_b32 vcc_lo, exec_lo, s19
	s_cbranch_vccnz .LBB127_956
; %bb.955:
	v_dual_mov_b32 v0, v4 :: v_dual_mov_b32 v1, v5
.LBB127_956:
	s_mov_b32 s16, 0
	global_store_b64 v[10:11], v[0:1], off
.LBB127_957:
	s_and_b32 vcc_lo, exec_lo, s16
	s_cbranch_vccz .LBB127_966
; %bb.958:
	v_and_b32_e64 v0, 0xff, s25
	s_delay_alu instid0(VALU_DEP_1)
	v_cmp_gt_i16_e32 vcc_lo, 0x80, v0
	s_cbranch_vccnz .LBB127_960
; %bb.959:
	v_cmp_ne_u16_e64 s16, 0x80, v0
	s_mov_b32 s19, 0
	s_mov_b32 s17, 0
	s_branch .LBB127_961
.LBB127_960:
	s_mov_b32 s19, -1
	s_mov_b32 s16, 0
                                        ; implicit-def: $sgpr17
.LBB127_961:
	s_and_not1_b32 vcc_lo, exec_lo, s19
	s_cbranch_vccnz .LBB127_963
; %bb.962:
	v_cmp_ne_u16_e64 s16, 0, v0
	s_mov_b32 s17, 0
.LBB127_963:
	s_delay_alu instid0(SALU_CYCLE_1) | instskip(NEXT) | instid1(VALU_DEP_2)
	v_mov_b32_e32 v0, s17
	s_and_not1_b32 vcc_lo, exec_lo, s16
	s_cbranch_vccnz .LBB127_965
; %bb.964:
	v_mov_b32_e32 v0, v12
.LBB127_965:
	global_store_b32 v[10:11], v0, off
.LBB127_966:
	s_mov_b32 s16, 0
.LBB127_967:
	s_delay_alu instid0(SALU_CYCLE_1)
	s_and_not1_b32 vcc_lo, exec_lo, s16
	s_cbranch_vccnz .LBB127_976
; %bb.968:
	v_and_b32_e64 v0, 0xff, s25
	s_delay_alu instid0(VALU_DEP_1)
	v_cmp_gt_i16_e32 vcc_lo, 0x80, v0
	s_cbranch_vccnz .LBB127_970
; %bb.969:
	v_cmp_ne_u16_e64 s16, 0x80, v0
	s_mov_b32 s19, 0
	s_mov_b32 s17, 0
	s_branch .LBB127_971
.LBB127_970:
	s_mov_b32 s19, -1
	s_mov_b32 s16, 0
                                        ; implicit-def: $sgpr17
.LBB127_971:
	s_and_not1_b32 vcc_lo, exec_lo, s19
	s_cbranch_vccnz .LBB127_973
; %bb.972:
	v_cmp_ne_u16_e64 s16, 0, v0
	s_mov_b32 s17, 0
.LBB127_973:
	s_delay_alu instid0(SALU_CYCLE_1) | instskip(NEXT) | instid1(VALU_DEP_2)
	v_mov_b32_e32 v0, s17
	s_and_not1_b32 vcc_lo, exec_lo, s16
	s_cbranch_vccnz .LBB127_975
; %bb.974:
	v_mov_b32_e32 v0, v12
.LBB127_975:
	global_store_b16 v[10:11], v0, off
.LBB127_976:
	s_mov_b32 s16, 0
.LBB127_977:
	s_delay_alu instid0(SALU_CYCLE_1)
	s_and_not1_b32 vcc_lo, exec_lo, s16
	s_cbranch_vccnz .LBB127_996
; %bb.978:
	v_cmp_lt_i16_e32 vcc_lo, 0, v13
	s_mov_b32 s16, 0
	s_mov_b32 s17, -1
	s_cbranch_vccz .LBB127_987
; %bb.979:
	v_and_b32_e64 v0, 0xff, s25
	s_delay_alu instid0(VALU_DEP_1)
	v_cmp_gt_i16_e32 vcc_lo, 0x80, v0
	s_cbranch_vccnz .LBB127_981
; %bb.980:
	v_cmp_ne_u16_e64 s16, 0x80, v0
	s_mov_b32 s19, 0
	s_mov_b32 s17, 0
	s_branch .LBB127_982
.LBB127_981:
	s_mov_b32 s19, -1
                                        ; implicit-def: $sgpr17
.LBB127_982:
	s_delay_alu instid0(SALU_CYCLE_1)
	s_and_not1_b32 vcc_lo, exec_lo, s19
	s_cbranch_vccnz .LBB127_984
; %bb.983:
	v_cmp_ne_u16_e64 s16, 0, v0
	s_mov_b32 s17, 0
.LBB127_984:
	s_delay_alu instid0(SALU_CYCLE_1) | instskip(NEXT) | instid1(VALU_DEP_2)
	v_mov_b32_e32 v0, s17
	s_and_not1_b32 vcc_lo, exec_lo, s16
	s_cbranch_vccnz .LBB127_986
; %bb.985:
	v_mov_b32_e32 v0, v12
.LBB127_986:
	s_mov_b32 s17, 0
	global_store_b8 v[10:11], v0, off
.LBB127_987:
	s_and_b32 vcc_lo, exec_lo, s17
	s_cbranch_vccz .LBB127_996
; %bb.988:
	v_and_b32_e64 v0, 0xff, s25
	s_delay_alu instid0(VALU_DEP_1)
	v_cmp_gt_i16_e32 vcc_lo, 0x80, v0
	s_cbranch_vccnz .LBB127_990
; %bb.989:
	v_cmp_ne_u16_e64 s16, 0x80, v0
	s_mov_b32 s19, 0
	s_mov_b32 s17, 0
	s_branch .LBB127_991
.LBB127_990:
	s_mov_b32 s19, -1
	s_mov_b32 s16, 0
                                        ; implicit-def: $sgpr17
.LBB127_991:
	s_and_not1_b32 vcc_lo, exec_lo, s19
	s_cbranch_vccnz .LBB127_993
; %bb.992:
	v_cmp_ne_u16_e64 s16, 0, v0
	s_mov_b32 s17, 0
.LBB127_993:
	s_delay_alu instid0(SALU_CYCLE_1) | instskip(NEXT) | instid1(VALU_DEP_2)
	v_mov_b32_e32 v0, s17
	s_and_not1_b32 vcc_lo, exec_lo, s16
	s_cbranch_vccnz .LBB127_995
; %bb.994:
	v_mov_b32_e32 v0, v4
.LBB127_995:
	global_store_b8 v[10:11], v0, off
.LBB127_996:
	s_branch .LBB127_1464
.LBB127_997:
	s_mov_b32 s16, 0
                                        ; implicit-def: $vgpr16
	s_branch .LBB127_1465
.LBB127_998:
	s_mov_b32 s5, -1
                                        ; implicit-def: $sgpr4
.LBB127_999:
	s_mov_b32 s12, 0
.LBB127_1000:
	s_delay_alu instid0(SALU_CYCLE_1)
	s_and_b32 vcc_lo, exec_lo, s12
	s_cbranch_vccz .LBB127_1002
; %bb.1001:
	v_cmp_ne_u16_e64 s5, 0, v0
	s_mov_b32 s4, 0
.LBB127_1002:
	s_delay_alu instid0(VALU_DEP_1)
	s_and_not1_b32 vcc_lo, exec_lo, s5
	s_cbranch_vccnz .LBB127_1004
; %bb.1003:
	v_lshrrev_b16 v0, 2, s6
	s_and_b32 s4, s6, 3
	s_lshl_b32 s14, s6, 24
	s_clz_i32_u32 s5, s4
	s_delay_alu instid0(SALU_CYCLE_1) | instskip(SKIP_4) | instid1(VALU_DEP_1)
	s_min_u32 s5, s5, 32
	v_readfirstlane_b32 s12, v0
	s_sub_i32 s13, s5, 29
	s_sub_i32 s5, 30, s5
	s_lshl_b32 s13, s6, s13
	s_and_b32 s12, s12, 31
	s_and_b32 s13, s13, 3
	s_cmp_eq_u32 s12, 0
	s_cselect_b32 s5, s5, s12
	s_cselect_b32 s4, s13, s4
	s_lshl_b32 s5, s5, 23
	s_and_b32 s12, s14, 0x80000000
	s_add_i32 s5, s5, 0x37800000
	s_lshl_b32 s4, s4, 21
	s_or_b32 s5, s12, s5
	s_delay_alu instid0(SALU_CYCLE_1)
	s_or_b32 s4, s5, s4
.LBB127_1004:
	s_delay_alu instid0(SALU_CYCLE_1) | instskip(NEXT) | instid1(SALU_CYCLE_1)
	s_bfe_u32 s5, s4, 0x10010
	s_add_i32 s5, s4, s5
	v_cmp_o_f32_e64 s4, s4, s4
	s_addk_i32 s5, 0x7fff
	s_delay_alu instid0(SALU_CYCLE_1) | instskip(NEXT) | instid1(VALU_DEP_1)
	s_lshr_b32 s5, s5, 16
	s_and_b32 s4, s4, exec_lo
	s_cselect_b32 s4, s5, 0x7fc0
	s_mov_b32 s5, -1
	v_mov_b32_e32 v0, s4
	s_mov_b32 s4, 0
	global_store_b32 v[6:7], v0, off
.LBB127_1005:
	s_and_b32 vcc_lo, exec_lo, s11
	s_cbranch_vccz .LBB127_1018
; %bb.1006:
	v_cmp_eq_u16_e32 vcc_lo, 44, v9
	s_mov_b32 s4, -1
	s_cbranch_vccz .LBB127_1018
; %bb.1007:
	v_and_b32_e64 v0, 0xff, s6
	s_delay_alu instid0(VALU_DEP_1)
	v_cmp_gt_i16_e32 vcc_lo, 0x80, v0
	v_readfirstlane_b32 s5, v0
	s_cbranch_vccnz .LBB127_1010
; %bb.1008:
	s_delay_alu instid0(VALU_DEP_1) | instskip(NEXT) | instid1(VALU_DEP_1)
	v_cmp_eq_u16_e64 s4, 0x80, s5
	s_and_b32 vcc_lo, exec_lo, s4
	s_cbranch_vccz .LBB127_1011
; %bb.1009:
	s_mov_b32 s11, 0
	s_mov_b32 s4, 0x7f800001
	s_branch .LBB127_1012
.LBB127_1010:
	s_mov_b32 s12, -1
	s_mov_b32 s11, 0
                                        ; implicit-def: $sgpr4
	s_branch .LBB127_1013
.LBB127_1011:
	s_mov_b32 s11, -1
                                        ; implicit-def: $sgpr4
.LBB127_1012:
	s_mov_b32 s12, 0
.LBB127_1013:
	s_delay_alu instid0(SALU_CYCLE_1)
	s_and_b32 vcc_lo, exec_lo, s12
	s_cbranch_vccz .LBB127_1023
; %bb.1014:
	v_cmp_ne_u16_e64 s11, s5, 0
	s_and_b32 s4, 0xffff, s5
	s_delay_alu instid0(VALU_DEP_1)
	s_and_not1_b32 vcc_lo, exec_lo, s11
	s_cbranch_vccz .LBB127_1024
.LBB127_1015:
	v_mov_b32_e32 v0, 0xff
	s_bfe_u32 s5, s4, 0x80017
	s_delay_alu instid0(SALU_CYCLE_1)
	s_cmpk_eq_i32 s5, 0xff
	s_cbranch_scc1 .LBB127_1017
.LBB127_1016:
	s_lshr_b32 s11, s4, 23
	s_bitcmp1_b32 s4, 22
	s_cselect_b32 s12, -1, 0
	s_and_b32 s4, s4, 0x3fffff
	s_delay_alu instid0(SALU_CYCLE_1) | instskip(NEXT) | instid1(SALU_CYCLE_1)
	s_or_b32 s4, s5, s4
	s_cmp_lg_u32 s4, 0
	s_cselect_b32 s4, -1, 0
	s_delay_alu instid0(SALU_CYCLE_1) | instskip(NEXT) | instid1(SALU_CYCLE_1)
	s_and_b32 s4, s12, s4
	v_cndmask_b32_e64 v0, 0, 1, s4
	s_delay_alu instid0(VALU_DEP_1)
	v_add_nc_u32_e32 v0, s11, v0
.LBB127_1017:
	s_mov_b32 s4, 0
	s_mov_b32 s5, -1
	global_store_b8 v[6:7], v0, off
.LBB127_1018:
	s_mov_b32 s11, 0
.LBB127_1019:
	s_delay_alu instid0(SALU_CYCLE_1)
	s_and_b32 vcc_lo, exec_lo, s11
	s_cbranch_vccz .LBB127_1031
; %bb.1020:
	v_cmp_eq_u16_e32 vcc_lo, 29, v9
	s_mov_b32 s4, -1
	s_cbranch_vccz .LBB127_1031
; %bb.1021:
	v_and_b32_e64 v0, 0xff, s6
	s_delay_alu instid0(VALU_DEP_1)
	v_cmp_gt_i16_e32 vcc_lo, 0x80, v0
	s_cbranch_vccnz .LBB127_1025
; %bb.1022:
	v_cmp_ne_u16_e64 s11, 0x80, v0
	s_mov_b32 s12, 0
	s_mov_b64 s[4:5], 0
	s_branch .LBB127_1026
.LBB127_1023:
	s_and_not1_b32 vcc_lo, exec_lo, s11
	s_cbranch_vccnz .LBB127_1015
.LBB127_1024:
	v_lshrrev_b16 v0, 2, s6
	s_and_b32 s4, s6, 3
	s_delay_alu instid0(SALU_CYCLE_1) | instskip(NEXT) | instid1(SALU_CYCLE_1)
	s_clz_i32_u32 s5, s4
	s_min_u32 s5, s5, 32
	s_delay_alu instid0(VALU_DEP_1) | instskip(SKIP_3) | instid1(VALU_DEP_1)
	v_readfirstlane_b32 s11, v0
	s_sub_i32 s12, s5, 29
	s_sub_i32 s5, 30, s5
	s_lshl_b32 s12, s6, s12
	s_and_b32 s11, s11, 31
	s_and_b32 s12, s12, 3
	s_cmp_eq_u32 s11, 0
	s_cselect_b32 s4, s12, s4
	s_cselect_b32 s5, s5, s11
	s_lshl_b32 s4, s4, 21
	s_lshl_b32 s5, s5, 23
	s_delay_alu instid0(SALU_CYCLE_1) | instskip(NEXT) | instid1(SALU_CYCLE_1)
	s_or_b32 s4, s5, s4
	s_add_i32 s4, s4, 0x37800000
	v_mov_b32_e32 v0, 0xff
	s_bfe_u32 s5, s4, 0x80017
	s_delay_alu instid0(SALU_CYCLE_1)
	s_cmpk_eq_i32 s5, 0xff
	s_cbranch_scc0 .LBB127_1016
	s_branch .LBB127_1017
.LBB127_1025:
	s_mov_b32 s12, -1
	s_mov_b32 s11, 0
                                        ; implicit-def: $sgpr4_sgpr5
.LBB127_1026:
	s_and_not1_b32 vcc_lo, exec_lo, s12
	s_cbranch_vccnz .LBB127_1028
; %bb.1027:
	v_cmp_ne_u16_e64 s11, 0, v0
	s_mov_b64 s[4:5], 0
.LBB127_1028:
	s_delay_alu instid0(SALU_CYCLE_1) | instskip(NEXT) | instid1(VALU_DEP_2)
	v_dual_mov_b32 v0, s4 :: v_dual_mov_b32 v1, s5
	s_and_not1_b32 vcc_lo, exec_lo, s11
	s_cbranch_vccnz .LBB127_1030
; %bb.1029:
	v_lshrrev_b16 v0, 2, s6
	s_and_b32 s4, s6, 3
	s_lshl_b32 s12, s6, 24
	s_clz_i32_u32 s5, s4
	s_delay_alu instid0(SALU_CYCLE_1) | instskip(SKIP_4) | instid1(VALU_DEP_1)
	s_min_u32 s5, s5, 32
	v_readfirstlane_b32 s11, v0
	s_sub_i32 s13, s5, 29
	s_sub_i32 s5, 30, s5
	s_lshl_b32 s13, s6, s13
	s_and_b32 s11, s11, 31
	s_and_b32 s13, s13, 3
	s_cmp_eq_u32 s11, 0
	s_cselect_b32 s5, s5, s11
	s_cselect_b32 s4, s13, s4
	s_lshl_b32 s5, s5, 23
	s_and_b32 s11, s12, 0x80000000
	s_add_i32 s5, s5, 0x37800000
	s_lshl_b32 s4, s4, 21
	s_or_b32 s5, s11, s5
	s_delay_alu instid0(SALU_CYCLE_1) | instskip(NEXT) | instid1(SALU_CYCLE_1)
	s_or_b32 s4, s5, s4
	v_trunc_f32_e32 v0, s4
	s_delay_alu instid0(VALU_DEP_1) | instskip(NEXT) | instid1(VALU_DEP_1)
	v_mul_f32_e32 v1, 0x2f800000, v0
	v_floor_f32_e32 v1, v1
	s_delay_alu instid0(VALU_DEP_1) | instskip(SKIP_1) | instid1(VALU_DEP_2)
	v_fmamk_f32 v0, v1, 0xcf800000, v0
	v_cvt_u32_f32_e32 v1, v1
	v_cvt_u32_f32_e32 v0, v0
.LBB127_1030:
	s_mov_b32 s4, 0
	s_mov_b32 s5, -1
	global_store_b64 v[6:7], v[0:1], off
.LBB127_1031:
	s_mov_b32 s11, 0
.LBB127_1032:
	s_delay_alu instid0(SALU_CYCLE_1)
	s_and_b32 vcc_lo, exec_lo, s11
	s_cbranch_vccz .LBB127_1074
; %bb.1033:
	v_cmp_gt_i16_e32 vcc_lo, 27, v9
	s_mov_b32 s5, -1
	s_cbranch_vccnz .LBB127_1053
; %bb.1034:
	v_cmp_lt_i16_e32 vcc_lo, 27, v9
	s_cbranch_vccz .LBB127_1043
; %bb.1035:
	v_and_b32_e64 v0, 0xff, s6
	s_delay_alu instid0(VALU_DEP_1)
	v_cmp_gt_i16_e32 vcc_lo, 0x80, v0
	s_cbranch_vccnz .LBB127_1037
; %bb.1036:
	v_cmp_ne_u16_e64 s5, 0x80, v0
	s_mov_b32 s12, 0
	s_mov_b32 s11, 0
	s_branch .LBB127_1038
.LBB127_1037:
	s_mov_b32 s12, -1
	s_mov_b32 s5, 0
                                        ; implicit-def: $sgpr11
.LBB127_1038:
	s_and_not1_b32 vcc_lo, exec_lo, s12
	s_cbranch_vccnz .LBB127_1040
; %bb.1039:
	v_cmp_ne_u16_e64 s5, 0, v0
	s_mov_b32 s11, 0
.LBB127_1040:
	s_delay_alu instid0(SALU_CYCLE_1) | instskip(NEXT) | instid1(VALU_DEP_2)
	v_mov_b32_e32 v0, s11
	s_and_not1_b32 vcc_lo, exec_lo, s5
	s_cbranch_vccnz .LBB127_1042
; %bb.1041:
	v_lshrrev_b16 v0, 2, s6
	s_and_b32 s5, s6, 3
	s_lshl_b32 s14, s6, 24
	s_clz_i32_u32 s11, s5
	s_delay_alu instid0(SALU_CYCLE_1) | instskip(SKIP_4) | instid1(VALU_DEP_1)
	s_min_u32 s11, s11, 32
	v_readfirstlane_b32 s12, v0
	s_sub_i32 s13, s11, 29
	s_sub_i32 s11, 30, s11
	s_lshl_b32 s13, s6, s13
	s_and_b32 s12, s12, 31
	s_and_b32 s13, s13, 3
	s_cmp_eq_u32 s12, 0
	s_cselect_b32 s11, s11, s12
	s_cselect_b32 s5, s13, s5
	s_lshl_b32 s11, s11, 23
	s_and_b32 s12, s14, 0x80000000
	s_add_i32 s11, s11, 0x37800000
	s_lshl_b32 s5, s5, 21
	s_or_b32 s11, s12, s11
	s_delay_alu instid0(SALU_CYCLE_1) | instskip(NEXT) | instid1(SALU_CYCLE_1)
	s_or_b32 s5, s11, s5
	v_cvt_u32_f32_e32 v0, s5
.LBB127_1042:
	s_mov_b32 s5, 0
	global_store_b32 v[6:7], v0, off
.LBB127_1043:
	s_and_b32 vcc_lo, exec_lo, s5
	s_cbranch_vccz .LBB127_1052
; %bb.1044:
	v_and_b32_e64 v0, 0xff, s6
	s_delay_alu instid0(VALU_DEP_1)
	v_cmp_gt_i16_e32 vcc_lo, 0x80, v0
	s_cbranch_vccnz .LBB127_1046
; %bb.1045:
	v_cmp_ne_u16_e64 s5, 0x80, v0
	s_mov_b32 s12, 0
	s_mov_b32 s11, 0
	s_branch .LBB127_1047
.LBB127_1046:
	s_mov_b32 s12, -1
	s_mov_b32 s5, 0
                                        ; implicit-def: $sgpr11
.LBB127_1047:
	s_and_not1_b32 vcc_lo, exec_lo, s12
	s_cbranch_vccnz .LBB127_1049
; %bb.1048:
	v_cmp_ne_u16_e64 s5, 0, v0
	s_mov_b32 s11, 0
.LBB127_1049:
	s_delay_alu instid0(SALU_CYCLE_1) | instskip(NEXT) | instid1(VALU_DEP_2)
	v_mov_b32_e32 v0, s11
	s_and_not1_b32 vcc_lo, exec_lo, s5
	s_cbranch_vccnz .LBB127_1051
; %bb.1050:
	v_lshrrev_b16 v0, 2, s6
	s_and_b32 s5, s6, 3
	s_lshl_b32 s14, s6, 24
	s_clz_i32_u32 s11, s5
	s_delay_alu instid0(SALU_CYCLE_1) | instskip(SKIP_4) | instid1(VALU_DEP_1)
	s_min_u32 s11, s11, 32
	v_readfirstlane_b32 s12, v0
	s_sub_i32 s13, s11, 29
	s_sub_i32 s11, 30, s11
	s_lshl_b32 s13, s6, s13
	s_and_b32 s12, s12, 31
	s_and_b32 s13, s13, 3
	s_cmp_eq_u32 s12, 0
	s_cselect_b32 s11, s11, s12
	s_cselect_b32 s5, s13, s5
	s_lshl_b32 s11, s11, 23
	s_and_b32 s12, s14, 0x80000000
	s_add_i32 s11, s11, 0x37800000
	s_lshl_b32 s5, s5, 21
	s_or_b32 s11, s12, s11
	s_delay_alu instid0(SALU_CYCLE_1) | instskip(NEXT) | instid1(SALU_CYCLE_1)
	s_or_b32 s5, s11, s5
	v_cvt_u32_f32_e32 v0, s5
.LBB127_1051:
	global_store_b16 v[6:7], v0, off
.LBB127_1052:
	s_mov_b32 s5, 0
.LBB127_1053:
	s_delay_alu instid0(SALU_CYCLE_1)
	s_and_not1_b32 vcc_lo, exec_lo, s5
	s_cbranch_vccnz .LBB127_1073
; %bb.1054:
	v_and_b32_e64 v0, 0xff, s6
	s_delay_alu instid0(VALU_DEP_1)
	v_cmp_gt_i16_e32 vcc_lo, 0x80, v0
	s_cbranch_vccnz .LBB127_1057
; %bb.1055:
	v_cmp_eq_u16_e32 vcc_lo, 0x80, v0
	s_cbranch_vccz .LBB127_1058
; %bb.1056:
	s_mov_b32 s11, 0
	s_mov_b32 s5, 0x7f800001
	s_branch .LBB127_1059
.LBB127_1057:
	s_mov_b32 s12, -1
	s_mov_b32 s11, 0
                                        ; implicit-def: $sgpr5
	s_branch .LBB127_1060
.LBB127_1058:
	s_mov_b32 s11, -1
                                        ; implicit-def: $sgpr5
.LBB127_1059:
	s_mov_b32 s12, 0
.LBB127_1060:
	s_delay_alu instid0(SALU_CYCLE_1)
	s_and_b32 vcc_lo, exec_lo, s12
	s_cbranch_vccz .LBB127_1063
; %bb.1061:
	v_cmp_ne_u16_e64 s11, 0, v0
	s_mov_b32 s5, 0
	s_delay_alu instid0(VALU_DEP_1)
	s_and_not1_b32 vcc_lo, exec_lo, s11
	s_cbranch_vccz .LBB127_1064
.LBB127_1062:
	v_mov_b32_e32 v1, 0x80
	s_and_b32 s11, s5, 0x7fffffff
	s_delay_alu instid0(SALU_CYCLE_1)
	s_cmp_gt_u32 s11, 0x437fffff
	s_cbranch_scc0 .LBB127_1065
	s_branch .LBB127_1072
.LBB127_1063:
	s_and_not1_b32 vcc_lo, exec_lo, s11
	s_cbranch_vccnz .LBB127_1062
.LBB127_1064:
	v_lshrrev_b16 v0, 2, s6
	s_and_b32 s5, s6, 3
	s_lshl_b32 s14, s6, 24
	s_clz_i32_u32 s11, s5
	s_delay_alu instid0(SALU_CYCLE_1) | instskip(SKIP_4) | instid1(VALU_DEP_1)
	s_min_u32 s11, s11, 32
	v_readfirstlane_b32 s12, v0
	s_sub_i32 s13, s11, 29
	s_sub_i32 s11, 30, s11
	s_lshl_b32 s13, s6, s13
	s_and_b32 s12, s12, 31
	s_and_b32 s13, s13, 3
	s_cmp_eq_u32 s12, 0
	s_cselect_b32 s11, s11, s12
	s_cselect_b32 s5, s13, s5
	s_lshl_b32 s11, s11, 23
	s_and_b32 s12, s14, 0x80000000
	s_add_i32 s11, s11, 0x37800000
	s_lshl_b32 s5, s5, 21
	s_or_b32 s11, s12, s11
	s_delay_alu instid0(SALU_CYCLE_1) | instskip(SKIP_2) | instid1(SALU_CYCLE_1)
	s_or_b32 s5, s11, s5
	v_mov_b32_e32 v1, 0x80
	s_and_b32 s11, s5, 0x7fffffff
	s_cmp_gt_u32 s11, 0x437fffff
	s_cbranch_scc1 .LBB127_1072
.LBB127_1065:
	s_cmp_gt_u32 s11, 0x3bffffff
	s_cbranch_scc0 .LBB127_1067
; %bb.1066:
	s_bfe_u32 s11, s5, 0x10014
	s_mov_b32 s12, 0
	s_add_i32 s11, s5, s11
	s_delay_alu instid0(SALU_CYCLE_1) | instskip(NEXT) | instid1(SALU_CYCLE_1)
	s_add_i32 s11, s11, 0x487ffff
	s_lshr_b32 s13, s11, 20
	s_mov_b32 s11, -1
	s_branch .LBB127_1068
.LBB127_1067:
	s_mov_b32 s12, -1
	s_mov_b32 s11, 0
                                        ; implicit-def: $sgpr13
.LBB127_1068:
	v_mov_b32_e32 v0, s13
	s_and_not1_b32 vcc_lo, exec_lo, s12
                                        ; implicit-def: $sgpr12
	s_cbranch_vccnz .LBB127_1070
; %bb.1069:
	v_add_f32_e64 v0, 0x46000000, |s5|
	s_mov_b32 s12, 0
	s_delay_alu instid0(VALU_DEP_1) | instskip(NEXT) | instid1(VALU_DEP_1)
	v_and_b32_e32 v0, 0xff, v0
	v_cmp_ne_u32_e64 s11, 0, v0
.LBB127_1070:
	v_mov_b32_e32 v1, s12
	s_delay_alu instid0(VALU_DEP_2)
	s_and_not1_b32 vcc_lo, exec_lo, s11
	s_cbranch_vccnz .LBB127_1072
; %bb.1071:
	s_lshr_b32 s5, s5, 24
	s_delay_alu instid0(SALU_CYCLE_1) | instskip(NEXT) | instid1(SALU_CYCLE_1)
	s_and_b32 s5, s5, 0x80
	v_or_b32_e32 v1, s5, v0
.LBB127_1072:
	global_store_b8 v[6:7], v1, off
.LBB127_1073:
	s_mov_b32 s5, -1
.LBB127_1074:
	s_mov_b32 s11, 0
.LBB127_1075:
	s_delay_alu instid0(SALU_CYCLE_1)
	s_and_b32 vcc_lo, exec_lo, s11
	s_cbranch_vccz .LBB127_1143
; %bb.1076:
	v_cmp_lt_i16_e32 vcc_lo, 22, v9
	s_mov_b32 s10, -1
	s_cbranch_vccz .LBB127_1126
; %bb.1077:
	v_cmp_gt_i16_e32 vcc_lo, 24, v9
	s_mov_b32 s5, -1
	s_cbranch_vccnz .LBB127_1103
; %bb.1078:
	v_cmp_lt_i16_e32 vcc_lo, 24, v9
	s_cbranch_vccz .LBB127_1080
; %bb.1079:
	v_mov_b32_e32 v0, s6
	s_mov_b32 s5, 0
	global_store_b8 v[6:7], v0, off
.LBB127_1080:
	s_and_not1_b32 vcc_lo, exec_lo, s5
	s_cbranch_vccnz .LBB127_1102
; %bb.1081:
	v_and_b32_e64 v0, 0xff, s6
	s_delay_alu instid0(VALU_DEP_1)
	v_cmp_gt_i16_e32 vcc_lo, 0x80, v0
	s_cbranch_vccnz .LBB127_1084
; %bb.1082:
	v_cmp_eq_u16_e32 vcc_lo, 0x80, v0
	s_cbranch_vccz .LBB127_1085
; %bb.1083:
	s_mov_b32 s10, 0
	s_mov_b32 s5, 0x7f800001
	s_branch .LBB127_1086
.LBB127_1084:
	s_mov_b32 s11, -1
	s_mov_b32 s10, 0
                                        ; implicit-def: $sgpr5
	s_branch .LBB127_1087
.LBB127_1085:
                                        ; implicit-def: $sgpr5
.LBB127_1086:
	s_mov_b32 s11, 0
.LBB127_1087:
	s_delay_alu instid0(SALU_CYCLE_1)
	s_and_b32 vcc_lo, exec_lo, s11
	s_cbranch_vccz .LBB127_1092
; %bb.1088:
	v_cmp_ne_u16_e64 s10, 0, v0
	s_mov_b32 s5, 0
	s_delay_alu instid0(VALU_DEP_1)
	s_and_not1_b32 vcc_lo, exec_lo, s10
	s_cbranch_vccz .LBB127_1093
.LBB127_1089:
	s_and_b32 s10, s5, 0x7fffffff
	s_delay_alu instid0(SALU_CYCLE_1)
	s_cmp_lt_u32 s10, 0x43f00000
	s_cbranch_scc0 .LBB127_1094
.LBB127_1090:
	s_cmp_gt_u32 s10, 0x3c7fffff
	s_cbranch_scc0 .LBB127_1095
; %bb.1091:
	s_bfe_u32 s11, s5, 0x10014
	s_delay_alu instid0(SALU_CYCLE_1) | instskip(NEXT) | instid1(SALU_CYCLE_1)
	s_add_i32 s11, s5, s11
	s_add_i32 s11, s11, 0x407ffff
	s_delay_alu instid0(SALU_CYCLE_1)
	s_and_b32 s12, s11, 0xff00000
	s_lshr_b32 s11, s11, 20
	s_cmp_lg_u32 s12, 0x7f00000
	s_cselect_b32 s12, s11, 0x7e
	s_mov_b32 s11, 0
	s_branch .LBB127_1096
.LBB127_1092:
	s_and_not1_b32 vcc_lo, exec_lo, s10
	s_cbranch_vccnz .LBB127_1089
.LBB127_1093:
	v_lshrrev_b16 v0, 2, s6
	s_and_b32 s5, s6, 3
	s_lshl_b32 s13, s6, 24
	s_clz_i32_u32 s10, s5
	s_delay_alu instid0(SALU_CYCLE_1) | instskip(SKIP_4) | instid1(VALU_DEP_1)
	s_min_u32 s10, s10, 32
	v_readfirstlane_b32 s11, v0
	s_sub_i32 s12, s10, 29
	s_sub_i32 s10, 30, s10
	s_lshl_b32 s12, s6, s12
	s_and_b32 s11, s11, 31
	s_and_b32 s12, s12, 3
	s_cmp_eq_u32 s11, 0
	s_cselect_b32 s10, s10, s11
	s_cselect_b32 s5, s12, s5
	s_lshl_b32 s10, s10, 23
	s_and_b32 s11, s13, 0x80000000
	s_add_i32 s10, s10, 0x37800000
	s_lshl_b32 s5, s5, 21
	s_or_b32 s10, s11, s10
	s_delay_alu instid0(SALU_CYCLE_1) | instskip(NEXT) | instid1(SALU_CYCLE_1)
	s_or_b32 s5, s10, s5
	s_and_b32 s10, s5, 0x7fffffff
	s_delay_alu instid0(SALU_CYCLE_1)
	s_cmp_lt_u32 s10, 0x43f00000
	s_cbranch_scc1 .LBB127_1090
.LBB127_1094:
	s_mov_b32 s11, -1
                                        ; implicit-def: $vgpr0
	s_branch .LBB127_1099
.LBB127_1095:
	s_mov_b32 s11, -1
                                        ; implicit-def: $sgpr12
.LBB127_1096:
	v_mov_b32_e32 v0, s12
	s_and_not1_b32 vcc_lo, exec_lo, s11
	s_cbranch_vccnz .LBB127_1098
; %bb.1097:
	v_add_f32_e64 v0, 0x46800000, |s5|
.LBB127_1098:
	s_mov_b32 s11, 0
.LBB127_1099:
	s_delay_alu instid0(SALU_CYCLE_1)
	s_and_not1_b32 vcc_lo, exec_lo, s11
	s_cbranch_vccnz .LBB127_1101
; %bb.1100:
	s_cmp_gt_u32 s10, 0x7f800000
	s_movk_i32 s10, 0x7f
	s_delay_alu instid0(SALU_CYCLE_1) | instskip(NEXT) | instid1(SALU_CYCLE_1)
	s_cselect_b32 s10, s10, 0x7e
	v_mov_b32_e32 v0, s10
.LBB127_1101:
	s_lshr_b32 s5, s5, 24
	s_delay_alu instid0(SALU_CYCLE_1)
	s_and_b32 s5, s5, 0x80
	s_delay_alu instid0(VALU_DEP_1) | instid1(SALU_CYCLE_1)
	v_or_b32_e32 v0, s5, v0
	global_store_b8 v[6:7], v0, off
.LBB127_1102:
	s_mov_b32 s5, 0
.LBB127_1103:
	s_delay_alu instid0(SALU_CYCLE_1)
	s_and_not1_b32 vcc_lo, exec_lo, s5
	s_cbranch_vccnz .LBB127_1125
; %bb.1104:
	v_and_b32_e64 v0, 0xff, s6
	s_delay_alu instid0(VALU_DEP_1)
	v_cmp_gt_i16_e32 vcc_lo, 0x80, v0
	s_cbranch_vccnz .LBB127_1107
; %bb.1105:
	v_cmp_eq_u16_e32 vcc_lo, 0x80, v0
	s_cbranch_vccz .LBB127_1108
; %bb.1106:
	s_mov_b32 s10, 0
	s_mov_b32 s5, 0x7f800001
	s_branch .LBB127_1109
.LBB127_1107:
	s_mov_b32 s11, -1
	s_mov_b32 s10, 0
                                        ; implicit-def: $sgpr5
	s_branch .LBB127_1110
.LBB127_1108:
	s_mov_b32 s10, -1
                                        ; implicit-def: $sgpr5
.LBB127_1109:
	s_mov_b32 s11, 0
.LBB127_1110:
	s_delay_alu instid0(SALU_CYCLE_1)
	s_and_b32 vcc_lo, exec_lo, s11
	s_cbranch_vccz .LBB127_1115
; %bb.1111:
	v_cmp_ne_u16_e64 s10, 0, v0
	s_mov_b32 s5, 0
	s_delay_alu instid0(VALU_DEP_1)
	s_and_not1_b32 vcc_lo, exec_lo, s10
	s_cbranch_vccz .LBB127_1116
.LBB127_1112:
	s_and_b32 s10, s5, 0x7fffffff
	s_delay_alu instid0(SALU_CYCLE_1)
	s_cmp_lt_u32 s10, 0x47800000
	s_cbranch_scc0 .LBB127_1117
.LBB127_1113:
	s_cmp_gt_u32 s10, 0x387fffff
	s_cbranch_scc0 .LBB127_1118
; %bb.1114:
	s_bfe_u32 s11, s5, 0x10015
	s_delay_alu instid0(SALU_CYCLE_1) | instskip(NEXT) | instid1(SALU_CYCLE_1)
	s_add_i32 s11, s5, s11
	s_add_i32 s11, s11, 0x80fffff
	s_delay_alu instid0(SALU_CYCLE_1)
	s_lshr_b32 s12, s11, 21
	s_mov_b32 s11, 0
	s_branch .LBB127_1119
.LBB127_1115:
	s_and_not1_b32 vcc_lo, exec_lo, s10
	s_cbranch_vccnz .LBB127_1112
.LBB127_1116:
	v_lshrrev_b16 v0, 2, s6
	s_and_b32 s5, s6, 3
	s_lshl_b32 s13, s6, 24
	s_clz_i32_u32 s10, s5
	s_delay_alu instid0(SALU_CYCLE_1) | instskip(SKIP_4) | instid1(VALU_DEP_1)
	s_min_u32 s10, s10, 32
	v_readfirstlane_b32 s11, v0
	s_sub_i32 s12, s10, 29
	s_sub_i32 s10, 30, s10
	s_lshl_b32 s12, s6, s12
	s_and_b32 s11, s11, 31
	s_and_b32 s12, s12, 3
	s_cmp_eq_u32 s11, 0
	s_cselect_b32 s10, s10, s11
	s_cselect_b32 s5, s12, s5
	s_lshl_b32 s10, s10, 23
	s_and_b32 s11, s13, 0x80000000
	s_add_i32 s10, s10, 0x37800000
	s_lshl_b32 s5, s5, 21
	s_or_b32 s10, s11, s10
	s_delay_alu instid0(SALU_CYCLE_1) | instskip(NEXT) | instid1(SALU_CYCLE_1)
	s_or_b32 s5, s10, s5
	s_and_b32 s10, s5, 0x7fffffff
	s_delay_alu instid0(SALU_CYCLE_1)
	s_cmp_lt_u32 s10, 0x47800000
	s_cbranch_scc1 .LBB127_1113
.LBB127_1117:
	s_mov_b32 s11, -1
                                        ; implicit-def: $vgpr0
	s_branch .LBB127_1122
.LBB127_1118:
	s_mov_b32 s11, -1
                                        ; implicit-def: $sgpr12
.LBB127_1119:
	v_mov_b32_e32 v0, s12
	s_and_not1_b32 vcc_lo, exec_lo, s11
	s_cbranch_vccnz .LBB127_1121
; %bb.1120:
	v_add_f32_e64 v0, 0x43000000, |s5|
.LBB127_1121:
	s_mov_b32 s11, 0
.LBB127_1122:
	s_delay_alu instid0(SALU_CYCLE_1)
	s_and_not1_b32 vcc_lo, exec_lo, s11
	s_cbranch_vccnz .LBB127_1124
; %bb.1123:
	s_cmp_gt_u32 s10, 0x7f800000
	s_movk_i32 s10, 0x7f
	s_delay_alu instid0(SALU_CYCLE_1) | instskip(NEXT) | instid1(SALU_CYCLE_1)
	s_cselect_b32 s10, s10, 0x7c
	v_mov_b32_e32 v0, s10
.LBB127_1124:
	s_lshr_b32 s5, s5, 24
	s_delay_alu instid0(SALU_CYCLE_1)
	s_and_b32 s5, s5, 0x80
	s_delay_alu instid0(VALU_DEP_1) | instid1(SALU_CYCLE_1)
	v_or_b32_e32 v0, s5, v0
	global_store_b8 v[6:7], v0, off
.LBB127_1125:
	s_mov_b32 s10, 0
	s_mov_b32 s5, -1
.LBB127_1126:
	s_and_not1_b32 vcc_lo, exec_lo, s10
	s_mov_b32 s10, 0
	s_cbranch_vccnz .LBB127_1143
; %bb.1127:
	v_cmp_lt_i16_e32 vcc_lo, 14, v9
	s_mov_b32 s10, -1
	s_cbranch_vccz .LBB127_1141
; %bb.1128:
	v_cmp_eq_u16_e32 vcc_lo, 15, v9
	s_mov_b32 s4, -1
	s_cbranch_vccz .LBB127_1140
; %bb.1129:
	v_and_b32_e64 v0, 0xff, s6
	s_delay_alu instid0(VALU_DEP_1)
	v_cmp_gt_i16_e32 vcc_lo, 0x80, v0
	s_cbranch_vccnz .LBB127_1132
; %bb.1130:
	v_cmp_eq_u16_e32 vcc_lo, 0x80, v0
	s_cbranch_vccz .LBB127_1133
; %bb.1131:
	s_mov_b32 s5, 0
	s_mov_b32 s4, 0x7f800001
	s_branch .LBB127_1134
.LBB127_1132:
	s_mov_b32 s5, 0
                                        ; implicit-def: $sgpr4
	s_branch .LBB127_1135
.LBB127_1133:
	s_mov_b32 s5, -1
                                        ; implicit-def: $sgpr4
.LBB127_1134:
	s_mov_b32 s10, 0
.LBB127_1135:
	s_delay_alu instid0(SALU_CYCLE_1)
	s_and_b32 vcc_lo, exec_lo, s10
	s_cbranch_vccz .LBB127_1137
; %bb.1136:
	v_cmp_ne_u16_e64 s5, 0, v0
	s_mov_b32 s4, 0
.LBB127_1137:
	s_delay_alu instid0(VALU_DEP_1)
	s_and_not1_b32 vcc_lo, exec_lo, s5
	s_cbranch_vccnz .LBB127_1139
; %bb.1138:
	v_lshrrev_b16 v0, 2, s6
	s_and_b32 s4, s6, 3
	s_lshl_b32 s12, s6, 24
	s_clz_i32_u32 s5, s4
	s_delay_alu instid0(SALU_CYCLE_1) | instskip(SKIP_4) | instid1(VALU_DEP_1)
	s_min_u32 s5, s5, 32
	v_readfirstlane_b32 s10, v0
	s_sub_i32 s11, s5, 29
	s_sub_i32 s5, 30, s5
	s_lshl_b32 s11, s6, s11
	s_and_b32 s10, s10, 31
	s_and_b32 s11, s11, 3
	s_cmp_eq_u32 s10, 0
	s_cselect_b32 s5, s5, s10
	s_cselect_b32 s4, s11, s4
	s_lshl_b32 s5, s5, 23
	s_and_b32 s10, s12, 0x80000000
	s_add_i32 s5, s5, 0x37800000
	s_lshl_b32 s4, s4, 21
	s_or_b32 s5, s10, s5
	s_delay_alu instid0(SALU_CYCLE_1)
	s_or_b32 s4, s5, s4
.LBB127_1139:
	s_delay_alu instid0(SALU_CYCLE_1) | instskip(NEXT) | instid1(SALU_CYCLE_1)
	s_bfe_u32 s5, s4, 0x10010
	s_add_i32 s5, s4, s5
	v_cmp_o_f32_e64 s4, s4, s4
	s_addk_i32 s5, 0x7fff
	s_delay_alu instid0(SALU_CYCLE_1) | instskip(NEXT) | instid1(VALU_DEP_1)
	s_lshr_b32 s5, s5, 16
	s_and_b32 s4, s4, exec_lo
	s_cselect_b32 s4, s5, 0x7fc0
	s_mov_b32 s5, -1
	v_mov_b32_e32 v0, s4
	s_mov_b32 s4, 0
	global_store_b16 v[6:7], v0, off
.LBB127_1140:
	s_mov_b32 s10, 0
.LBB127_1141:
	s_delay_alu instid0(SALU_CYCLE_1)
	s_and_b32 vcc_lo, exec_lo, s10
	s_mov_b32 s10, 0
	s_cbranch_vccz .LBB127_1143
; %bb.1142:
	v_cmp_ne_u16_e64 s4, 11, v9
	s_mov_b32 s10, -1
.LBB127_1143:
	s_delay_alu instid0(VALU_DEP_1)
	s_and_b32 vcc_lo, exec_lo, s4
	s_cbranch_vccnz .LBB127_1165
; %bb.1144:
	s_and_not1_b32 vcc_lo, exec_lo, s10
	s_cbranch_vccnz .LBB127_1156
.LBB127_1145:
	v_and_b32_e64 v0, 0xff, s6
	s_delay_alu instid0(VALU_DEP_1)
	v_cmp_gt_i16_e32 vcc_lo, 0x80, v0
	s_cbranch_vccnz .LBB127_1148
; %bb.1146:
	v_cmp_eq_u16_e32 vcc_lo, 0x80, v0
	s_cbranch_vccz .LBB127_1149
; %bb.1147:
	s_mov_b32 s5, 0
	s_mov_b32 s4, -1
	s_branch .LBB127_1150
.LBB127_1148:
	s_mov_b32 s10, -1
	s_mov_b32 s5, 0
                                        ; implicit-def: $sgpr4
	s_branch .LBB127_1151
.LBB127_1149:
	s_mov_b32 s5, -1
                                        ; implicit-def: $sgpr4
.LBB127_1150:
	s_mov_b32 s10, 0
.LBB127_1151:
	s_delay_alu instid0(SALU_CYCLE_1)
	s_and_b32 vcc_lo, exec_lo, s10
	s_cbranch_vccz .LBB127_1153
; %bb.1152:
	v_cmp_ne_u16_e64 s5, 0, v0
	s_mov_b32 s4, 0
.LBB127_1153:
	s_delay_alu instid0(VALU_DEP_1)
	s_and_not1_b32 vcc_lo, exec_lo, s5
	s_cbranch_vccnz .LBB127_1155
; %bb.1154:
	v_lshrrev_b16 v0, 2, s6
	s_and_b32 s4, s6, 3
	s_delay_alu instid0(SALU_CYCLE_1) | instskip(NEXT) | instid1(SALU_CYCLE_1)
	s_clz_i32_u32 s5, s4
	s_min_u32 s5, s5, 32
	s_delay_alu instid0(VALU_DEP_1) | instskip(SKIP_3) | instid1(VALU_DEP_1)
	v_readfirstlane_b32 s10, v0
	s_sub_i32 s11, s5, 29
	s_sub_i32 s5, 30, s5
	s_lshl_b32 s11, s6, s11
	s_and_b32 s10, s10, 31
	s_and_b32 s11, s11, 3
	s_cmp_eq_u32 s10, 0
	s_cselect_b32 s5, s5, s10
	s_cselect_b32 s4, s11, s4
	s_lshl_b32 s5, s5, 23
	s_lshl_b32 s4, s4, 21
	s_add_i32 s5, s5, 0x37800000
	s_delay_alu instid0(SALU_CYCLE_1) | instskip(NEXT) | instid1(SALU_CYCLE_1)
	s_and_b32 s5, s5, 0x7f800000
	s_or_b32 s4, s5, s4
	s_delay_alu instid0(SALU_CYCLE_1)
	s_cmp_lg_u32 s4, 0
	s_cselect_b32 s4, -1, 0
.LBB127_1155:
	s_delay_alu instid0(SALU_CYCLE_1)
	v_cndmask_b32_e64 v0, 0, 1, s4
	s_mov_b32 s5, -1
	global_store_b8 v[6:7], v0, off
.LBB127_1156:
	s_mov_b32 s4, 0
.LBB127_1157:
	s_delay_alu instid0(SALU_CYCLE_1)
	s_and_b32 vcc_lo, exec_lo, s4
	s_cbranch_vccz .LBB127_1295
; %bb.1158:
	v_cmp_gt_i16_e32 vcc_lo, 5, v9
	s_mov_b32 s4, -1
	s_cbranch_vccnz .LBB127_1243
; %bb.1159:
	v_cmp_gt_i16_e32 vcc_lo, 8, v9
	s_cbranch_vccnz .LBB127_1203
; %bb.1160:
	v_cmp_gt_i16_e32 vcc_lo, 9, v9
	s_cbranch_vccnz .LBB127_1190
; %bb.1161:
	v_cmp_lt_i16_e32 vcc_lo, 9, v9
	s_cbranch_vccz .LBB127_1177
; %bb.1162:
	v_and_b32_e64 v0, 0xff, s6
	s_delay_alu instid0(VALU_DEP_1)
	v_cmp_gt_i16_e32 vcc_lo, 0x80, v0
	s_cbranch_vccnz .LBB127_1167
; %bb.1163:
	v_cmp_eq_u16_e32 vcc_lo, 0x80, v0
	s_cbranch_vccz .LBB127_1170
; %bb.1164:
	s_mov_b32 s10, 0
	s_mov_b32 s5, 0x7ff80000
	s_brev_b32 s4, 4
	s_branch .LBB127_1171
.LBB127_1165:
	s_cbranch_execnz .LBB127_1168
; %bb.1166:
	s_or_b32 s7, s7, exec_lo
	s_cbranch_execz .LBB127_1145
	s_branch .LBB127_1156
.LBB127_1167:
	s_mov_b32 s11, -1
	s_mov_b32 s10, 0
                                        ; implicit-def: $sgpr4_sgpr5
	s_branch .LBB127_1172
.LBB127_1168:
	s_trap 2
	s_sendmsg_rtn_b32 s0, sendmsg(MSG_RTN_GET_DOORBELL)
	s_mov_b32 ttmp2, m0
	s_waitcnt lgkmcnt(0)
	s_and_b32 s0, s0, 0x3ff
	s_delay_alu instid0(SALU_CYCLE_1) | instskip(NEXT) | instid1(SALU_CYCLE_1)
	s_bitset1_b32 s0, 10
	s_mov_b32 m0, s0
	s_sendmsg sendmsg(MSG_INTERRUPT)
	s_mov_b32 m0, ttmp2
.LBB127_1169:                           ; =>This Inner Loop Header: Depth=1
	s_sethalt 5
	s_branch .LBB127_1169
.LBB127_1170:
	s_mov_b32 s10, -1
                                        ; implicit-def: $sgpr4_sgpr5
.LBB127_1171:
	s_mov_b32 s11, 0
.LBB127_1172:
	s_delay_alu instid0(SALU_CYCLE_1)
	s_and_b32 vcc_lo, exec_lo, s11
	s_cbranch_vccz .LBB127_1174
; %bb.1173:
	v_cmp_ne_u16_e64 s10, 0, v0
	s_mov_b64 s[4:5], 0
.LBB127_1174:
	s_delay_alu instid0(SALU_CYCLE_1) | instskip(NEXT) | instid1(VALU_DEP_2)
	v_dual_mov_b32 v0, s4 :: v_dual_mov_b32 v1, s5
	s_and_not1_b32 vcc_lo, exec_lo, s10
	s_cbranch_vccnz .LBB127_1176
; %bb.1175:
	v_lshrrev_b16 v0, 2, s6
	s_and_b32 s4, s6, 3
	s_lshl_b32 s12, s6, 24
	s_clz_i32_u32 s5, s4
	s_delay_alu instid0(SALU_CYCLE_1) | instskip(SKIP_4) | instid1(VALU_DEP_1)
	s_min_u32 s5, s5, 32
	v_readfirstlane_b32 s10, v0
	s_sub_i32 s11, s5, 29
	s_sub_i32 s5, 30, s5
	s_lshl_b32 s11, s6, s11
	s_and_b32 s10, s10, 31
	s_and_b32 s11, s11, 3
	s_cmp_eq_u32 s10, 0
	s_cselect_b32 s5, s5, s10
	s_cselect_b32 s4, s11, s4
	s_lshl_b32 s5, s5, 23
	s_and_b32 s10, s12, 0x80000000
	s_add_i32 s5, s5, 0x37800000
	s_lshl_b32 s4, s4, 21
	s_or_b32 s5, s10, s5
	s_delay_alu instid0(SALU_CYCLE_1) | instskip(NEXT) | instid1(SALU_CYCLE_1)
	s_or_b32 s4, s5, s4
	v_cvt_f64_f32_e32 v[0:1], s4
.LBB127_1176:
	v_mov_b32_e32 v2, 0
	s_mov_b32 s4, 0
	s_delay_alu instid0(VALU_DEP_1)
	v_mov_b32_e32 v3, v2
	global_store_b128 v[6:7], v[0:3], off
.LBB127_1177:
	s_and_b32 vcc_lo, exec_lo, s4
	s_cbranch_vccz .LBB127_1189
; %bb.1178:
	v_and_b32_e64 v1, 0xff, s6
	s_delay_alu instid0(VALU_DEP_1)
	v_cmp_gt_i16_e32 vcc_lo, 0x80, v1
	s_cbranch_vccnz .LBB127_1181
; %bb.1179:
	v_cmp_eq_u16_e32 vcc_lo, 0x80, v1
	s_cbranch_vccz .LBB127_1182
; %bb.1180:
	s_mov_b32 s4, 0
	s_mov_b32 s5, 0x7f800001
	s_branch .LBB127_1183
.LBB127_1181:
	s_mov_b32 s10, -1
	s_mov_b32 s4, 0
                                        ; implicit-def: $sgpr5
	s_branch .LBB127_1184
.LBB127_1182:
	s_mov_b32 s4, -1
                                        ; implicit-def: $sgpr5
.LBB127_1183:
	s_mov_b32 s10, 0
.LBB127_1184:
	v_mov_b32_e32 v0, s5
	s_and_b32 vcc_lo, exec_lo, s10
	s_cbranch_vccz .LBB127_1186
; %bb.1185:
	v_and_b32_e32 v0, 0xffff, v1
	v_cmp_ne_u16_e64 s4, 0, v1
.LBB127_1186:
	s_delay_alu instid0(VALU_DEP_1)
	s_and_not1_b32 vcc_lo, exec_lo, s4
	s_cbranch_vccnz .LBB127_1188
; %bb.1187:
	v_lshrrev_b16 v0, 2, s6
	s_and_b32 s4, s6, 3
	s_lshl_b32 s12, s6, 24
	s_clz_i32_u32 s5, s4
	s_delay_alu instid0(SALU_CYCLE_1) | instskip(SKIP_4) | instid1(VALU_DEP_1)
	s_min_u32 s5, s5, 32
	v_readfirstlane_b32 s10, v0
	s_sub_i32 s11, s5, 29
	s_sub_i32 s5, 30, s5
	s_lshl_b32 s11, s6, s11
	s_and_b32 s10, s10, 31
	s_and_b32 s11, s11, 3
	s_cmp_eq_u32 s10, 0
	s_cselect_b32 s5, s5, s10
	s_cselect_b32 s4, s11, s4
	s_lshl_b32 s5, s5, 23
	s_and_b32 s10, s12, 0x80000000
	s_add_i32 s5, s5, 0x37800000
	s_lshl_b32 s4, s4, 21
	s_or_b32 s5, s10, s5
	s_delay_alu instid0(SALU_CYCLE_1) | instskip(NEXT) | instid1(SALU_CYCLE_1)
	s_or_b32 s4, s5, s4
	v_mov_b32_e32 v0, s4
.LBB127_1188:
	v_mov_b32_e32 v1, 0
	global_store_b64 v[6:7], v[0:1], off
.LBB127_1189:
	s_mov_b32 s4, 0
.LBB127_1190:
	s_delay_alu instid0(SALU_CYCLE_1)
	s_and_not1_b32 vcc_lo, exec_lo, s4
	s_cbranch_vccnz .LBB127_1202
; %bb.1191:
	v_and_b32_e64 v0, 0xff, s6
	s_delay_alu instid0(VALU_DEP_1)
	v_cmp_gt_i16_e32 vcc_lo, 0x80, v0
	s_cbranch_vccnz .LBB127_1194
; %bb.1192:
	v_cmp_eq_u16_e32 vcc_lo, 0x80, v0
	s_cbranch_vccz .LBB127_1195
; %bb.1193:
	s_mov_b32 s4, 0
	s_movk_i32 s5, 0x7e00
	s_branch .LBB127_1196
.LBB127_1194:
	s_mov_b32 s10, -1
	s_mov_b32 s4, 0
                                        ; implicit-def: $sgpr5
	s_branch .LBB127_1197
.LBB127_1195:
	s_mov_b32 s4, -1
                                        ; implicit-def: $sgpr5
.LBB127_1196:
	s_mov_b32 s10, 0
.LBB127_1197:
	v_mov_b32_e32 v1, s5
	s_and_b32 vcc_lo, exec_lo, s10
	s_cbranch_vccz .LBB127_1199
; %bb.1198:
	v_and_b32_e32 v1, 0xffff, v0
	v_cmp_ne_u16_e64 s4, 0, v0
.LBB127_1199:
	s_delay_alu instid0(VALU_DEP_1)
	s_and_not1_b32 vcc_lo, exec_lo, s4
	s_cbranch_vccnz .LBB127_1201
; %bb.1200:
	v_lshrrev_b16 v0, 2, s6
	s_and_b32 s4, s6, 3
	s_lshl_b32 s12, s6, 24
	s_clz_i32_u32 s5, s4
	s_delay_alu instid0(SALU_CYCLE_1) | instskip(SKIP_4) | instid1(VALU_DEP_1)
	s_min_u32 s5, s5, 32
	v_readfirstlane_b32 s10, v0
	s_sub_i32 s11, s5, 29
	s_sub_i32 s5, 30, s5
	s_lshl_b32 s11, s6, s11
	s_and_b32 s10, s10, 31
	s_and_b32 s11, s11, 3
	s_cmp_eq_u32 s10, 0
	s_cselect_b32 s5, s5, s10
	s_cselect_b32 s4, s11, s4
	s_lshl_b32 s5, s5, 23
	s_and_b32 s10, s12, 0x80000000
	s_add_i32 s5, s5, 0x37800000
	s_lshl_b32 s4, s4, 21
	s_or_b32 s5, s10, s5
	s_delay_alu instid0(SALU_CYCLE_1) | instskip(NEXT) | instid1(SALU_CYCLE_1)
	s_or_b32 s4, s5, s4
	v_cvt_f16_f32_e32 v0, s4
	s_delay_alu instid0(VALU_DEP_1)
	v_and_b32_e32 v1, 0xffff, v0
.LBB127_1201:
	global_store_b32 v[6:7], v1, off
.LBB127_1202:
	s_mov_b32 s4, 0
.LBB127_1203:
	s_delay_alu instid0(SALU_CYCLE_1)
	s_and_not1_b32 vcc_lo, exec_lo, s4
	s_cbranch_vccnz .LBB127_1242
; %bb.1204:
	v_cmp_gt_i16_e32 vcc_lo, 6, v9
	s_mov_b32 s4, -1
	s_cbranch_vccnz .LBB127_1230
; %bb.1205:
	v_cmp_lt_i16_e32 vcc_lo, 6, v9
	s_cbranch_vccz .LBB127_1217
; %bb.1206:
	v_and_b32_e64 v0, 0xff, s6
	s_delay_alu instid0(VALU_DEP_1)
	v_cmp_gt_i16_e32 vcc_lo, 0x80, v0
	s_cbranch_vccnz .LBB127_1209
; %bb.1207:
	v_cmp_eq_u16_e32 vcc_lo, 0x80, v0
	s_cbranch_vccz .LBB127_1210
; %bb.1208:
	s_mov_b32 s10, 0
	s_mov_b32 s5, 0x7ff80000
	s_brev_b32 s4, 4
	s_branch .LBB127_1211
.LBB127_1209:
	s_mov_b32 s11, -1
	s_mov_b32 s10, 0
                                        ; implicit-def: $sgpr4_sgpr5
	s_branch .LBB127_1212
.LBB127_1210:
	s_mov_b32 s10, -1
                                        ; implicit-def: $sgpr4_sgpr5
.LBB127_1211:
	s_mov_b32 s11, 0
.LBB127_1212:
	s_delay_alu instid0(SALU_CYCLE_1)
	s_and_b32 vcc_lo, exec_lo, s11
	s_cbranch_vccz .LBB127_1214
; %bb.1213:
	v_cmp_ne_u16_e64 s10, 0, v0
	s_mov_b64 s[4:5], 0
.LBB127_1214:
	s_delay_alu instid0(SALU_CYCLE_1) | instskip(NEXT) | instid1(VALU_DEP_2)
	v_dual_mov_b32 v0, s4 :: v_dual_mov_b32 v1, s5
	s_and_not1_b32 vcc_lo, exec_lo, s10
	s_cbranch_vccnz .LBB127_1216
; %bb.1215:
	v_lshrrev_b16 v0, 2, s6
	s_and_b32 s4, s6, 3
	s_lshl_b32 s12, s6, 24
	s_clz_i32_u32 s5, s4
	s_delay_alu instid0(SALU_CYCLE_1) | instskip(SKIP_4) | instid1(VALU_DEP_1)
	s_min_u32 s5, s5, 32
	v_readfirstlane_b32 s10, v0
	s_sub_i32 s11, s5, 29
	s_sub_i32 s5, 30, s5
	s_lshl_b32 s11, s6, s11
	s_and_b32 s10, s10, 31
	s_and_b32 s11, s11, 3
	s_cmp_eq_u32 s10, 0
	s_cselect_b32 s5, s5, s10
	s_cselect_b32 s4, s11, s4
	s_lshl_b32 s5, s5, 23
	s_and_b32 s10, s12, 0x80000000
	s_add_i32 s5, s5, 0x37800000
	s_lshl_b32 s4, s4, 21
	s_or_b32 s5, s10, s5
	s_delay_alu instid0(SALU_CYCLE_1) | instskip(NEXT) | instid1(SALU_CYCLE_1)
	s_or_b32 s4, s5, s4
	v_cvt_f64_f32_e32 v[0:1], s4
.LBB127_1216:
	s_mov_b32 s4, 0
	global_store_b64 v[6:7], v[0:1], off
.LBB127_1217:
	s_and_b32 vcc_lo, exec_lo, s4
	s_cbranch_vccz .LBB127_1229
; %bb.1218:
	v_and_b32_e64 v0, 0xff, s6
	s_delay_alu instid0(VALU_DEP_1)
	v_cmp_gt_i16_e32 vcc_lo, 0x80, v0
	s_cbranch_vccnz .LBB127_1221
; %bb.1219:
	v_cmp_eq_u16_e32 vcc_lo, 0x80, v0
	s_cbranch_vccz .LBB127_1222
; %bb.1220:
	s_mov_b32 s4, 0
	s_mov_b32 s5, 0x7f800001
	s_branch .LBB127_1223
.LBB127_1221:
	s_mov_b32 s10, -1
	s_mov_b32 s4, 0
                                        ; implicit-def: $sgpr5
	s_branch .LBB127_1224
.LBB127_1222:
	s_mov_b32 s4, -1
                                        ; implicit-def: $sgpr5
.LBB127_1223:
	s_mov_b32 s10, 0
.LBB127_1224:
	v_mov_b32_e32 v1, s5
	s_and_b32 vcc_lo, exec_lo, s10
	s_cbranch_vccz .LBB127_1226
; %bb.1225:
	v_and_b32_e32 v1, 0xffff, v0
	v_cmp_ne_u16_e64 s4, 0, v0
.LBB127_1226:
	s_delay_alu instid0(VALU_DEP_1)
	s_and_not1_b32 vcc_lo, exec_lo, s4
	s_cbranch_vccnz .LBB127_1228
; %bb.1227:
	v_lshrrev_b16 v0, 2, s6
	s_and_b32 s4, s6, 3
	s_lshl_b32 s12, s6, 24
	s_clz_i32_u32 s5, s4
	s_delay_alu instid0(SALU_CYCLE_1) | instskip(SKIP_4) | instid1(VALU_DEP_1)
	s_min_u32 s5, s5, 32
	v_readfirstlane_b32 s10, v0
	s_sub_i32 s11, s5, 29
	s_sub_i32 s5, 30, s5
	s_lshl_b32 s11, s6, s11
	s_and_b32 s10, s10, 31
	s_and_b32 s11, s11, 3
	s_cmp_eq_u32 s10, 0
	s_cselect_b32 s5, s5, s10
	s_cselect_b32 s4, s11, s4
	s_lshl_b32 s5, s5, 23
	s_and_b32 s10, s12, 0x80000000
	s_add_i32 s5, s5, 0x37800000
	s_lshl_b32 s4, s4, 21
	s_or_b32 s5, s10, s5
	s_delay_alu instid0(SALU_CYCLE_1) | instskip(NEXT) | instid1(SALU_CYCLE_1)
	s_or_b32 s4, s5, s4
	v_mov_b32_e32 v1, s4
.LBB127_1228:
	global_store_b32 v[6:7], v1, off
.LBB127_1229:
	s_mov_b32 s4, 0
.LBB127_1230:
	s_delay_alu instid0(SALU_CYCLE_1)
	s_and_not1_b32 vcc_lo, exec_lo, s4
	s_cbranch_vccnz .LBB127_1242
; %bb.1231:
	v_and_b32_e64 v0, 0xff, s6
	s_delay_alu instid0(VALU_DEP_1)
	v_cmp_gt_i16_e32 vcc_lo, 0x80, v0
	s_cbranch_vccnz .LBB127_1234
; %bb.1232:
	v_cmp_eq_u16_e32 vcc_lo, 0x80, v0
	s_cbranch_vccz .LBB127_1235
; %bb.1233:
	s_mov_b32 s4, 0
	s_movk_i32 s5, 0x7e00
	s_branch .LBB127_1236
.LBB127_1234:
	s_mov_b32 s10, -1
	s_mov_b32 s4, 0
                                        ; implicit-def: $sgpr5
	s_branch .LBB127_1237
.LBB127_1235:
	s_mov_b32 s4, -1
                                        ; implicit-def: $sgpr5
.LBB127_1236:
	s_mov_b32 s10, 0
.LBB127_1237:
	v_mov_b32_e32 v1, s5
	s_and_b32 vcc_lo, exec_lo, s10
	s_cbranch_vccz .LBB127_1239
; %bb.1238:
	v_cmp_ne_u16_e64 s4, 0, v0
	v_mov_b32_e32 v1, v0
.LBB127_1239:
	s_delay_alu instid0(VALU_DEP_2)
	s_and_not1_b32 vcc_lo, exec_lo, s4
	s_cbranch_vccnz .LBB127_1241
; %bb.1240:
	v_lshrrev_b16 v0, 2, s6
	s_and_b32 s4, s6, 3
	s_lshl_b32 s12, s6, 24
	s_clz_i32_u32 s5, s4
	s_delay_alu instid0(SALU_CYCLE_1) | instskip(SKIP_4) | instid1(VALU_DEP_1)
	s_min_u32 s5, s5, 32
	v_readfirstlane_b32 s10, v0
	s_sub_i32 s11, s5, 29
	s_sub_i32 s5, 30, s5
	s_lshl_b32 s11, s6, s11
	s_and_b32 s10, s10, 31
	s_and_b32 s11, s11, 3
	s_cmp_eq_u32 s10, 0
	s_cselect_b32 s5, s5, s10
	s_cselect_b32 s4, s11, s4
	s_lshl_b32 s5, s5, 23
	s_and_b32 s10, s12, 0x80000000
	s_add_i32 s5, s5, 0x37800000
	s_lshl_b32 s4, s4, 21
	s_or_b32 s5, s10, s5
	s_delay_alu instid0(SALU_CYCLE_1) | instskip(NEXT) | instid1(SALU_CYCLE_1)
	s_or_b32 s4, s5, s4
	v_cvt_f16_f32_e32 v1, s4
.LBB127_1241:
	global_store_b16 v[6:7], v1, off
.LBB127_1242:
	s_mov_b32 s4, 0
.LBB127_1243:
	s_delay_alu instid0(SALU_CYCLE_1)
	s_and_not1_b32 vcc_lo, exec_lo, s4
	s_cbranch_vccnz .LBB127_1294
; %bb.1244:
	v_cmp_gt_i16_e32 vcc_lo, 2, v9
	s_mov_b32 s4, -1
	s_cbranch_vccnz .LBB127_1275
; %bb.1245:
	v_cmp_gt_i16_e32 vcc_lo, 3, v9
	s_cbranch_vccnz .LBB127_1265
; %bb.1246:
	v_cmp_lt_i16_e32 vcc_lo, 3, v9
	s_cbranch_vccz .LBB127_1255
; %bb.1247:
	v_and_b32_e64 v0, 0xff, s6
	s_delay_alu instid0(VALU_DEP_1)
	v_cmp_gt_i16_e32 vcc_lo, 0x80, v0
	s_cbranch_vccnz .LBB127_1249
; %bb.1248:
	v_cmp_ne_u16_e64 s10, 0x80, v0
	s_mov_b32 s11, 0
	s_mov_b64 s[4:5], 0
	s_branch .LBB127_1250
.LBB127_1249:
	s_mov_b32 s11, -1
	s_mov_b32 s10, 0
                                        ; implicit-def: $sgpr4_sgpr5
.LBB127_1250:
	s_and_not1_b32 vcc_lo, exec_lo, s11
	s_cbranch_vccnz .LBB127_1252
; %bb.1251:
	v_cmp_ne_u16_e64 s10, 0, v0
	s_mov_b64 s[4:5], 0
.LBB127_1252:
	s_delay_alu instid0(SALU_CYCLE_1) | instskip(NEXT) | instid1(VALU_DEP_2)
	v_dual_mov_b32 v0, s4 :: v_dual_mov_b32 v1, s5
	s_and_not1_b32 vcc_lo, exec_lo, s10
	s_cbranch_vccnz .LBB127_1254
; %bb.1253:
	v_lshrrev_b16 v0, 2, s6
	s_and_b32 s4, s6, 3
	s_lshl_b32 s11, s6, 24
	s_clz_i32_u32 s5, s4
	s_delay_alu instid0(SALU_CYCLE_1) | instskip(SKIP_4) | instid1(VALU_DEP_1)
	s_min_u32 s5, s5, 32
	v_readfirstlane_b32 s10, v0
	s_sub_i32 s12, s5, 29
	s_sub_i32 s5, 30, s5
	s_lshl_b32 s12, s6, s12
	s_and_b32 s10, s10, 31
	s_and_b32 s12, s12, 3
	s_cmp_eq_u32 s10, 0
	s_cselect_b32 s5, s5, s10
	s_cselect_b32 s4, s12, s4
	s_lshl_b32 s5, s5, 23
	s_and_b32 s10, s11, 0x80000000
	s_add_i32 s5, s5, 0x37800000
	s_lshl_b32 s4, s4, 21
	s_or_b32 s5, s10, s5
	s_delay_alu instid0(SALU_CYCLE_1) | instskip(NEXT) | instid1(SALU_CYCLE_1)
	s_or_b32 s4, s5, s4
	v_trunc_f32_e32 v0, s4
	s_delay_alu instid0(VALU_DEP_1) | instskip(SKIP_1) | instid1(VALU_DEP_2)
	v_mul_f32_e64 v1, 0x2f800000, |v0|
	v_ashrrev_i32_e32 v3, 31, v0
	v_floor_f32_e32 v1, v1
	s_delay_alu instid0(VALU_DEP_1) | instskip(SKIP_1) | instid1(VALU_DEP_2)
	v_fma_f32 v2, 0xcf800000, v1, |v0|
	v_cvt_u32_f32_e32 v1, v1
	v_cvt_u32_f32_e32 v0, v2
	s_delay_alu instid0(VALU_DEP_2) | instskip(NEXT) | instid1(VALU_DEP_2)
	v_xor_b32_e32 v1, v1, v3
	v_xor_b32_e32 v0, v0, v3
	s_delay_alu instid0(VALU_DEP_1) | instskip(NEXT) | instid1(VALU_DEP_3)
	v_sub_co_u32 v0, vcc_lo, v0, v3
	v_sub_co_ci_u32_e32 v1, vcc_lo, v1, v3, vcc_lo
.LBB127_1254:
	s_mov_b32 s4, 0
	global_store_b64 v[6:7], v[0:1], off
.LBB127_1255:
	s_and_b32 vcc_lo, exec_lo, s4
	s_cbranch_vccz .LBB127_1264
; %bb.1256:
	v_and_b32_e64 v0, 0xff, s6
	s_delay_alu instid0(VALU_DEP_1)
	v_cmp_gt_i16_e32 vcc_lo, 0x80, v0
	s_cbranch_vccnz .LBB127_1258
; %bb.1257:
	v_cmp_ne_u16_e64 s4, 0x80, v0
	s_mov_b32 s10, 0
	s_mov_b32 s5, 0
	s_branch .LBB127_1259
.LBB127_1258:
	s_mov_b32 s10, -1
	s_mov_b32 s4, 0
                                        ; implicit-def: $sgpr5
.LBB127_1259:
	s_and_not1_b32 vcc_lo, exec_lo, s10
	s_cbranch_vccnz .LBB127_1261
; %bb.1260:
	v_cmp_ne_u16_e64 s4, 0, v0
	s_mov_b32 s5, 0
.LBB127_1261:
	s_delay_alu instid0(SALU_CYCLE_1) | instskip(NEXT) | instid1(VALU_DEP_2)
	v_mov_b32_e32 v0, s5
	s_and_not1_b32 vcc_lo, exec_lo, s4
	s_cbranch_vccnz .LBB127_1263
; %bb.1262:
	v_lshrrev_b16 v0, 2, s6
	s_and_b32 s4, s6, 3
	s_lshl_b32 s12, s6, 24
	s_clz_i32_u32 s5, s4
	s_delay_alu instid0(SALU_CYCLE_1) | instskip(SKIP_4) | instid1(VALU_DEP_1)
	s_min_u32 s5, s5, 32
	v_readfirstlane_b32 s10, v0
	s_sub_i32 s11, s5, 29
	s_sub_i32 s5, 30, s5
	s_lshl_b32 s11, s6, s11
	s_and_b32 s10, s10, 31
	s_and_b32 s11, s11, 3
	s_cmp_eq_u32 s10, 0
	s_cselect_b32 s5, s5, s10
	s_cselect_b32 s4, s11, s4
	s_lshl_b32 s5, s5, 23
	s_and_b32 s10, s12, 0x80000000
	s_add_i32 s5, s5, 0x37800000
	s_lshl_b32 s4, s4, 21
	s_or_b32 s5, s10, s5
	s_delay_alu instid0(SALU_CYCLE_1) | instskip(NEXT) | instid1(SALU_CYCLE_1)
	s_or_b32 s4, s5, s4
	v_cvt_i32_f32_e32 v0, s4
.LBB127_1263:
	global_store_b32 v[6:7], v0, off
.LBB127_1264:
	s_mov_b32 s4, 0
.LBB127_1265:
	s_delay_alu instid0(SALU_CYCLE_1)
	s_and_not1_b32 vcc_lo, exec_lo, s4
	s_cbranch_vccnz .LBB127_1274
; %bb.1266:
	v_and_b32_e64 v0, 0xff, s6
	s_delay_alu instid0(VALU_DEP_1)
	v_cmp_gt_i16_e32 vcc_lo, 0x80, v0
	s_cbranch_vccnz .LBB127_1268
; %bb.1267:
	v_cmp_ne_u16_e64 s4, 0x80, v0
	s_mov_b32 s10, 0
	s_mov_b32 s5, 0
	s_branch .LBB127_1269
.LBB127_1268:
	s_mov_b32 s10, -1
	s_mov_b32 s4, 0
                                        ; implicit-def: $sgpr5
.LBB127_1269:
	s_and_not1_b32 vcc_lo, exec_lo, s10
	s_cbranch_vccnz .LBB127_1271
; %bb.1270:
	v_cmp_ne_u16_e64 s4, 0, v0
	s_mov_b32 s5, 0
.LBB127_1271:
	s_delay_alu instid0(SALU_CYCLE_1) | instskip(NEXT) | instid1(VALU_DEP_2)
	v_mov_b32_e32 v0, s5
	s_and_not1_b32 vcc_lo, exec_lo, s4
	s_cbranch_vccnz .LBB127_1273
; %bb.1272:
	v_lshrrev_b16 v0, 2, s6
	s_and_b32 s4, s6, 3
	s_lshl_b32 s12, s6, 24
	s_clz_i32_u32 s5, s4
	s_delay_alu instid0(SALU_CYCLE_1) | instskip(SKIP_4) | instid1(VALU_DEP_1)
	s_min_u32 s5, s5, 32
	v_readfirstlane_b32 s10, v0
	s_sub_i32 s11, s5, 29
	s_sub_i32 s5, 30, s5
	s_lshl_b32 s11, s6, s11
	s_and_b32 s10, s10, 31
	s_and_b32 s11, s11, 3
	s_cmp_eq_u32 s10, 0
	s_cselect_b32 s5, s5, s10
	s_cselect_b32 s4, s11, s4
	s_lshl_b32 s5, s5, 23
	s_and_b32 s10, s12, 0x80000000
	s_add_i32 s5, s5, 0x37800000
	s_lshl_b32 s4, s4, 21
	s_or_b32 s5, s10, s5
	s_delay_alu instid0(SALU_CYCLE_1) | instskip(NEXT) | instid1(SALU_CYCLE_1)
	s_or_b32 s4, s5, s4
	v_cvt_i32_f32_e32 v0, s4
.LBB127_1273:
	global_store_b16 v[6:7], v0, off
.LBB127_1274:
	s_mov_b32 s4, 0
.LBB127_1275:
	s_delay_alu instid0(SALU_CYCLE_1)
	s_and_not1_b32 vcc_lo, exec_lo, s4
	s_cbranch_vccnz .LBB127_1294
; %bb.1276:
	v_cmp_lt_i16_e32 vcc_lo, 0, v9
	s_mov_b32 s4, 0
	s_mov_b32 s5, -1
	s_cbranch_vccz .LBB127_1285
; %bb.1277:
	v_and_b32_e64 v0, 0xff, s6
	s_delay_alu instid0(VALU_DEP_1)
	v_cmp_gt_i16_e32 vcc_lo, 0x80, v0
	s_cbranch_vccnz .LBB127_1279
; %bb.1278:
	v_cmp_ne_u16_e64 s4, 0x80, v0
	s_mov_b32 s10, 0
	s_mov_b32 s5, 0
	s_branch .LBB127_1280
.LBB127_1279:
	s_mov_b32 s10, -1
                                        ; implicit-def: $sgpr5
.LBB127_1280:
	s_delay_alu instid0(SALU_CYCLE_1)
	s_and_not1_b32 vcc_lo, exec_lo, s10
	s_cbranch_vccnz .LBB127_1282
; %bb.1281:
	v_cmp_ne_u16_e64 s4, 0, v0
	s_mov_b32 s5, 0
.LBB127_1282:
	s_delay_alu instid0(SALU_CYCLE_1) | instskip(NEXT) | instid1(VALU_DEP_2)
	v_mov_b32_e32 v0, s5
	s_and_not1_b32 vcc_lo, exec_lo, s4
	s_cbranch_vccnz .LBB127_1284
; %bb.1283:
	v_lshrrev_b16 v0, 2, s6
	s_and_b32 s4, s6, 3
	s_lshl_b32 s12, s6, 24
	s_clz_i32_u32 s5, s4
	s_delay_alu instid0(SALU_CYCLE_1) | instskip(SKIP_4) | instid1(VALU_DEP_1)
	s_min_u32 s5, s5, 32
	v_readfirstlane_b32 s10, v0
	s_sub_i32 s11, s5, 29
	s_sub_i32 s5, 30, s5
	s_lshl_b32 s11, s6, s11
	s_and_b32 s10, s10, 31
	s_and_b32 s11, s11, 3
	s_cmp_eq_u32 s10, 0
	s_cselect_b32 s5, s5, s10
	s_cselect_b32 s4, s11, s4
	s_lshl_b32 s5, s5, 23
	s_and_b32 s10, s12, 0x80000000
	s_add_i32 s5, s5, 0x37800000
	s_lshl_b32 s4, s4, 21
	s_or_b32 s5, s10, s5
	s_delay_alu instid0(SALU_CYCLE_1) | instskip(NEXT) | instid1(SALU_CYCLE_1)
	s_or_b32 s4, s5, s4
	v_cvt_i32_f32_e32 v0, s4
.LBB127_1284:
	s_mov_b32 s5, 0
	global_store_b8 v[6:7], v0, off
.LBB127_1285:
	s_and_b32 vcc_lo, exec_lo, s5
	s_cbranch_vccz .LBB127_1294
; %bb.1286:
	v_and_b32_e64 v0, 0xff, s6
	s_delay_alu instid0(VALU_DEP_1)
	v_cmp_gt_i16_e32 vcc_lo, 0x80, v0
	s_cbranch_vccnz .LBB127_1288
; %bb.1287:
	v_cmp_ne_u16_e64 s4, 0x80, v0
	s_mov_b32 s10, 0
	s_mov_b32 s5, 0
	s_branch .LBB127_1289
.LBB127_1288:
	s_mov_b32 s10, -1
	s_mov_b32 s4, 0
                                        ; implicit-def: $sgpr5
.LBB127_1289:
	s_and_not1_b32 vcc_lo, exec_lo, s10
	s_cbranch_vccnz .LBB127_1291
; %bb.1290:
	v_cmp_ne_u16_e64 s4, 0, v0
	s_mov_b32 s5, 0
.LBB127_1291:
	s_delay_alu instid0(SALU_CYCLE_1) | instskip(NEXT) | instid1(VALU_DEP_2)
	v_mov_b32_e32 v0, s5
	s_and_not1_b32 vcc_lo, exec_lo, s4
	s_cbranch_vccnz .LBB127_1293
; %bb.1292:
	v_lshrrev_b16 v0, 2, s6
	s_and_b32 s4, s6, 3
	s_lshl_b32 s11, s6, 24
	s_clz_i32_u32 s5, s4
	s_delay_alu instid0(SALU_CYCLE_1) | instskip(SKIP_4) | instid1(VALU_DEP_1)
	s_min_u32 s5, s5, 32
	v_readfirstlane_b32 s10, v0
	s_sub_i32 s12, s5, 29
	s_sub_i32 s5, 30, s5
	s_lshl_b32 s12, s6, s12
	s_and_b32 s10, s10, 31
	s_and_b32 s12, s12, 3
	s_cmp_eq_u32 s10, 0
	s_cselect_b32 s5, s5, s10
	s_cselect_b32 s4, s12, s4
	s_lshl_b32 s5, s5, 23
	s_and_b32 s10, s11, 0x80000000
	s_add_i32 s5, s5, 0x37800000
	s_lshl_b32 s4, s4, 21
	s_or_b32 s5, s10, s5
	s_delay_alu instid0(SALU_CYCLE_1) | instskip(NEXT) | instid1(SALU_CYCLE_1)
	s_or_b32 s4, s5, s4
	v_trunc_f32_e32 v0, s4
	s_delay_alu instid0(VALU_DEP_1) | instskip(NEXT) | instid1(VALU_DEP_1)
	v_mul_f32_e64 v1, 0x2f800000, |v0|
	v_floor_f32_e32 v1, v1
	s_delay_alu instid0(VALU_DEP_1) | instskip(SKIP_1) | instid1(VALU_DEP_2)
	v_fma_f32 v1, 0xcf800000, v1, |v0|
	v_ashrrev_i32_e32 v0, 31, v0
	v_cvt_u32_f32_e32 v1, v1
	s_delay_alu instid0(VALU_DEP_1) | instskip(NEXT) | instid1(VALU_DEP_1)
	v_xor_b32_e32 v1, v1, v0
	v_sub_nc_u32_e32 v0, v1, v0
.LBB127_1293:
	global_store_b8 v[6:7], v0, off
.LBB127_1294:
	s_mov_b32 s5, -1
.LBB127_1295:
	s_delay_alu instid0(SALU_CYCLE_1)
	s_and_not1_b32 vcc_lo, exec_lo, s5
	s_cbranch_vccnz .LBB127_1938
; %bb.1296:
	v_cmp_gt_i16_e32 vcc_lo, 11, v9
	v_add_co_u32 v5, s4, s2, v5
	s_delay_alu instid0(VALU_DEP_1)
	v_add_co_ci_u32_e64 v6, null, s3, 0, s4
	s_mov_b32 s5, 0
	s_mov_b32 s4, -1
	s_cbranch_vccnz .LBB127_1790
; %bb.1297:
	v_cmp_lt_i16_e32 vcc_lo, 25, v9
	s_mov_b32 s11, -1
	s_mov_b32 s10, 0
	s_mov_b32 s4, 0
	s_cbranch_vccz .LBB127_1708
; %bb.1298:
	v_cmp_lt_i16_e32 vcc_lo, 28, v9
	s_cbranch_vccz .LBB127_1665
; %bb.1299:
	v_cmp_lt_i16_e32 vcc_lo, 43, v9
	;; [unrolled: 3-line block ×3, first 2 shown]
	s_cbranch_vccz .LBB127_1638
; %bb.1301:
	v_cmp_eq_u16_e32 vcc_lo, 46, v9
	s_mov_b32 s4, -1
	s_mov_b32 s11, 0
	s_cbranch_vccz .LBB127_1638
; %bb.1302:
	v_and_b32_e64 v0, 0xff, s6
	s_delay_alu instid0(VALU_DEP_1)
	v_cmp_gt_i16_e32 vcc_lo, 0x80, v0
	s_cbranch_vccnz .LBB127_1305
; %bb.1303:
	v_cmp_eq_u16_e32 vcc_lo, 0x80, v0
	s_cbranch_vccz .LBB127_1631
; %bb.1304:
	s_mov_b32 s4, 0x7f800001
	s_branch .LBB127_1632
.LBB127_1305:
	s_mov_b32 s12, -1
                                        ; implicit-def: $sgpr4
	s_branch .LBB127_1633
.LBB127_1306:
                                        ; implicit-def: $sgpr16
.LBB127_1307:
	s_mov_b32 s19, 0
.LBB127_1308:
	s_delay_alu instid0(SALU_CYCLE_1)
	s_and_b32 vcc_lo, exec_lo, s19
	s_cbranch_vccz .LBB127_1310
; %bb.1309:
	v_cmp_ne_u16_e64 s18, 0, v0
	s_mov_b32 s16, 0
.LBB127_1310:
	s_delay_alu instid0(VALU_DEP_1)
	s_and_not1_b32 vcc_lo, exec_lo, s18
	s_cbranch_vccnz .LBB127_1312
; %bb.1311:
	s_mov_b32 s16, s26
.LBB127_1312:
	s_delay_alu instid0(SALU_CYCLE_1) | instskip(NEXT) | instid1(SALU_CYCLE_1)
	s_bfe_u32 s18, s16, 0x10010
	s_add_i32 s18, s16, s18
	v_cmp_o_f32_e64 s16, s16, s16
	s_addk_i32 s18, 0x7fff
	s_delay_alu instid0(SALU_CYCLE_1) | instskip(NEXT) | instid1(VALU_DEP_1)
	s_lshr_b32 s18, s18, 16
	s_and_b32 s16, s16, exec_lo
	s_cselect_b32 s16, s18, 0x7fc0
	s_mov_b32 s18, 0
	v_mov_b32_e32 v0, s16
	s_mov_b32 s16, -1
	global_store_b32 v[10:11], v0, off
.LBB127_1313:
	s_and_b32 vcc_lo, exec_lo, s17
	s_cbranch_vccz .LBB127_1326
; %bb.1314:
	v_cmp_eq_u16_e32 vcc_lo, 44, v13
	s_mov_b32 s18, -1
	s_cbranch_vccz .LBB127_1326
; %bb.1315:
	v_and_b32_e64 v0, 0xff, s25
	s_delay_alu instid0(VALU_DEP_1)
	v_cmp_gt_i16_e32 vcc_lo, 0x80, v0
	v_readfirstlane_b32 s17, v0
	s_cbranch_vccnz .LBB127_1318
; %bb.1316:
	s_delay_alu instid0(VALU_DEP_1) | instskip(NEXT) | instid1(VALU_DEP_1)
	v_cmp_eq_u16_e64 s16, 0x80, s17
	s_and_b32 vcc_lo, exec_lo, s16
	s_cbranch_vccz .LBB127_1319
; %bb.1317:
	s_mov_b32 s18, 0
	s_mov_b32 s16, 0x7f800001
	s_branch .LBB127_1320
.LBB127_1318:
	s_mov_b32 s19, -1
	s_mov_b32 s18, 0
                                        ; implicit-def: $sgpr16
	s_branch .LBB127_1321
.LBB127_1319:
                                        ; implicit-def: $sgpr16
.LBB127_1320:
	s_mov_b32 s19, 0
.LBB127_1321:
	s_delay_alu instid0(SALU_CYCLE_1)
	s_and_b32 vcc_lo, exec_lo, s19
	s_cbranch_vccz .LBB127_1331
; %bb.1322:
	v_cmp_ne_u16_e64 s18, s17, 0
	s_and_b32 s16, 0xffff, s17
	s_delay_alu instid0(VALU_DEP_1)
	s_and_not1_b32 vcc_lo, exec_lo, s18
	s_cbranch_vccz .LBB127_1332
.LBB127_1323:
	v_mov_b32_e32 v0, 0xff
	s_bfe_u32 s17, s16, 0x80017
	s_delay_alu instid0(SALU_CYCLE_1)
	s_cmpk_eq_i32 s17, 0xff
	s_cbranch_scc1 .LBB127_1325
.LBB127_1324:
	s_lshr_b32 s18, s16, 23
	s_bitcmp1_b32 s16, 22
	s_cselect_b32 s19, -1, 0
	s_and_b32 s16, s16, 0x3fffff
	s_delay_alu instid0(SALU_CYCLE_1) | instskip(NEXT) | instid1(SALU_CYCLE_1)
	s_or_b32 s16, s17, s16
	s_cmp_lg_u32 s16, 0
	s_cselect_b32 s16, -1, 0
	s_delay_alu instid0(SALU_CYCLE_1) | instskip(NEXT) | instid1(SALU_CYCLE_1)
	s_and_b32 s16, s19, s16
	v_cndmask_b32_e64 v0, 0, 1, s16
	s_delay_alu instid0(VALU_DEP_1)
	v_add_nc_u32_e32 v0, s18, v0
.LBB127_1325:
	s_mov_b32 s16, -1
	s_mov_b32 s18, 0
	global_store_b8 v[10:11], v0, off
.LBB127_1326:
	s_mov_b32 s17, 0
.LBB127_1327:
	s_delay_alu instid0(SALU_CYCLE_1)
	s_and_b32 vcc_lo, exec_lo, s17
	s_cbranch_vccz .LBB127_1339
; %bb.1328:
	v_cmp_eq_u16_e32 vcc_lo, 29, v13
	s_mov_b32 s18, -1
	s_cbranch_vccz .LBB127_1339
; %bb.1329:
	v_and_b32_e64 v0, 0xff, s25
	s_delay_alu instid0(VALU_DEP_1)
	v_cmp_gt_i16_e32 vcc_lo, 0x80, v0
	s_cbranch_vccnz .LBB127_1333
; %bb.1330:
	v_cmp_ne_u16_e64 s18, 0x80, v0
	s_mov_b32 s19, 0
	s_mov_b64 s[16:17], 0
	s_branch .LBB127_1334
.LBB127_1331:
	s_and_not1_b32 vcc_lo, exec_lo, s18
	s_cbranch_vccnz .LBB127_1323
.LBB127_1332:
	s_mov_b32 s16, s28
	v_mov_b32_e32 v0, 0xff
	s_bfe_u32 s17, s16, 0x80017
	s_delay_alu instid0(SALU_CYCLE_1)
	s_cmpk_eq_i32 s17, 0xff
	s_cbranch_scc0 .LBB127_1324
	s_branch .LBB127_1325
.LBB127_1333:
	s_mov_b32 s19, -1
	s_mov_b32 s18, 0
                                        ; implicit-def: $sgpr16_sgpr17
.LBB127_1334:
	s_and_not1_b32 vcc_lo, exec_lo, s19
	s_cbranch_vccnz .LBB127_1336
; %bb.1335:
	v_cmp_ne_u16_e64 s18, 0, v0
	s_mov_b64 s[16:17], 0
.LBB127_1336:
	s_delay_alu instid0(SALU_CYCLE_1) | instskip(NEXT) | instid1(VALU_DEP_2)
	v_dual_mov_b32 v0, s16 :: v_dual_mov_b32 v1, s17
	s_and_not1_b32 vcc_lo, exec_lo, s18
	s_cbranch_vccnz .LBB127_1338
; %bb.1337:
	v_dual_mov_b32 v0, v8 :: v_dual_mov_b32 v1, v9
.LBB127_1338:
	s_mov_b32 s16, -1
	s_mov_b32 s18, 0
	global_store_b64 v[10:11], v[0:1], off
.LBB127_1339:
	s_mov_b32 s17, 0
.LBB127_1340:
	s_delay_alu instid0(SALU_CYCLE_1)
	s_and_b32 vcc_lo, exec_lo, s17
	s_cbranch_vccz .LBB127_1382
; %bb.1341:
	v_cmp_gt_i16_e32 vcc_lo, 27, v13
	s_mov_b32 s16, -1
	s_cbranch_vccnz .LBB127_1361
; %bb.1342:
	v_cmp_lt_i16_e32 vcc_lo, 27, v13
	s_cbranch_vccz .LBB127_1351
; %bb.1343:
	v_and_b32_e64 v0, 0xff, s25
	s_delay_alu instid0(VALU_DEP_1)
	v_cmp_gt_i16_e32 vcc_lo, 0x80, v0
	s_cbranch_vccnz .LBB127_1345
; %bb.1344:
	v_cmp_ne_u16_e64 s16, 0x80, v0
	s_mov_b32 s19, 0
	s_mov_b32 s17, 0
	s_branch .LBB127_1346
.LBB127_1345:
	s_mov_b32 s19, -1
	s_mov_b32 s16, 0
                                        ; implicit-def: $sgpr17
.LBB127_1346:
	s_and_not1_b32 vcc_lo, exec_lo, s19
	s_cbranch_vccnz .LBB127_1348
; %bb.1347:
	v_cmp_ne_u16_e64 s16, 0, v0
	s_mov_b32 s17, 0
.LBB127_1348:
	s_delay_alu instid0(SALU_CYCLE_1) | instskip(NEXT) | instid1(VALU_DEP_2)
	v_mov_b32_e32 v0, s17
	s_and_not1_b32 vcc_lo, exec_lo, s16
	s_cbranch_vccnz .LBB127_1350
; %bb.1349:
	v_mov_b32_e32 v0, v17
.LBB127_1350:
	s_mov_b32 s16, 0
	global_store_b32 v[10:11], v0, off
.LBB127_1351:
	s_and_b32 vcc_lo, exec_lo, s16
	s_cbranch_vccz .LBB127_1360
; %bb.1352:
	v_and_b32_e64 v0, 0xff, s25
	s_delay_alu instid0(VALU_DEP_1)
	v_cmp_gt_i16_e32 vcc_lo, 0x80, v0
	s_cbranch_vccnz .LBB127_1354
; %bb.1353:
	v_cmp_ne_u16_e64 s16, 0x80, v0
	s_mov_b32 s19, 0
	s_mov_b32 s17, 0
	s_branch .LBB127_1355
.LBB127_1354:
	s_mov_b32 s19, -1
	s_mov_b32 s16, 0
                                        ; implicit-def: $sgpr17
.LBB127_1355:
	s_and_not1_b32 vcc_lo, exec_lo, s19
	s_cbranch_vccnz .LBB127_1357
; %bb.1356:
	v_cmp_ne_u16_e64 s16, 0, v0
	s_mov_b32 s17, 0
.LBB127_1357:
	s_delay_alu instid0(SALU_CYCLE_1) | instskip(NEXT) | instid1(VALU_DEP_2)
	v_mov_b32_e32 v0, s17
	s_and_not1_b32 vcc_lo, exec_lo, s16
	s_cbranch_vccnz .LBB127_1359
; %bb.1358:
	v_mov_b32_e32 v0, v17
.LBB127_1359:
	global_store_b16 v[10:11], v0, off
.LBB127_1360:
	s_mov_b32 s16, 0
.LBB127_1361:
	s_delay_alu instid0(SALU_CYCLE_1)
	s_and_not1_b32 vcc_lo, exec_lo, s16
	s_cbranch_vccnz .LBB127_1381
; %bb.1362:
	v_and_b32_e64 v0, 0xff, s25
	s_delay_alu instid0(VALU_DEP_1)
	v_cmp_gt_i16_e32 vcc_lo, 0x80, v0
	s_cbranch_vccnz .LBB127_1365
; %bb.1363:
	v_cmp_eq_u16_e32 vcc_lo, 0x80, v0
	s_cbranch_vccz .LBB127_1366
; %bb.1364:
	s_mov_b32 s17, 0
	s_mov_b32 s16, 0x7f800001
	s_branch .LBB127_1367
.LBB127_1365:
	s_mov_b32 s19, -1
	s_mov_b32 s17, 0
                                        ; implicit-def: $sgpr16
	s_branch .LBB127_1368
.LBB127_1366:
	s_mov_b32 s17, -1
                                        ; implicit-def: $sgpr16
.LBB127_1367:
	s_mov_b32 s19, 0
.LBB127_1368:
	s_delay_alu instid0(SALU_CYCLE_1)
	s_and_b32 vcc_lo, exec_lo, s19
	s_cbranch_vccz .LBB127_1371
; %bb.1369:
	v_cmp_ne_u16_e64 s17, 0, v0
	s_mov_b32 s16, 0
	s_delay_alu instid0(VALU_DEP_1)
	s_and_not1_b32 vcc_lo, exec_lo, s17
	s_cbranch_vccz .LBB127_1372
.LBB127_1370:
	v_mov_b32_e32 v1, 0x80
	s_and_b32 s17, s16, 0x7fffffff
	s_delay_alu instid0(SALU_CYCLE_1)
	s_cmp_gt_u32 s17, 0x437fffff
	s_cbranch_scc0 .LBB127_1373
	s_branch .LBB127_1380
.LBB127_1371:
	s_and_not1_b32 vcc_lo, exec_lo, s17
	s_cbranch_vccnz .LBB127_1370
.LBB127_1372:
	s_mov_b32 s16, s26
	v_mov_b32_e32 v1, 0x80
	s_and_b32 s17, s16, 0x7fffffff
	s_delay_alu instid0(SALU_CYCLE_1)
	s_cmp_gt_u32 s17, 0x437fffff
	s_cbranch_scc1 .LBB127_1380
.LBB127_1373:
	s_cmp_lt_u32 s17, 0x3c000000
	s_cbranch_scc1 .LBB127_1375
; %bb.1374:
	s_bfe_u32 s17, s16, 0x10014
	s_mov_b32 s19, 0
	s_add_i32 s17, s16, s17
	s_delay_alu instid0(SALU_CYCLE_1) | instskip(NEXT) | instid1(SALU_CYCLE_1)
	s_add_i32 s17, s17, 0x487ffff
	s_lshr_b32 s36, s17, 20
	s_mov_b32 s17, -1
	s_branch .LBB127_1376
.LBB127_1375:
	s_mov_b32 s19, -1
	s_mov_b32 s17, 0
                                        ; implicit-def: $sgpr36
.LBB127_1376:
	v_mov_b32_e32 v0, s36
	s_and_not1_b32 vcc_lo, exec_lo, s19
                                        ; implicit-def: $sgpr19
	s_cbranch_vccnz .LBB127_1378
; %bb.1377:
	v_add_f32_e64 v0, 0x46000000, |s16|
	s_mov_b32 s19, 0
	s_delay_alu instid0(VALU_DEP_1) | instskip(NEXT) | instid1(VALU_DEP_1)
	v_and_b32_e32 v0, 0xff, v0
	v_cmp_ne_u32_e64 s17, 0, v0
.LBB127_1378:
	v_mov_b32_e32 v1, s19
	s_delay_alu instid0(VALU_DEP_2)
	s_and_not1_b32 vcc_lo, exec_lo, s17
	s_cbranch_vccnz .LBB127_1380
; %bb.1379:
	s_lshr_b32 s16, s16, 24
	s_delay_alu instid0(SALU_CYCLE_1) | instskip(NEXT) | instid1(SALU_CYCLE_1)
	s_and_b32 s16, s16, 0x80
	v_or_b32_e32 v1, s16, v0
.LBB127_1380:
	global_store_b8 v[10:11], v1, off
.LBB127_1381:
	s_mov_b32 s16, -1
.LBB127_1382:
	s_mov_b32 s17, 0
.LBB127_1383:
	s_delay_alu instid0(SALU_CYCLE_1)
	s_and_b32 vcc_lo, exec_lo, s17
	s_cbranch_vccz .LBB127_1462
; %bb.1384:
	v_cmp_lt_i16_e32 vcc_lo, 22, v13
	s_mov_b32 s17, -1
	s_cbranch_vccz .LBB127_1434
; %bb.1385:
	v_cmp_gt_i16_e32 vcc_lo, 24, v13
	s_mov_b32 s16, -1
	s_cbranch_vccnz .LBB127_1411
; %bb.1386:
	v_cmp_lt_i16_e32 vcc_lo, 24, v13
	s_cbranch_vccz .LBB127_1388
; %bb.1387:
	v_mov_b32_e32 v0, s25
	s_mov_b32 s16, 0
	global_store_b8 v[10:11], v0, off
.LBB127_1388:
	s_and_not1_b32 vcc_lo, exec_lo, s16
	s_cbranch_vccnz .LBB127_1410
; %bb.1389:
	v_and_b32_e64 v0, 0xff, s25
	s_delay_alu instid0(VALU_DEP_1)
	v_cmp_gt_i16_e32 vcc_lo, 0x80, v0
	s_cbranch_vccnz .LBB127_1392
; %bb.1390:
	v_cmp_eq_u16_e32 vcc_lo, 0x80, v0
	s_cbranch_vccz .LBB127_1393
; %bb.1391:
	s_mov_b32 s17, 0
	s_mov_b32 s16, 0x7f800001
	s_branch .LBB127_1394
.LBB127_1392:
	s_mov_b32 s19, -1
	s_mov_b32 s17, 0
                                        ; implicit-def: $sgpr16
	s_branch .LBB127_1395
.LBB127_1393:
                                        ; implicit-def: $sgpr16
.LBB127_1394:
	s_mov_b32 s19, 0
.LBB127_1395:
	s_delay_alu instid0(SALU_CYCLE_1)
	s_and_b32 vcc_lo, exec_lo, s19
	s_cbranch_vccz .LBB127_1400
; %bb.1396:
	v_cmp_ne_u16_e64 s17, 0, v0
	s_mov_b32 s16, 0
	s_delay_alu instid0(VALU_DEP_1)
	s_and_not1_b32 vcc_lo, exec_lo, s17
	s_cbranch_vccz .LBB127_1401
.LBB127_1397:
	s_and_b32 s17, s16, 0x7fffffff
	s_delay_alu instid0(SALU_CYCLE_1)
	s_cmp_gt_u32 s17, 0x43efffff
	s_cbranch_scc1 .LBB127_1402
.LBB127_1398:
	s_cmp_lt_u32 s17, 0x3c800000
	s_cbranch_scc1 .LBB127_1403
; %bb.1399:
	s_bfe_u32 s19, s16, 0x10014
	s_delay_alu instid0(SALU_CYCLE_1) | instskip(NEXT) | instid1(SALU_CYCLE_1)
	s_add_i32 s19, s16, s19
	s_add_i32 s19, s19, 0x407ffff
	s_delay_alu instid0(SALU_CYCLE_1)
	s_and_b32 s36, s19, 0xff00000
	s_lshr_b32 s19, s19, 20
	s_cmp_lg_u32 s36, 0x7f00000
	s_cselect_b32 s36, s19, 0x7e
	s_mov_b32 s19, 0
	s_branch .LBB127_1404
.LBB127_1400:
	s_and_not1_b32 vcc_lo, exec_lo, s17
	s_cbranch_vccnz .LBB127_1397
.LBB127_1401:
	s_mov_b32 s16, s26
	s_delay_alu instid0(SALU_CYCLE_1) | instskip(NEXT) | instid1(SALU_CYCLE_1)
	s_and_b32 s17, s16, 0x7fffffff
	s_cmp_gt_u32 s17, 0x43efffff
	s_cbranch_scc0 .LBB127_1398
.LBB127_1402:
	s_mov_b32 s19, -1
                                        ; implicit-def: $vgpr0
	s_branch .LBB127_1407
.LBB127_1403:
	s_mov_b32 s19, -1
                                        ; implicit-def: $sgpr36
.LBB127_1404:
	v_mov_b32_e32 v0, s36
	s_and_not1_b32 vcc_lo, exec_lo, s19
	s_cbranch_vccnz .LBB127_1406
; %bb.1405:
	v_add_f32_e64 v0, 0x46800000, |s16|
.LBB127_1406:
	s_mov_b32 s19, 0
.LBB127_1407:
	s_delay_alu instid0(SALU_CYCLE_1)
	s_and_not1_b32 vcc_lo, exec_lo, s19
	s_cbranch_vccnz .LBB127_1409
; %bb.1408:
	s_cmp_gt_u32 s17, 0x7f800000
	s_movk_i32 s17, 0x7f
	s_delay_alu instid0(SALU_CYCLE_1) | instskip(NEXT) | instid1(SALU_CYCLE_1)
	s_cselect_b32 s17, s17, 0x7e
	v_mov_b32_e32 v0, s17
.LBB127_1409:
	s_lshr_b32 s16, s16, 24
	s_delay_alu instid0(SALU_CYCLE_1)
	s_and_b32 s16, s16, 0x80
	s_delay_alu instid0(VALU_DEP_1) | instid1(SALU_CYCLE_1)
	v_or_b32_e32 v0, s16, v0
	global_store_b8 v[10:11], v0, off
.LBB127_1410:
	s_mov_b32 s16, 0
.LBB127_1411:
	s_delay_alu instid0(SALU_CYCLE_1)
	s_and_not1_b32 vcc_lo, exec_lo, s16
	s_cbranch_vccnz .LBB127_1433
; %bb.1412:
	v_and_b32_e64 v0, 0xff, s25
	s_delay_alu instid0(VALU_DEP_1)
	v_cmp_gt_i16_e32 vcc_lo, 0x80, v0
	s_cbranch_vccnz .LBB127_1415
; %bb.1413:
	v_cmp_eq_u16_e32 vcc_lo, 0x80, v0
	s_cbranch_vccz .LBB127_1416
; %bb.1414:
	s_mov_b32 s17, 0
	s_mov_b32 s16, 0x7f800001
	s_branch .LBB127_1417
.LBB127_1415:
	s_mov_b32 s19, -1
	s_mov_b32 s17, 0
                                        ; implicit-def: $sgpr16
	s_branch .LBB127_1418
.LBB127_1416:
	s_mov_b32 s17, -1
                                        ; implicit-def: $sgpr16
.LBB127_1417:
	s_mov_b32 s19, 0
.LBB127_1418:
	s_delay_alu instid0(SALU_CYCLE_1)
	s_and_b32 vcc_lo, exec_lo, s19
	s_cbranch_vccz .LBB127_1423
; %bb.1419:
	v_cmp_ne_u16_e64 s17, 0, v0
	s_mov_b32 s16, 0
	s_delay_alu instid0(VALU_DEP_1)
	s_and_not1_b32 vcc_lo, exec_lo, s17
	s_cbranch_vccz .LBB127_1424
.LBB127_1420:
	s_and_b32 s17, s16, 0x7fffffff
	s_delay_alu instid0(SALU_CYCLE_1)
	s_cmp_gt_u32 s17, 0x477fffff
	s_cbranch_scc1 .LBB127_1425
.LBB127_1421:
	s_cmp_lt_u32 s17, 0x38800000
	s_cbranch_scc1 .LBB127_1426
; %bb.1422:
	s_bfe_u32 s19, s16, 0x10015
	s_delay_alu instid0(SALU_CYCLE_1) | instskip(NEXT) | instid1(SALU_CYCLE_1)
	s_add_i32 s19, s16, s19
	s_add_i32 s19, s19, 0x80fffff
	s_delay_alu instid0(SALU_CYCLE_1)
	s_lshr_b32 s36, s19, 21
	s_mov_b32 s19, 0
	s_branch .LBB127_1427
.LBB127_1423:
	s_and_not1_b32 vcc_lo, exec_lo, s17
	s_cbranch_vccnz .LBB127_1420
.LBB127_1424:
	s_mov_b32 s16, s26
	s_delay_alu instid0(SALU_CYCLE_1) | instskip(NEXT) | instid1(SALU_CYCLE_1)
	s_and_b32 s17, s16, 0x7fffffff
	s_cmp_gt_u32 s17, 0x477fffff
	s_cbranch_scc0 .LBB127_1421
.LBB127_1425:
	s_mov_b32 s19, -1
                                        ; implicit-def: $vgpr0
	s_branch .LBB127_1430
.LBB127_1426:
	s_mov_b32 s19, -1
                                        ; implicit-def: $sgpr36
.LBB127_1427:
	v_mov_b32_e32 v0, s36
	s_and_not1_b32 vcc_lo, exec_lo, s19
	s_cbranch_vccnz .LBB127_1429
; %bb.1428:
	v_add_f32_e64 v0, 0x43000000, |s16|
.LBB127_1429:
	s_mov_b32 s19, 0
.LBB127_1430:
	s_delay_alu instid0(SALU_CYCLE_1)
	s_and_not1_b32 vcc_lo, exec_lo, s19
	s_cbranch_vccnz .LBB127_1432
; %bb.1431:
	s_cmp_gt_u32 s17, 0x7f800000
	s_movk_i32 s17, 0x7f
	s_delay_alu instid0(SALU_CYCLE_1) | instskip(NEXT) | instid1(SALU_CYCLE_1)
	s_cselect_b32 s17, s17, 0x7c
	v_mov_b32_e32 v0, s17
.LBB127_1432:
	s_lshr_b32 s16, s16, 24
	s_delay_alu instid0(SALU_CYCLE_1)
	s_and_b32 s16, s16, 0x80
	s_delay_alu instid0(VALU_DEP_1) | instid1(SALU_CYCLE_1)
	v_or_b32_e32 v0, s16, v0
	global_store_b8 v[10:11], v0, off
.LBB127_1433:
	s_mov_b32 s17, 0
	s_mov_b32 s16, -1
.LBB127_1434:
	s_and_not1_b32 vcc_lo, exec_lo, s17
	s_cbranch_vccnz .LBB127_1462
; %bb.1435:
	v_cmp_lt_i16_e32 vcc_lo, 14, v13
	s_mov_b32 s17, -1
	s_cbranch_vccz .LBB127_1449
; %bb.1436:
	v_cmp_eq_u16_e32 vcc_lo, 15, v13
	s_mov_b32 s18, -1
	s_cbranch_vccz .LBB127_1448
; %bb.1437:
	v_and_b32_e64 v0, 0xff, s25
	s_delay_alu instid0(VALU_DEP_1)
	v_cmp_gt_i16_e32 vcc_lo, 0x80, v0
	s_cbranch_vccnz .LBB127_1440
; %bb.1438:
	v_cmp_eq_u16_e32 vcc_lo, 0x80, v0
	s_cbranch_vccz .LBB127_1441
; %bb.1439:
	s_mov_b32 s17, 0
	s_mov_b32 s16, 0x7f800001
	s_branch .LBB127_1442
.LBB127_1440:
	s_mov_b32 s17, 0
                                        ; implicit-def: $sgpr16
	s_branch .LBB127_1443
.LBB127_1441:
                                        ; implicit-def: $sgpr16
.LBB127_1442:
	s_mov_b32 s18, 0
.LBB127_1443:
	s_delay_alu instid0(SALU_CYCLE_1)
	s_and_b32 vcc_lo, exec_lo, s18
	s_cbranch_vccz .LBB127_1445
; %bb.1444:
	v_cmp_ne_u16_e64 s17, 0, v0
	s_mov_b32 s16, 0
.LBB127_1445:
	s_delay_alu instid0(VALU_DEP_1)
	s_and_not1_b32 vcc_lo, exec_lo, s17
	s_cbranch_vccnz .LBB127_1447
; %bb.1446:
	s_mov_b32 s16, s26
.LBB127_1447:
	s_delay_alu instid0(SALU_CYCLE_1) | instskip(SKIP_4) | instid1(SALU_CYCLE_1)
	s_bfe_u32 s17, s16, 0x10010
	s_mov_b32 s18, 0
	s_add_i32 s17, s16, s17
	v_cmp_o_f32_e64 s16, s16, s16
	s_addk_i32 s17, 0x7fff
	s_lshr_b32 s17, s17, 16
	s_delay_alu instid0(VALU_DEP_1) | instskip(SKIP_1) | instid1(SALU_CYCLE_1)
	s_and_b32 s16, s16, exec_lo
	s_cselect_b32 s16, s17, 0x7fc0
	v_mov_b32_e32 v0, s16
	s_mov_b32 s16, -1
	global_store_b16 v[10:11], v0, off
.LBB127_1448:
	s_mov_b32 s17, 0
.LBB127_1449:
	s_delay_alu instid0(SALU_CYCLE_1)
	s_and_b32 vcc_lo, exec_lo, s17
	s_cbranch_vccz .LBB127_1462
; %bb.1450:
	v_cmp_eq_u16_e32 vcc_lo, 11, v13
	s_mov_b32 s18, -1
	s_cbranch_vccz .LBB127_1462
; %bb.1451:
	v_and_b32_e64 v0, 0xff, s25
	s_delay_alu instid0(VALU_DEP_1)
	v_cmp_gt_i16_e32 vcc_lo, 0x80, v0
	s_cbranch_vccnz .LBB127_1454
; %bb.1452:
	v_cmp_eq_u16_e32 vcc_lo, 0x80, v0
	s_cbranch_vccz .LBB127_1455
; %bb.1453:
	s_mov_b32 s17, 0
	s_mov_b32 s16, -1
	s_branch .LBB127_1456
.LBB127_1454:
	s_mov_b32 s17, 0
                                        ; implicit-def: $sgpr16
	s_branch .LBB127_1457
.LBB127_1455:
	s_mov_b32 s17, -1
                                        ; implicit-def: $sgpr16
.LBB127_1456:
	s_mov_b32 s18, 0
.LBB127_1457:
	s_delay_alu instid0(SALU_CYCLE_1)
	s_and_b32 vcc_lo, exec_lo, s18
	s_cbranch_vccz .LBB127_1459
; %bb.1458:
	v_cmp_ne_u16_e64 s17, 0, v0
	s_mov_b32 s16, 0
.LBB127_1459:
	s_delay_alu instid0(VALU_DEP_1)
	s_and_not1_b32 vcc_lo, exec_lo, s17
	s_cbranch_vccnz .LBB127_1461
; %bb.1460:
	s_mov_b32 s16, s27
.LBB127_1461:
	s_delay_alu instid0(SALU_CYCLE_1)
	v_cndmask_b32_e64 v0, 0, 1, s16
	s_mov_b32 s16, -1
	s_mov_b32 s18, 0
	global_store_b8 v[10:11], v0, off
.LBB127_1462:
.LBB127_1463:
	s_and_not1_b32 vcc_lo, exec_lo, s16
	s_cbranch_vccnz .LBB127_997
.LBB127_1464:
	v_add_nc_u32_e32 v16, 0x80, v16
	s_mov_b32 s16, -1
.LBB127_1465:
	s_and_not1_b32 s17, s34, exec_lo
	s_and_b32 s18, s18, exec_lo
	s_delay_alu instid0(SALU_CYCLE_1)
	s_or_b32 s36, s17, s18
	s_or_not1_b32 s18, s16, exec_lo
.LBB127_1466:
	s_or_b32 exec_lo, exec_lo, s37
	s_mov_b32 s16, 0
	s_mov_b32 s17, 0
                                        ; implicit-def: $vgpr10_vgpr11
	s_and_saveexec_b32 s37, s18
	s_cbranch_execz .LBB127_2571
; %bb.1467:
	s_mov_b32 s39, -1
	s_mov_b32 s18, s36
	s_mov_b32 s38, exec_lo
	v_cmpx_gt_i32_e64 s30, v16
	s_cbranch_execz .LBB127_2246
; %bb.1468:
	s_and_not1_b32 vcc_lo, exec_lo, s23
	s_cbranch_vccnz .LBB127_1473
; %bb.1469:
	v_mov_b32_e32 v0, 0
	s_and_not1_b32 vcc_lo, exec_lo, s33
	s_cbranch_vccnz .LBB127_1478
; %bb.1470:
	s_add_i32 s40, s31, 1
	s_cmp_eq_u32 s21, 2
	s_mov_b32 s39, 0
	s_cbranch_scc1 .LBB127_1474
; %bb.1471:
	v_dual_mov_b32 v0, 0 :: v_dual_mov_b32 v1, v16
	s_and_b32 s39, s40, 28
	s_mov_b32 s41, 0
	s_mov_b64 s[16:17], s[2:3]
	s_mov_b64 s[18:19], s[14:15]
.LBB127_1472:                           ; =>This Inner Loop Header: Depth=1
	s_clause 0x1
	s_load_b256 s[44:51], s[16:17], 0x4
	s_load_b128 s[52:55], s[16:17], 0x24
	s_load_b128 s[56:59], s[18:19], 0x0
	s_add_u32 s16, s16, 48
	s_addc_u32 s17, s17, 0
	s_add_i32 s41, s41, 4
	s_add_u32 s18, s18, 16
	s_addc_u32 s19, s19, 0
	s_cmp_eq_u32 s39, s41
	s_waitcnt lgkmcnt(0)
	v_mul_hi_u32 v2, s45, v1
	s_delay_alu instid0(VALU_DEP_1) | instskip(NEXT) | instid1(VALU_DEP_1)
	v_add_nc_u32_e32 v2, v1, v2
	v_lshrrev_b32_e32 v2, s46, v2
	s_delay_alu instid0(VALU_DEP_1) | instskip(SKIP_1) | instid1(VALU_DEP_2)
	v_mul_hi_u32 v3, s48, v2
	v_mul_lo_u32 v18, v2, s44
	v_add_nc_u32_e32 v3, v2, v3
	s_delay_alu instid0(VALU_DEP_2) | instskip(NEXT) | instid1(VALU_DEP_2)
	v_sub_nc_u32_e32 v18, v1, v18
	v_lshrrev_b32_e32 v3, s49, v3
	s_delay_alu instid0(VALU_DEP_2) | instskip(NEXT) | instid1(VALU_DEP_2)
	v_mul_lo_u32 v18, v18, s56
	v_mul_hi_u32 v10, s51, v3
	v_mul_lo_u32 v19, v3, s47
	s_delay_alu instid0(VALU_DEP_2) | instskip(NEXT) | instid1(VALU_DEP_2)
	v_add_nc_u32_e32 v10, v3, v10
	v_sub_nc_u32_e32 v2, v2, v19
	s_delay_alu instid0(VALU_DEP_2) | instskip(NEXT) | instid1(VALU_DEP_2)
	v_lshrrev_b32_e32 v10, s52, v10
	v_mul_lo_u32 v2, v2, s57
	s_delay_alu instid0(VALU_DEP_2) | instskip(NEXT) | instid1(VALU_DEP_2)
	v_mul_hi_u32 v11, s54, v10
	v_add3_u32 v0, v18, v0, v2
	s_delay_alu instid0(VALU_DEP_2) | instskip(NEXT) | instid1(VALU_DEP_1)
	v_add_nc_u32_e32 v11, v10, v11
	v_lshrrev_b32_e32 v1, s55, v11
	v_mul_lo_u32 v11, v10, s50
	s_delay_alu instid0(VALU_DEP_2) | instskip(NEXT) | instid1(VALU_DEP_2)
	v_mul_lo_u32 v20, v1, s53
	v_sub_nc_u32_e32 v3, v3, v11
	s_delay_alu instid0(VALU_DEP_2) | instskip(NEXT) | instid1(VALU_DEP_2)
	v_sub_nc_u32_e32 v10, v10, v20
	v_mul_lo_u32 v3, v3, s58
	s_delay_alu instid0(VALU_DEP_2) | instskip(NEXT) | instid1(VALU_DEP_1)
	v_mul_lo_u32 v10, v10, s59
	v_add3_u32 v0, v3, v0, v10
	s_cbranch_scc0 .LBB127_1472
	s_branch .LBB127_1475
.LBB127_1473:
	s_mov_b32 s16, -1
                                        ; implicit-def: $vgpr0
	s_branch .LBB127_1479
.LBB127_1474:
	v_mov_b32_e32 v1, v16
.LBB127_1475:
	s_and_b32 s40, s40, 3
	s_delay_alu instid0(SALU_CYCLE_1)
	s_cmp_eq_u32 s40, 0
	s_cbranch_scc1 .LBB127_1478
; %bb.1476:
	s_lshl_b32 s16, s39, 2
	s_mul_i32 s18, s39, 12
	s_add_u32 s16, s16, s2
	s_addc_u32 s17, s3, 0
	s_add_u32 s16, s16, 0xc4
	s_addc_u32 s17, s17, 0
	;; [unrolled: 2-line block ×3, first 2 shown]
	.p2align	6
.LBB127_1477:                           ; =>This Inner Loop Header: Depth=1
	s_clause 0x1
	s_load_b64 s[42:43], s[18:19], 0x4
	s_load_b32 s39, s[18:19], 0xc
	s_load_b32 s41, s[16:17], 0x0
	s_add_u32 s18, s18, 12
	s_addc_u32 s19, s19, 0
	s_add_u32 s16, s16, 4
	s_addc_u32 s17, s17, 0
	s_add_i32 s40, s40, -1
	s_delay_alu instid0(SALU_CYCLE_1) | instskip(SKIP_2) | instid1(VALU_DEP_1)
	s_cmp_lg_u32 s40, 0
	s_waitcnt lgkmcnt(0)
	v_mul_hi_u32 v2, s43, v1
	v_add_nc_u32_e32 v2, v1, v2
	s_delay_alu instid0(VALU_DEP_1) | instskip(NEXT) | instid1(VALU_DEP_1)
	v_lshrrev_b32_e32 v10, s39, v2
	v_mul_lo_u32 v2, v10, s42
	s_delay_alu instid0(VALU_DEP_1) | instskip(NEXT) | instid1(VALU_DEP_1)
	v_sub_nc_u32_e32 v1, v1, v2
	v_mad_u64_u32 v[2:3], null, v1, s41, v[0:1]
	v_mov_b32_e32 v1, v10
	s_delay_alu instid0(VALU_DEP_2)
	v_mov_b32_e32 v0, v2
	s_cbranch_scc1 .LBB127_1477
.LBB127_1478:
	s_mov_b32 s16, 0
.LBB127_1479:
	s_delay_alu instid0(SALU_CYCLE_1)
	s_and_not1_b32 vcc_lo, exec_lo, s16
	s_cbranch_vccnz .LBB127_1482
; %bb.1480:
	s_waitcnt lgkmcnt(0)
	v_mul_hi_u32 v0, s5, v16
	s_and_not1_b32 vcc_lo, exec_lo, s29
	s_delay_alu instid0(VALU_DEP_1) | instskip(NEXT) | instid1(VALU_DEP_1)
	v_add_nc_u32_e32 v0, v16, v0
	v_lshrrev_b32_e32 v1, s6, v0
	s_delay_alu instid0(VALU_DEP_1) | instskip(NEXT) | instid1(VALU_DEP_1)
	v_mul_lo_u32 v0, v1, s4
	v_sub_nc_u32_e32 v0, v16, v0
	s_delay_alu instid0(VALU_DEP_1)
	v_mul_lo_u32 v0, v0, s10
	s_cbranch_vccnz .LBB127_1482
; %bb.1481:
	v_mul_hi_u32 v2, s12, v1
	s_delay_alu instid0(VALU_DEP_1) | instskip(NEXT) | instid1(VALU_DEP_1)
	v_add_nc_u32_e32 v2, v1, v2
	v_lshrrev_b32_e32 v2, s13, v2
	s_delay_alu instid0(VALU_DEP_1) | instskip(NEXT) | instid1(VALU_DEP_1)
	v_mul_lo_u32 v2, v2, s7
	v_sub_nc_u32_e32 v3, v1, v2
	s_delay_alu instid0(VALU_DEP_1) | instskip(NEXT) | instid1(VALU_DEP_1)
	v_mad_u64_u32 v[1:2], null, v3, s11, v[0:1]
	v_mov_b32_e32 v0, v1
.LBB127_1482:
	v_cmp_gt_i16_e32 vcc_lo, 11, v13
	s_waitcnt lgkmcnt(0)
	s_delay_alu instid0(VALU_DEP_2) | instskip(NEXT) | instid1(VALU_DEP_1)
	v_add_co_u32 v10, s17, s8, v0
	v_add_co_ci_u32_e64 v11, null, s9, 0, s17
	s_mov_b32 s16, 0
	s_mov_b32 s17, -1
	s_mov_b32 s18, s36
	s_cbranch_vccnz .LBB127_1491
; %bb.1483:
	v_cmp_lt_i16_e32 vcc_lo, 25, v13
	s_cbranch_vccz .LBB127_1499
; %bb.1484:
	v_cmp_lt_i16_e32 vcc_lo, 28, v13
	s_cbranch_vccz .LBB127_1500
; %bb.1485:
	v_cmp_lt_i16_e32 vcc_lo, 43, v13
	s_cbranch_vccz .LBB127_1501
; %bb.1486:
	v_cmp_lt_i16_e32 vcc_lo, 45, v13
	s_cbranch_vccz .LBB127_1502
; %bb.1487:
	v_cmp_eq_u16_e32 vcc_lo, 46, v13
	s_mov_b32 s17, 0
	s_mov_b32 s18, -1
	s_cbranch_vccz .LBB127_2093
; %bb.1488:
	v_and_b32_e64 v0, 0xff, s25
	s_delay_alu instid0(VALU_DEP_1)
	v_cmp_gt_i16_e32 vcc_lo, 0x80, v0
	s_cbranch_vccnz .LBB127_1504
; %bb.1489:
	v_cmp_eq_u16_e32 vcc_lo, 0x80, v0
	s_cbranch_vccz .LBB127_2086
; %bb.1490:
	s_mov_b32 s18, 0
	s_mov_b32 s16, 0x7f800001
	s_branch .LBB127_2087
.LBB127_1491:
	s_and_b32 vcc_lo, exec_lo, s17
	s_cbranch_vccz .LBB127_2243
; %bb.1492:
	v_cmp_gt_i16_e32 vcc_lo, 5, v13
	s_mov_b32 s16, -1
	s_cbranch_vccnz .LBB127_1578
; %bb.1493:
	v_cmp_gt_i16_e32 vcc_lo, 8, v13
	s_cbranch_vccnz .LBB127_1538
; %bb.1494:
	v_cmp_gt_i16_e32 vcc_lo, 9, v13
	s_cbranch_vccnz .LBB127_1525
; %bb.1495:
	v_cmp_lt_i16_e32 vcc_lo, 9, v13
	s_cbranch_vccz .LBB127_1512
; %bb.1496:
	v_and_b32_e64 v0, 0xff, s25
	s_delay_alu instid0(VALU_DEP_1)
	v_cmp_gt_i16_e32 vcc_lo, 0x80, v0
	s_cbranch_vccnz .LBB127_1503
; %bb.1497:
	v_cmp_eq_u16_e32 vcc_lo, 0x80, v0
	s_cbranch_vccz .LBB127_1505
; %bb.1498:
	s_mov_b32 s19, 0
	s_mov_b32 s17, 0x7ff80000
	s_brev_b32 s16, 4
	s_branch .LBB127_1506
.LBB127_1499:
	s_mov_b32 s18, s36
	s_branch .LBB127_2163
.LBB127_1500:
	s_mov_b32 s18, s36
	s_branch .LBB127_2120
.LBB127_1501:
	s_mov_b32 s18, s36
	s_branch .LBB127_2107
.LBB127_1502:
	s_mov_b32 s18, s36
	s_branch .LBB127_2093
.LBB127_1503:
	s_mov_b32 s39, -1
	s_mov_b32 s19, 0
                                        ; implicit-def: $sgpr16_sgpr17
	s_branch .LBB127_1507
.LBB127_1504:
	s_mov_b32 s19, -1
	s_mov_b32 s18, 0
                                        ; implicit-def: $sgpr16
	s_branch .LBB127_2088
.LBB127_1505:
	s_mov_b32 s19, -1
                                        ; implicit-def: $sgpr16_sgpr17
.LBB127_1506:
	s_mov_b32 s39, 0
.LBB127_1507:
	s_delay_alu instid0(SALU_CYCLE_1)
	s_and_b32 vcc_lo, exec_lo, s39
	s_cbranch_vccz .LBB127_1509
; %bb.1508:
	v_cmp_ne_u16_e64 s19, 0, v0
	s_mov_b64 s[16:17], 0
.LBB127_1509:
	s_delay_alu instid0(SALU_CYCLE_1) | instskip(NEXT) | instid1(VALU_DEP_2)
	v_dual_mov_b32 v0, s16 :: v_dual_mov_b32 v1, s17
	s_and_not1_b32 vcc_lo, exec_lo, s19
	s_cbranch_vccnz .LBB127_1511
; %bb.1510:
	v_dual_mov_b32 v0, v6 :: v_dual_mov_b32 v1, v7
.LBB127_1511:
	v_mov_b32_e32 v2, 0
	s_mov_b32 s16, 0
	s_delay_alu instid0(VALU_DEP_1)
	v_mov_b32_e32 v3, v2
	global_store_b128 v[10:11], v[0:3], off
.LBB127_1512:
	s_and_b32 vcc_lo, exec_lo, s16
	s_cbranch_vccz .LBB127_1524
; %bb.1513:
	v_and_b32_e64 v1, 0xff, s25
	s_delay_alu instid0(VALU_DEP_1)
	v_cmp_gt_i16_e32 vcc_lo, 0x80, v1
	s_cbranch_vccnz .LBB127_1516
; %bb.1514:
	v_cmp_eq_u16_e32 vcc_lo, 0x80, v1
	s_cbranch_vccz .LBB127_1517
; %bb.1515:
	s_mov_b32 s16, 0
	s_mov_b32 s17, 0x7f800001
	s_branch .LBB127_1518
.LBB127_1516:
	s_mov_b32 s19, -1
	s_mov_b32 s16, 0
                                        ; implicit-def: $sgpr17
	s_branch .LBB127_1519
.LBB127_1517:
	s_mov_b32 s16, -1
                                        ; implicit-def: $sgpr17
.LBB127_1518:
	s_mov_b32 s19, 0
.LBB127_1519:
	v_mov_b32_e32 v0, s17
	s_and_b32 vcc_lo, exec_lo, s19
	s_cbranch_vccz .LBB127_1521
; %bb.1520:
	v_and_b32_e32 v0, 0xffff, v1
	v_cmp_ne_u16_e64 s16, 0, v1
.LBB127_1521:
	s_delay_alu instid0(VALU_DEP_1)
	s_and_not1_b32 vcc_lo, exec_lo, s16
	s_cbranch_vccnz .LBB127_1523
; %bb.1522:
	v_mov_b32_e32 v0, s26
.LBB127_1523:
	v_mov_b32_e32 v1, 0
	global_store_b64 v[10:11], v[0:1], off
.LBB127_1524:
	s_mov_b32 s16, 0
.LBB127_1525:
	s_delay_alu instid0(SALU_CYCLE_1)
	s_and_not1_b32 vcc_lo, exec_lo, s16
	s_cbranch_vccnz .LBB127_1537
; %bb.1526:
	v_and_b32_e64 v0, 0xff, s25
	s_delay_alu instid0(VALU_DEP_1)
	v_cmp_gt_i16_e32 vcc_lo, 0x80, v0
	s_cbranch_vccnz .LBB127_1529
; %bb.1527:
	v_cmp_eq_u16_e32 vcc_lo, 0x80, v0
	s_cbranch_vccz .LBB127_1530
; %bb.1528:
	s_mov_b32 s16, 0
	s_movk_i32 s17, 0x7e00
	s_branch .LBB127_1531
.LBB127_1529:
	s_mov_b32 s19, -1
	s_mov_b32 s16, 0
                                        ; implicit-def: $sgpr17
	s_branch .LBB127_1532
.LBB127_1530:
	s_mov_b32 s16, -1
                                        ; implicit-def: $sgpr17
.LBB127_1531:
	s_mov_b32 s19, 0
.LBB127_1532:
	v_mov_b32_e32 v1, s17
	s_and_b32 vcc_lo, exec_lo, s19
	s_cbranch_vccz .LBB127_1534
; %bb.1533:
	v_and_b32_e32 v1, 0xffff, v0
	v_cmp_ne_u16_e64 s16, 0, v0
.LBB127_1534:
	s_delay_alu instid0(VALU_DEP_1)
	s_and_not1_b32 vcc_lo, exec_lo, s16
	s_cbranch_vccnz .LBB127_1536
; %bb.1535:
	v_mov_b32_e32 v1, v15
.LBB127_1536:
	global_store_b32 v[10:11], v1, off
.LBB127_1537:
	s_mov_b32 s16, 0
.LBB127_1538:
	s_delay_alu instid0(SALU_CYCLE_1)
	s_and_not1_b32 vcc_lo, exec_lo, s16
	s_cbranch_vccnz .LBB127_1577
; %bb.1539:
	v_cmp_gt_i16_e32 vcc_lo, 6, v13
	s_mov_b32 s16, -1
	s_cbranch_vccnz .LBB127_1565
; %bb.1540:
	v_cmp_lt_i16_e32 vcc_lo, 6, v13
	s_cbranch_vccz .LBB127_1552
; %bb.1541:
	v_and_b32_e64 v0, 0xff, s25
	s_delay_alu instid0(VALU_DEP_1)
	v_cmp_gt_i16_e32 vcc_lo, 0x80, v0
	s_cbranch_vccnz .LBB127_1544
; %bb.1542:
	v_cmp_eq_u16_e32 vcc_lo, 0x80, v0
	s_cbranch_vccz .LBB127_1545
; %bb.1543:
	s_mov_b32 s19, 0
	s_mov_b32 s17, 0x7ff80000
	s_brev_b32 s16, 4
	s_branch .LBB127_1546
.LBB127_1544:
	s_mov_b32 s39, -1
	s_mov_b32 s19, 0
                                        ; implicit-def: $sgpr16_sgpr17
	s_branch .LBB127_1547
.LBB127_1545:
	s_mov_b32 s19, -1
                                        ; implicit-def: $sgpr16_sgpr17
.LBB127_1546:
	s_mov_b32 s39, 0
.LBB127_1547:
	s_delay_alu instid0(SALU_CYCLE_1)
	s_and_b32 vcc_lo, exec_lo, s39
	s_cbranch_vccz .LBB127_1549
; %bb.1548:
	v_cmp_ne_u16_e64 s19, 0, v0
	s_mov_b64 s[16:17], 0
.LBB127_1549:
	s_delay_alu instid0(SALU_CYCLE_1) | instskip(NEXT) | instid1(VALU_DEP_2)
	v_dual_mov_b32 v0, s16 :: v_dual_mov_b32 v1, s17
	s_and_not1_b32 vcc_lo, exec_lo, s19
	s_cbranch_vccnz .LBB127_1551
; %bb.1550:
	v_dual_mov_b32 v0, v6 :: v_dual_mov_b32 v1, v7
.LBB127_1551:
	s_mov_b32 s16, 0
	global_store_b64 v[10:11], v[0:1], off
.LBB127_1552:
	s_and_b32 vcc_lo, exec_lo, s16
	s_cbranch_vccz .LBB127_1564
; %bb.1553:
	v_and_b32_e64 v0, 0xff, s25
	s_delay_alu instid0(VALU_DEP_1)
	v_cmp_gt_i16_e32 vcc_lo, 0x80, v0
	s_cbranch_vccnz .LBB127_1556
; %bb.1554:
	v_cmp_eq_u16_e32 vcc_lo, 0x80, v0
	s_cbranch_vccz .LBB127_1557
; %bb.1555:
	s_mov_b32 s17, 0
	s_mov_b32 s16, 0x7f800001
	s_branch .LBB127_1558
.LBB127_1556:
	s_mov_b32 s19, -1
	s_mov_b32 s17, 0
                                        ; implicit-def: $sgpr16
	s_branch .LBB127_1559
.LBB127_1557:
	s_mov_b32 s17, -1
                                        ; implicit-def: $sgpr16
.LBB127_1558:
	s_mov_b32 s19, 0
.LBB127_1559:
	s_delay_alu instid0(SALU_CYCLE_1)
	s_and_b32 vcc_lo, exec_lo, s19
	s_cbranch_vccz .LBB127_1561
; %bb.1560:
	v_cmp_ne_u16_e64 s17, 0, v0
	s_mov_b32 s16, 0
.LBB127_1561:
	s_delay_alu instid0(VALU_DEP_1)
	s_and_not1_b32 vcc_lo, exec_lo, s17
	s_cbranch_vccnz .LBB127_1563
; %bb.1562:
	s_mov_b32 s16, s26
.LBB127_1563:
	s_delay_alu instid0(SALU_CYCLE_1)
	v_mov_b32_e32 v0, s16
	global_store_b32 v[10:11], v0, off
.LBB127_1564:
	s_mov_b32 s16, 0
.LBB127_1565:
	s_delay_alu instid0(SALU_CYCLE_1)
	s_and_not1_b32 vcc_lo, exec_lo, s16
	s_cbranch_vccnz .LBB127_1577
; %bb.1566:
	v_and_b32_e64 v0, 0xff, s25
	s_delay_alu instid0(VALU_DEP_1)
	v_cmp_gt_i16_e32 vcc_lo, 0x80, v0
	s_cbranch_vccnz .LBB127_1569
; %bb.1567:
	v_cmp_eq_u16_e32 vcc_lo, 0x80, v0
	s_cbranch_vccz .LBB127_1570
; %bb.1568:
	s_mov_b32 s16, 0
	s_movk_i32 s17, 0x7e00
	s_branch .LBB127_1571
.LBB127_1569:
	s_mov_b32 s19, -1
	s_mov_b32 s16, 0
                                        ; implicit-def: $sgpr17
	s_branch .LBB127_1572
.LBB127_1570:
	s_mov_b32 s16, -1
                                        ; implicit-def: $sgpr17
.LBB127_1571:
	s_mov_b32 s19, 0
.LBB127_1572:
	v_mov_b32_e32 v1, s17
	s_and_b32 vcc_lo, exec_lo, s19
	s_cbranch_vccz .LBB127_1574
; %bb.1573:
	v_cmp_ne_u16_e64 s16, 0, v0
	v_mov_b32_e32 v1, v0
.LBB127_1574:
	s_delay_alu instid0(VALU_DEP_2)
	s_and_not1_b32 vcc_lo, exec_lo, s16
	s_cbranch_vccnz .LBB127_1576
; %bb.1575:
	v_mov_b32_e32 v1, v14
.LBB127_1576:
	global_store_b16 v[10:11], v1, off
.LBB127_1577:
	s_mov_b32 s16, 0
.LBB127_1578:
	s_delay_alu instid0(SALU_CYCLE_1)
	s_and_not1_b32 vcc_lo, exec_lo, s16
	s_cbranch_vccnz .LBB127_1629
; %bb.1579:
	v_cmp_gt_i16_e32 vcc_lo, 2, v13
	s_mov_b32 s16, -1
	s_cbranch_vccnz .LBB127_1610
; %bb.1580:
	v_cmp_gt_i16_e32 vcc_lo, 3, v13
	s_cbranch_vccnz .LBB127_1600
; %bb.1581:
	v_cmp_lt_i16_e32 vcc_lo, 3, v13
	s_cbranch_vccz .LBB127_1590
; %bb.1582:
	v_and_b32_e64 v0, 0xff, s25
	s_delay_alu instid0(VALU_DEP_1)
	v_cmp_gt_i16_e32 vcc_lo, 0x80, v0
	s_cbranch_vccnz .LBB127_1584
; %bb.1583:
	v_cmp_ne_u16_e64 s19, 0x80, v0
	s_mov_b32 s39, 0
	s_mov_b64 s[16:17], 0
	s_branch .LBB127_1585
.LBB127_1584:
	s_mov_b32 s39, -1
	s_mov_b32 s19, 0
                                        ; implicit-def: $sgpr16_sgpr17
.LBB127_1585:
	s_and_not1_b32 vcc_lo, exec_lo, s39
	s_cbranch_vccnz .LBB127_1587
; %bb.1586:
	v_cmp_ne_u16_e64 s19, 0, v0
	s_mov_b64 s[16:17], 0
.LBB127_1587:
	s_delay_alu instid0(SALU_CYCLE_1) | instskip(NEXT) | instid1(VALU_DEP_2)
	v_dual_mov_b32 v0, s16 :: v_dual_mov_b32 v1, s17
	s_and_not1_b32 vcc_lo, exec_lo, s19
	s_cbranch_vccnz .LBB127_1589
; %bb.1588:
	v_dual_mov_b32 v0, v4 :: v_dual_mov_b32 v1, v5
.LBB127_1589:
	s_mov_b32 s16, 0
	global_store_b64 v[10:11], v[0:1], off
.LBB127_1590:
	s_and_b32 vcc_lo, exec_lo, s16
	s_cbranch_vccz .LBB127_1599
; %bb.1591:
	v_and_b32_e64 v0, 0xff, s25
	s_delay_alu instid0(VALU_DEP_1)
	v_cmp_gt_i16_e32 vcc_lo, 0x80, v0
	s_cbranch_vccnz .LBB127_1593
; %bb.1592:
	v_cmp_ne_u16_e64 s16, 0x80, v0
	s_mov_b32 s19, 0
	s_mov_b32 s17, 0
	s_branch .LBB127_1594
.LBB127_1593:
	s_mov_b32 s19, -1
	s_mov_b32 s16, 0
                                        ; implicit-def: $sgpr17
.LBB127_1594:
	s_and_not1_b32 vcc_lo, exec_lo, s19
	s_cbranch_vccnz .LBB127_1596
; %bb.1595:
	v_cmp_ne_u16_e64 s16, 0, v0
	s_mov_b32 s17, 0
.LBB127_1596:
	s_delay_alu instid0(SALU_CYCLE_1) | instskip(NEXT) | instid1(VALU_DEP_2)
	v_mov_b32_e32 v0, s17
	s_and_not1_b32 vcc_lo, exec_lo, s16
	s_cbranch_vccnz .LBB127_1598
; %bb.1597:
	v_mov_b32_e32 v0, v12
.LBB127_1598:
	global_store_b32 v[10:11], v0, off
.LBB127_1599:
	s_mov_b32 s16, 0
.LBB127_1600:
	s_delay_alu instid0(SALU_CYCLE_1)
	s_and_not1_b32 vcc_lo, exec_lo, s16
	s_cbranch_vccnz .LBB127_1609
; %bb.1601:
	v_and_b32_e64 v0, 0xff, s25
	s_delay_alu instid0(VALU_DEP_1)
	v_cmp_gt_i16_e32 vcc_lo, 0x80, v0
	s_cbranch_vccnz .LBB127_1603
; %bb.1602:
	v_cmp_ne_u16_e64 s16, 0x80, v0
	s_mov_b32 s19, 0
	s_mov_b32 s17, 0
	s_branch .LBB127_1604
.LBB127_1603:
	s_mov_b32 s19, -1
	s_mov_b32 s16, 0
                                        ; implicit-def: $sgpr17
.LBB127_1604:
	s_and_not1_b32 vcc_lo, exec_lo, s19
	s_cbranch_vccnz .LBB127_1606
; %bb.1605:
	v_cmp_ne_u16_e64 s16, 0, v0
	s_mov_b32 s17, 0
.LBB127_1606:
	s_delay_alu instid0(SALU_CYCLE_1) | instskip(NEXT) | instid1(VALU_DEP_2)
	v_mov_b32_e32 v0, s17
	s_and_not1_b32 vcc_lo, exec_lo, s16
	s_cbranch_vccnz .LBB127_1608
; %bb.1607:
	v_mov_b32_e32 v0, v12
.LBB127_1608:
	global_store_b16 v[10:11], v0, off
.LBB127_1609:
	s_mov_b32 s16, 0
.LBB127_1610:
	s_delay_alu instid0(SALU_CYCLE_1)
	s_and_not1_b32 vcc_lo, exec_lo, s16
	s_cbranch_vccnz .LBB127_1629
; %bb.1611:
	v_cmp_lt_i16_e32 vcc_lo, 0, v13
	s_mov_b32 s16, 0
	s_mov_b32 s17, -1
	s_cbranch_vccz .LBB127_1620
; %bb.1612:
	v_and_b32_e64 v0, 0xff, s25
	s_delay_alu instid0(VALU_DEP_1)
	v_cmp_gt_i16_e32 vcc_lo, 0x80, v0
	s_cbranch_vccnz .LBB127_1614
; %bb.1613:
	v_cmp_ne_u16_e64 s16, 0x80, v0
	s_mov_b32 s19, 0
	s_mov_b32 s17, 0
	s_branch .LBB127_1615
.LBB127_1614:
	s_mov_b32 s19, -1
                                        ; implicit-def: $sgpr17
.LBB127_1615:
	s_delay_alu instid0(SALU_CYCLE_1)
	s_and_not1_b32 vcc_lo, exec_lo, s19
	s_cbranch_vccnz .LBB127_1617
; %bb.1616:
	v_cmp_ne_u16_e64 s16, 0, v0
	s_mov_b32 s17, 0
.LBB127_1617:
	s_delay_alu instid0(SALU_CYCLE_1) | instskip(NEXT) | instid1(VALU_DEP_2)
	v_mov_b32_e32 v0, s17
	s_and_not1_b32 vcc_lo, exec_lo, s16
	s_cbranch_vccnz .LBB127_1619
; %bb.1618:
	v_mov_b32_e32 v0, v12
.LBB127_1619:
	s_mov_b32 s17, 0
	global_store_b8 v[10:11], v0, off
.LBB127_1620:
	s_and_b32 vcc_lo, exec_lo, s17
	s_cbranch_vccz .LBB127_1629
; %bb.1621:
	v_and_b32_e64 v0, 0xff, s25
	s_delay_alu instid0(VALU_DEP_1)
	v_cmp_gt_i16_e32 vcc_lo, 0x80, v0
	s_cbranch_vccnz .LBB127_1623
; %bb.1622:
	v_cmp_ne_u16_e64 s16, 0x80, v0
	s_mov_b32 s19, 0
	s_mov_b32 s17, 0
	s_branch .LBB127_1624
.LBB127_1623:
	s_mov_b32 s19, -1
	s_mov_b32 s16, 0
                                        ; implicit-def: $sgpr17
.LBB127_1624:
	s_and_not1_b32 vcc_lo, exec_lo, s19
	s_cbranch_vccnz .LBB127_1626
; %bb.1625:
	v_cmp_ne_u16_e64 s16, 0, v0
	s_mov_b32 s17, 0
.LBB127_1626:
	s_delay_alu instid0(SALU_CYCLE_1) | instskip(NEXT) | instid1(VALU_DEP_2)
	v_mov_b32_e32 v0, s17
	s_and_not1_b32 vcc_lo, exec_lo, s16
	s_cbranch_vccnz .LBB127_1628
; %bb.1627:
	v_mov_b32_e32 v0, v4
.LBB127_1628:
	global_store_b8 v[10:11], v0, off
.LBB127_1629:
	s_branch .LBB127_2244
.LBB127_1630:
	s_mov_b32 s16, 0
                                        ; implicit-def: $vgpr16
	s_branch .LBB127_2245
.LBB127_1631:
	s_mov_b32 s5, -1
                                        ; implicit-def: $sgpr4
.LBB127_1632:
	s_mov_b32 s12, 0
.LBB127_1633:
	s_delay_alu instid0(SALU_CYCLE_1)
	s_and_b32 vcc_lo, exec_lo, s12
	s_cbranch_vccz .LBB127_1635
; %bb.1634:
	v_cmp_ne_u16_e64 s5, 0, v0
	s_mov_b32 s4, 0
.LBB127_1635:
	s_delay_alu instid0(VALU_DEP_1)
	s_and_not1_b32 vcc_lo, exec_lo, s5
	s_cbranch_vccnz .LBB127_1637
; %bb.1636:
	v_lshrrev_b16 v0, 2, s6
	s_and_b32 s4, s6, 3
	s_lshl_b32 s14, s6, 24
	s_clz_i32_u32 s5, s4
	s_delay_alu instid0(SALU_CYCLE_1) | instskip(SKIP_4) | instid1(VALU_DEP_1)
	s_min_u32 s5, s5, 32
	v_readfirstlane_b32 s12, v0
	s_sub_i32 s13, s5, 29
	s_sub_i32 s5, 30, s5
	s_lshl_b32 s13, s6, s13
	s_and_b32 s12, s12, 31
	s_and_b32 s13, s13, 3
	s_cmp_eq_u32 s12, 0
	s_cselect_b32 s5, s5, s12
	s_cselect_b32 s4, s13, s4
	s_lshl_b32 s5, s5, 23
	s_and_b32 s12, s14, 0x80000000
	s_add_i32 s5, s5, 0x37800000
	s_lshl_b32 s4, s4, 21
	s_or_b32 s5, s12, s5
	s_delay_alu instid0(SALU_CYCLE_1)
	s_or_b32 s4, s5, s4
.LBB127_1637:
	s_delay_alu instid0(SALU_CYCLE_1) | instskip(NEXT) | instid1(SALU_CYCLE_1)
	s_bfe_u32 s5, s4, 0x10010
	s_add_i32 s5, s4, s5
	v_cmp_o_f32_e64 s4, s4, s4
	s_addk_i32 s5, 0x7fff
	s_delay_alu instid0(SALU_CYCLE_1) | instskip(NEXT) | instid1(VALU_DEP_1)
	s_lshr_b32 s5, s5, 16
	s_and_b32 s4, s4, exec_lo
	s_cselect_b32 s4, s5, 0x7fc0
	s_mov_b32 s5, -1
	v_mov_b32_e32 v0, s4
	s_mov_b32 s4, 0
	global_store_b32 v[5:6], v0, off
.LBB127_1638:
	s_and_b32 vcc_lo, exec_lo, s11
	s_cbranch_vccz .LBB127_1651
; %bb.1639:
	v_cmp_eq_u16_e32 vcc_lo, 44, v9
	s_mov_b32 s4, -1
	s_cbranch_vccz .LBB127_1651
; %bb.1640:
	v_and_b32_e64 v0, 0xff, s6
	s_delay_alu instid0(VALU_DEP_1)
	v_cmp_gt_i16_e32 vcc_lo, 0x80, v0
	v_readfirstlane_b32 s5, v0
	s_cbranch_vccnz .LBB127_1643
; %bb.1641:
	s_delay_alu instid0(VALU_DEP_1) | instskip(NEXT) | instid1(VALU_DEP_1)
	v_cmp_eq_u16_e64 s4, 0x80, s5
	s_and_b32 vcc_lo, exec_lo, s4
	s_cbranch_vccz .LBB127_1644
; %bb.1642:
	s_mov_b32 s11, 0
	s_mov_b32 s4, 0x7f800001
	s_branch .LBB127_1645
.LBB127_1643:
	s_mov_b32 s12, -1
	s_mov_b32 s11, 0
                                        ; implicit-def: $sgpr4
	s_branch .LBB127_1646
.LBB127_1644:
	s_mov_b32 s11, -1
                                        ; implicit-def: $sgpr4
.LBB127_1645:
	s_mov_b32 s12, 0
.LBB127_1646:
	s_delay_alu instid0(SALU_CYCLE_1)
	s_and_b32 vcc_lo, exec_lo, s12
	s_cbranch_vccz .LBB127_1656
; %bb.1647:
	v_cmp_ne_u16_e64 s11, s5, 0
	s_and_b32 s4, 0xffff, s5
	s_delay_alu instid0(VALU_DEP_1)
	s_and_not1_b32 vcc_lo, exec_lo, s11
	s_cbranch_vccz .LBB127_1657
.LBB127_1648:
	v_mov_b32_e32 v0, 0xff
	s_bfe_u32 s5, s4, 0x80017
	s_delay_alu instid0(SALU_CYCLE_1)
	s_cmpk_eq_i32 s5, 0xff
	s_cbranch_scc1 .LBB127_1650
.LBB127_1649:
	s_lshr_b32 s11, s4, 23
	s_bitcmp1_b32 s4, 22
	s_cselect_b32 s12, -1, 0
	s_and_b32 s4, s4, 0x3fffff
	s_delay_alu instid0(SALU_CYCLE_1) | instskip(NEXT) | instid1(SALU_CYCLE_1)
	s_or_b32 s4, s5, s4
	s_cmp_lg_u32 s4, 0
	s_cselect_b32 s4, -1, 0
	s_delay_alu instid0(SALU_CYCLE_1) | instskip(NEXT) | instid1(SALU_CYCLE_1)
	s_and_b32 s4, s12, s4
	v_cndmask_b32_e64 v0, 0, 1, s4
	s_delay_alu instid0(VALU_DEP_1)
	v_add_nc_u32_e32 v0, s11, v0
.LBB127_1650:
	s_mov_b32 s4, 0
	s_mov_b32 s5, -1
	global_store_b8 v[5:6], v0, off
.LBB127_1651:
	s_mov_b32 s11, 0
.LBB127_1652:
	s_delay_alu instid0(SALU_CYCLE_1)
	s_and_b32 vcc_lo, exec_lo, s11
	s_cbranch_vccz .LBB127_1664
; %bb.1653:
	v_cmp_eq_u16_e32 vcc_lo, 29, v9
	s_mov_b32 s4, -1
	s_cbranch_vccz .LBB127_1664
; %bb.1654:
	v_and_b32_e64 v0, 0xff, s6
	s_delay_alu instid0(VALU_DEP_1)
	v_cmp_gt_i16_e32 vcc_lo, 0x80, v0
	s_cbranch_vccnz .LBB127_1658
; %bb.1655:
	v_cmp_ne_u16_e64 s11, 0x80, v0
	s_mov_b32 s12, 0
	s_mov_b64 s[4:5], 0
	s_branch .LBB127_1659
.LBB127_1656:
	s_and_not1_b32 vcc_lo, exec_lo, s11
	s_cbranch_vccnz .LBB127_1648
.LBB127_1657:
	v_lshrrev_b16 v0, 2, s6
	s_and_b32 s4, s6, 3
	s_delay_alu instid0(SALU_CYCLE_1) | instskip(NEXT) | instid1(SALU_CYCLE_1)
	s_clz_i32_u32 s5, s4
	s_min_u32 s5, s5, 32
	s_delay_alu instid0(VALU_DEP_1) | instskip(SKIP_3) | instid1(VALU_DEP_1)
	v_readfirstlane_b32 s11, v0
	s_sub_i32 s12, s5, 29
	s_sub_i32 s5, 30, s5
	s_lshl_b32 s12, s6, s12
	s_and_b32 s11, s11, 31
	s_and_b32 s12, s12, 3
	s_cmp_eq_u32 s11, 0
	s_cselect_b32 s4, s12, s4
	s_cselect_b32 s5, s5, s11
	s_lshl_b32 s4, s4, 21
	s_lshl_b32 s5, s5, 23
	s_delay_alu instid0(SALU_CYCLE_1) | instskip(NEXT) | instid1(SALU_CYCLE_1)
	s_or_b32 s4, s5, s4
	s_add_i32 s4, s4, 0x37800000
	v_mov_b32_e32 v0, 0xff
	s_bfe_u32 s5, s4, 0x80017
	s_delay_alu instid0(SALU_CYCLE_1)
	s_cmpk_eq_i32 s5, 0xff
	s_cbranch_scc0 .LBB127_1649
	s_branch .LBB127_1650
.LBB127_1658:
	s_mov_b32 s12, -1
	s_mov_b32 s11, 0
                                        ; implicit-def: $sgpr4_sgpr5
.LBB127_1659:
	s_and_not1_b32 vcc_lo, exec_lo, s12
	s_cbranch_vccnz .LBB127_1661
; %bb.1660:
	v_cmp_ne_u16_e64 s11, 0, v0
	s_mov_b64 s[4:5], 0
.LBB127_1661:
	s_delay_alu instid0(SALU_CYCLE_1) | instskip(NEXT) | instid1(VALU_DEP_2)
	v_dual_mov_b32 v0, s4 :: v_dual_mov_b32 v1, s5
	s_and_not1_b32 vcc_lo, exec_lo, s11
	s_cbranch_vccnz .LBB127_1663
; %bb.1662:
	v_lshrrev_b16 v0, 2, s6
	s_and_b32 s4, s6, 3
	s_lshl_b32 s12, s6, 24
	s_clz_i32_u32 s5, s4
	s_delay_alu instid0(SALU_CYCLE_1) | instskip(SKIP_4) | instid1(VALU_DEP_1)
	s_min_u32 s5, s5, 32
	v_readfirstlane_b32 s11, v0
	s_sub_i32 s13, s5, 29
	s_sub_i32 s5, 30, s5
	s_lshl_b32 s13, s6, s13
	s_and_b32 s11, s11, 31
	s_and_b32 s13, s13, 3
	s_cmp_eq_u32 s11, 0
	s_cselect_b32 s5, s5, s11
	s_cselect_b32 s4, s13, s4
	s_lshl_b32 s5, s5, 23
	s_and_b32 s11, s12, 0x80000000
	s_add_i32 s5, s5, 0x37800000
	s_lshl_b32 s4, s4, 21
	s_or_b32 s5, s11, s5
	s_delay_alu instid0(SALU_CYCLE_1) | instskip(NEXT) | instid1(SALU_CYCLE_1)
	s_or_b32 s4, s5, s4
	v_trunc_f32_e32 v0, s4
	s_delay_alu instid0(VALU_DEP_1) | instskip(NEXT) | instid1(VALU_DEP_1)
	v_mul_f32_e32 v1, 0x2f800000, v0
	v_floor_f32_e32 v1, v1
	s_delay_alu instid0(VALU_DEP_1) | instskip(SKIP_1) | instid1(VALU_DEP_2)
	v_fmamk_f32 v0, v1, 0xcf800000, v0
	v_cvt_u32_f32_e32 v1, v1
	v_cvt_u32_f32_e32 v0, v0
.LBB127_1663:
	s_mov_b32 s4, 0
	s_mov_b32 s5, -1
	global_store_b64 v[5:6], v[0:1], off
.LBB127_1664:
	s_mov_b32 s11, 0
.LBB127_1665:
	s_delay_alu instid0(SALU_CYCLE_1)
	s_and_b32 vcc_lo, exec_lo, s11
	s_cbranch_vccz .LBB127_1707
; %bb.1666:
	v_cmp_gt_i16_e32 vcc_lo, 27, v9
	s_mov_b32 s5, -1
	s_cbranch_vccnz .LBB127_1686
; %bb.1667:
	v_cmp_lt_i16_e32 vcc_lo, 27, v9
	s_cbranch_vccz .LBB127_1676
; %bb.1668:
	v_and_b32_e64 v0, 0xff, s6
	s_delay_alu instid0(VALU_DEP_1)
	v_cmp_gt_i16_e32 vcc_lo, 0x80, v0
	s_cbranch_vccnz .LBB127_1670
; %bb.1669:
	v_cmp_ne_u16_e64 s5, 0x80, v0
	s_mov_b32 s12, 0
	s_mov_b32 s11, 0
	s_branch .LBB127_1671
.LBB127_1670:
	s_mov_b32 s12, -1
	s_mov_b32 s5, 0
                                        ; implicit-def: $sgpr11
.LBB127_1671:
	s_and_not1_b32 vcc_lo, exec_lo, s12
	s_cbranch_vccnz .LBB127_1673
; %bb.1672:
	v_cmp_ne_u16_e64 s5, 0, v0
	s_mov_b32 s11, 0
.LBB127_1673:
	s_delay_alu instid0(SALU_CYCLE_1) | instskip(NEXT) | instid1(VALU_DEP_2)
	v_mov_b32_e32 v0, s11
	s_and_not1_b32 vcc_lo, exec_lo, s5
	s_cbranch_vccnz .LBB127_1675
; %bb.1674:
	v_lshrrev_b16 v0, 2, s6
	s_and_b32 s5, s6, 3
	s_lshl_b32 s14, s6, 24
	s_clz_i32_u32 s11, s5
	s_delay_alu instid0(SALU_CYCLE_1) | instskip(SKIP_4) | instid1(VALU_DEP_1)
	s_min_u32 s11, s11, 32
	v_readfirstlane_b32 s12, v0
	s_sub_i32 s13, s11, 29
	s_sub_i32 s11, 30, s11
	s_lshl_b32 s13, s6, s13
	s_and_b32 s12, s12, 31
	s_and_b32 s13, s13, 3
	s_cmp_eq_u32 s12, 0
	s_cselect_b32 s11, s11, s12
	s_cselect_b32 s5, s13, s5
	s_lshl_b32 s11, s11, 23
	s_and_b32 s12, s14, 0x80000000
	s_add_i32 s11, s11, 0x37800000
	s_lshl_b32 s5, s5, 21
	s_or_b32 s11, s12, s11
	s_delay_alu instid0(SALU_CYCLE_1) | instskip(NEXT) | instid1(SALU_CYCLE_1)
	s_or_b32 s5, s11, s5
	v_cvt_u32_f32_e32 v0, s5
.LBB127_1675:
	s_mov_b32 s5, 0
	global_store_b32 v[5:6], v0, off
.LBB127_1676:
	s_and_b32 vcc_lo, exec_lo, s5
	s_cbranch_vccz .LBB127_1685
; %bb.1677:
	v_and_b32_e64 v0, 0xff, s6
	s_delay_alu instid0(VALU_DEP_1)
	v_cmp_gt_i16_e32 vcc_lo, 0x80, v0
	s_cbranch_vccnz .LBB127_1679
; %bb.1678:
	v_cmp_ne_u16_e64 s5, 0x80, v0
	s_mov_b32 s12, 0
	s_mov_b32 s11, 0
	s_branch .LBB127_1680
.LBB127_1679:
	s_mov_b32 s12, -1
	s_mov_b32 s5, 0
                                        ; implicit-def: $sgpr11
.LBB127_1680:
	s_and_not1_b32 vcc_lo, exec_lo, s12
	s_cbranch_vccnz .LBB127_1682
; %bb.1681:
	v_cmp_ne_u16_e64 s5, 0, v0
	s_mov_b32 s11, 0
.LBB127_1682:
	s_delay_alu instid0(SALU_CYCLE_1) | instskip(NEXT) | instid1(VALU_DEP_2)
	v_mov_b32_e32 v0, s11
	s_and_not1_b32 vcc_lo, exec_lo, s5
	s_cbranch_vccnz .LBB127_1684
; %bb.1683:
	v_lshrrev_b16 v0, 2, s6
	s_and_b32 s5, s6, 3
	s_lshl_b32 s14, s6, 24
	s_clz_i32_u32 s11, s5
	s_delay_alu instid0(SALU_CYCLE_1) | instskip(SKIP_4) | instid1(VALU_DEP_1)
	s_min_u32 s11, s11, 32
	v_readfirstlane_b32 s12, v0
	s_sub_i32 s13, s11, 29
	s_sub_i32 s11, 30, s11
	s_lshl_b32 s13, s6, s13
	s_and_b32 s12, s12, 31
	s_and_b32 s13, s13, 3
	s_cmp_eq_u32 s12, 0
	s_cselect_b32 s11, s11, s12
	s_cselect_b32 s5, s13, s5
	s_lshl_b32 s11, s11, 23
	s_and_b32 s12, s14, 0x80000000
	s_add_i32 s11, s11, 0x37800000
	s_lshl_b32 s5, s5, 21
	s_or_b32 s11, s12, s11
	s_delay_alu instid0(SALU_CYCLE_1) | instskip(NEXT) | instid1(SALU_CYCLE_1)
	s_or_b32 s5, s11, s5
	v_cvt_u32_f32_e32 v0, s5
.LBB127_1684:
	global_store_b16 v[5:6], v0, off
.LBB127_1685:
	s_mov_b32 s5, 0
.LBB127_1686:
	s_delay_alu instid0(SALU_CYCLE_1)
	s_and_not1_b32 vcc_lo, exec_lo, s5
	s_cbranch_vccnz .LBB127_1706
; %bb.1687:
	v_and_b32_e64 v0, 0xff, s6
	s_delay_alu instid0(VALU_DEP_1)
	v_cmp_gt_i16_e32 vcc_lo, 0x80, v0
	s_cbranch_vccnz .LBB127_1690
; %bb.1688:
	v_cmp_eq_u16_e32 vcc_lo, 0x80, v0
	s_cbranch_vccz .LBB127_1691
; %bb.1689:
	s_mov_b32 s11, 0
	s_mov_b32 s5, 0x7f800001
	s_branch .LBB127_1692
.LBB127_1690:
	s_mov_b32 s12, -1
	s_mov_b32 s11, 0
                                        ; implicit-def: $sgpr5
	s_branch .LBB127_1693
.LBB127_1691:
	s_mov_b32 s11, -1
                                        ; implicit-def: $sgpr5
.LBB127_1692:
	s_mov_b32 s12, 0
.LBB127_1693:
	s_delay_alu instid0(SALU_CYCLE_1)
	s_and_b32 vcc_lo, exec_lo, s12
	s_cbranch_vccz .LBB127_1696
; %bb.1694:
	v_cmp_ne_u16_e64 s11, 0, v0
	s_mov_b32 s5, 0
	s_delay_alu instid0(VALU_DEP_1)
	s_and_not1_b32 vcc_lo, exec_lo, s11
	s_cbranch_vccz .LBB127_1697
.LBB127_1695:
	v_mov_b32_e32 v1, 0x80
	s_and_b32 s11, s5, 0x7fffffff
	s_delay_alu instid0(SALU_CYCLE_1)
	s_cmp_gt_u32 s11, 0x437fffff
	s_cbranch_scc0 .LBB127_1698
	s_branch .LBB127_1705
.LBB127_1696:
	s_and_not1_b32 vcc_lo, exec_lo, s11
	s_cbranch_vccnz .LBB127_1695
.LBB127_1697:
	v_lshrrev_b16 v0, 2, s6
	s_and_b32 s5, s6, 3
	s_lshl_b32 s14, s6, 24
	s_clz_i32_u32 s11, s5
	s_delay_alu instid0(SALU_CYCLE_1) | instskip(SKIP_4) | instid1(VALU_DEP_1)
	s_min_u32 s11, s11, 32
	v_readfirstlane_b32 s12, v0
	s_sub_i32 s13, s11, 29
	s_sub_i32 s11, 30, s11
	s_lshl_b32 s13, s6, s13
	s_and_b32 s12, s12, 31
	s_and_b32 s13, s13, 3
	s_cmp_eq_u32 s12, 0
	s_cselect_b32 s11, s11, s12
	s_cselect_b32 s5, s13, s5
	s_lshl_b32 s11, s11, 23
	s_and_b32 s12, s14, 0x80000000
	s_add_i32 s11, s11, 0x37800000
	s_lshl_b32 s5, s5, 21
	s_or_b32 s11, s12, s11
	s_delay_alu instid0(SALU_CYCLE_1) | instskip(SKIP_2) | instid1(SALU_CYCLE_1)
	s_or_b32 s5, s11, s5
	v_mov_b32_e32 v1, 0x80
	s_and_b32 s11, s5, 0x7fffffff
	s_cmp_gt_u32 s11, 0x437fffff
	s_cbranch_scc1 .LBB127_1705
.LBB127_1698:
	s_cmp_gt_u32 s11, 0x3bffffff
	s_cbranch_scc0 .LBB127_1700
; %bb.1699:
	s_bfe_u32 s11, s5, 0x10014
	s_mov_b32 s12, 0
	s_add_i32 s11, s5, s11
	s_delay_alu instid0(SALU_CYCLE_1) | instskip(NEXT) | instid1(SALU_CYCLE_1)
	s_add_i32 s11, s11, 0x487ffff
	s_lshr_b32 s13, s11, 20
	s_mov_b32 s11, -1
	s_branch .LBB127_1701
.LBB127_1700:
	s_mov_b32 s12, -1
	s_mov_b32 s11, 0
                                        ; implicit-def: $sgpr13
.LBB127_1701:
	v_mov_b32_e32 v0, s13
	s_and_not1_b32 vcc_lo, exec_lo, s12
                                        ; implicit-def: $sgpr12
	s_cbranch_vccnz .LBB127_1703
; %bb.1702:
	v_add_f32_e64 v0, 0x46000000, |s5|
	s_mov_b32 s12, 0
	s_delay_alu instid0(VALU_DEP_1) | instskip(NEXT) | instid1(VALU_DEP_1)
	v_and_b32_e32 v0, 0xff, v0
	v_cmp_ne_u32_e64 s11, 0, v0
.LBB127_1703:
	v_mov_b32_e32 v1, s12
	s_delay_alu instid0(VALU_DEP_2)
	s_and_not1_b32 vcc_lo, exec_lo, s11
	s_cbranch_vccnz .LBB127_1705
; %bb.1704:
	s_lshr_b32 s5, s5, 24
	s_delay_alu instid0(SALU_CYCLE_1) | instskip(NEXT) | instid1(SALU_CYCLE_1)
	s_and_b32 s5, s5, 0x80
	v_or_b32_e32 v1, s5, v0
.LBB127_1705:
	global_store_b8 v[5:6], v1, off
.LBB127_1706:
	s_mov_b32 s5, -1
.LBB127_1707:
	s_mov_b32 s11, 0
.LBB127_1708:
	s_delay_alu instid0(SALU_CYCLE_1)
	s_and_b32 vcc_lo, exec_lo, s11
	s_cbranch_vccz .LBB127_1776
; %bb.1709:
	v_cmp_lt_i16_e32 vcc_lo, 22, v9
	s_mov_b32 s10, -1
	s_cbranch_vccz .LBB127_1759
; %bb.1710:
	v_cmp_gt_i16_e32 vcc_lo, 24, v9
	s_mov_b32 s5, -1
	s_cbranch_vccnz .LBB127_1736
; %bb.1711:
	v_cmp_lt_i16_e32 vcc_lo, 24, v9
	s_cbranch_vccz .LBB127_1713
; %bb.1712:
	v_mov_b32_e32 v0, s6
	s_mov_b32 s5, 0
	global_store_b8 v[5:6], v0, off
.LBB127_1713:
	s_and_not1_b32 vcc_lo, exec_lo, s5
	s_cbranch_vccnz .LBB127_1735
; %bb.1714:
	v_and_b32_e64 v0, 0xff, s6
	s_delay_alu instid0(VALU_DEP_1)
	v_cmp_gt_i16_e32 vcc_lo, 0x80, v0
	s_cbranch_vccnz .LBB127_1717
; %bb.1715:
	v_cmp_eq_u16_e32 vcc_lo, 0x80, v0
	s_cbranch_vccz .LBB127_1718
; %bb.1716:
	s_mov_b32 s10, 0
	s_mov_b32 s5, 0x7f800001
	s_branch .LBB127_1719
.LBB127_1717:
	s_mov_b32 s11, -1
	s_mov_b32 s10, 0
                                        ; implicit-def: $sgpr5
	s_branch .LBB127_1720
.LBB127_1718:
                                        ; implicit-def: $sgpr5
.LBB127_1719:
	s_mov_b32 s11, 0
.LBB127_1720:
	s_delay_alu instid0(SALU_CYCLE_1)
	s_and_b32 vcc_lo, exec_lo, s11
	s_cbranch_vccz .LBB127_1725
; %bb.1721:
	v_cmp_ne_u16_e64 s10, 0, v0
	s_mov_b32 s5, 0
	s_delay_alu instid0(VALU_DEP_1)
	s_and_not1_b32 vcc_lo, exec_lo, s10
	s_cbranch_vccz .LBB127_1726
.LBB127_1722:
	s_and_b32 s10, s5, 0x7fffffff
	s_delay_alu instid0(SALU_CYCLE_1)
	s_cmp_lt_u32 s10, 0x43f00000
	s_cbranch_scc0 .LBB127_1727
.LBB127_1723:
	s_cmp_gt_u32 s10, 0x3c7fffff
	s_cbranch_scc0 .LBB127_1728
; %bb.1724:
	s_bfe_u32 s11, s5, 0x10014
	s_delay_alu instid0(SALU_CYCLE_1) | instskip(NEXT) | instid1(SALU_CYCLE_1)
	s_add_i32 s11, s5, s11
	s_add_i32 s11, s11, 0x407ffff
	s_delay_alu instid0(SALU_CYCLE_1)
	s_and_b32 s12, s11, 0xff00000
	s_lshr_b32 s11, s11, 20
	s_cmp_lg_u32 s12, 0x7f00000
	s_cselect_b32 s12, s11, 0x7e
	s_mov_b32 s11, 0
	s_branch .LBB127_1729
.LBB127_1725:
	s_and_not1_b32 vcc_lo, exec_lo, s10
	s_cbranch_vccnz .LBB127_1722
.LBB127_1726:
	v_lshrrev_b16 v0, 2, s6
	s_and_b32 s5, s6, 3
	s_lshl_b32 s13, s6, 24
	s_clz_i32_u32 s10, s5
	s_delay_alu instid0(SALU_CYCLE_1) | instskip(SKIP_4) | instid1(VALU_DEP_1)
	s_min_u32 s10, s10, 32
	v_readfirstlane_b32 s11, v0
	s_sub_i32 s12, s10, 29
	s_sub_i32 s10, 30, s10
	s_lshl_b32 s12, s6, s12
	s_and_b32 s11, s11, 31
	s_and_b32 s12, s12, 3
	s_cmp_eq_u32 s11, 0
	s_cselect_b32 s10, s10, s11
	s_cselect_b32 s5, s12, s5
	s_lshl_b32 s10, s10, 23
	s_and_b32 s11, s13, 0x80000000
	s_add_i32 s10, s10, 0x37800000
	s_lshl_b32 s5, s5, 21
	s_or_b32 s10, s11, s10
	s_delay_alu instid0(SALU_CYCLE_1) | instskip(NEXT) | instid1(SALU_CYCLE_1)
	s_or_b32 s5, s10, s5
	s_and_b32 s10, s5, 0x7fffffff
	s_delay_alu instid0(SALU_CYCLE_1)
	s_cmp_lt_u32 s10, 0x43f00000
	s_cbranch_scc1 .LBB127_1723
.LBB127_1727:
	s_mov_b32 s11, -1
                                        ; implicit-def: $vgpr0
	s_branch .LBB127_1732
.LBB127_1728:
	s_mov_b32 s11, -1
                                        ; implicit-def: $sgpr12
.LBB127_1729:
	v_mov_b32_e32 v0, s12
	s_and_not1_b32 vcc_lo, exec_lo, s11
	s_cbranch_vccnz .LBB127_1731
; %bb.1730:
	v_add_f32_e64 v0, 0x46800000, |s5|
.LBB127_1731:
	s_mov_b32 s11, 0
.LBB127_1732:
	s_delay_alu instid0(SALU_CYCLE_1)
	s_and_not1_b32 vcc_lo, exec_lo, s11
	s_cbranch_vccnz .LBB127_1734
; %bb.1733:
	s_cmp_gt_u32 s10, 0x7f800000
	s_movk_i32 s10, 0x7f
	s_delay_alu instid0(SALU_CYCLE_1) | instskip(NEXT) | instid1(SALU_CYCLE_1)
	s_cselect_b32 s10, s10, 0x7e
	v_mov_b32_e32 v0, s10
.LBB127_1734:
	s_lshr_b32 s5, s5, 24
	s_delay_alu instid0(SALU_CYCLE_1)
	s_and_b32 s5, s5, 0x80
	s_delay_alu instid0(VALU_DEP_1) | instid1(SALU_CYCLE_1)
	v_or_b32_e32 v0, s5, v0
	global_store_b8 v[5:6], v0, off
.LBB127_1735:
	s_mov_b32 s5, 0
.LBB127_1736:
	s_delay_alu instid0(SALU_CYCLE_1)
	s_and_not1_b32 vcc_lo, exec_lo, s5
	s_cbranch_vccnz .LBB127_1758
; %bb.1737:
	v_and_b32_e64 v0, 0xff, s6
	s_delay_alu instid0(VALU_DEP_1)
	v_cmp_gt_i16_e32 vcc_lo, 0x80, v0
	s_cbranch_vccnz .LBB127_1740
; %bb.1738:
	v_cmp_eq_u16_e32 vcc_lo, 0x80, v0
	s_cbranch_vccz .LBB127_1741
; %bb.1739:
	s_mov_b32 s10, 0
	s_mov_b32 s5, 0x7f800001
	s_branch .LBB127_1742
.LBB127_1740:
	s_mov_b32 s11, -1
	s_mov_b32 s10, 0
                                        ; implicit-def: $sgpr5
	s_branch .LBB127_1743
.LBB127_1741:
	s_mov_b32 s10, -1
                                        ; implicit-def: $sgpr5
.LBB127_1742:
	s_mov_b32 s11, 0
.LBB127_1743:
	s_delay_alu instid0(SALU_CYCLE_1)
	s_and_b32 vcc_lo, exec_lo, s11
	s_cbranch_vccz .LBB127_1748
; %bb.1744:
	v_cmp_ne_u16_e64 s10, 0, v0
	s_mov_b32 s5, 0
	s_delay_alu instid0(VALU_DEP_1)
	s_and_not1_b32 vcc_lo, exec_lo, s10
	s_cbranch_vccz .LBB127_1749
.LBB127_1745:
	s_and_b32 s10, s5, 0x7fffffff
	s_delay_alu instid0(SALU_CYCLE_1)
	s_cmp_lt_u32 s10, 0x47800000
	s_cbranch_scc0 .LBB127_1750
.LBB127_1746:
	s_cmp_gt_u32 s10, 0x387fffff
	s_cbranch_scc0 .LBB127_1751
; %bb.1747:
	s_bfe_u32 s11, s5, 0x10015
	s_delay_alu instid0(SALU_CYCLE_1) | instskip(NEXT) | instid1(SALU_CYCLE_1)
	s_add_i32 s11, s5, s11
	s_add_i32 s11, s11, 0x80fffff
	s_delay_alu instid0(SALU_CYCLE_1)
	s_lshr_b32 s12, s11, 21
	s_mov_b32 s11, 0
	s_branch .LBB127_1752
.LBB127_1748:
	s_and_not1_b32 vcc_lo, exec_lo, s10
	s_cbranch_vccnz .LBB127_1745
.LBB127_1749:
	v_lshrrev_b16 v0, 2, s6
	s_and_b32 s5, s6, 3
	s_lshl_b32 s13, s6, 24
	s_clz_i32_u32 s10, s5
	s_delay_alu instid0(SALU_CYCLE_1) | instskip(SKIP_4) | instid1(VALU_DEP_1)
	s_min_u32 s10, s10, 32
	v_readfirstlane_b32 s11, v0
	s_sub_i32 s12, s10, 29
	s_sub_i32 s10, 30, s10
	s_lshl_b32 s12, s6, s12
	s_and_b32 s11, s11, 31
	s_and_b32 s12, s12, 3
	s_cmp_eq_u32 s11, 0
	s_cselect_b32 s10, s10, s11
	s_cselect_b32 s5, s12, s5
	s_lshl_b32 s10, s10, 23
	s_and_b32 s11, s13, 0x80000000
	s_add_i32 s10, s10, 0x37800000
	s_lshl_b32 s5, s5, 21
	s_or_b32 s10, s11, s10
	s_delay_alu instid0(SALU_CYCLE_1) | instskip(NEXT) | instid1(SALU_CYCLE_1)
	s_or_b32 s5, s10, s5
	s_and_b32 s10, s5, 0x7fffffff
	s_delay_alu instid0(SALU_CYCLE_1)
	s_cmp_lt_u32 s10, 0x47800000
	s_cbranch_scc1 .LBB127_1746
.LBB127_1750:
	s_mov_b32 s11, -1
                                        ; implicit-def: $vgpr0
	s_branch .LBB127_1755
.LBB127_1751:
	s_mov_b32 s11, -1
                                        ; implicit-def: $sgpr12
.LBB127_1752:
	v_mov_b32_e32 v0, s12
	s_and_not1_b32 vcc_lo, exec_lo, s11
	s_cbranch_vccnz .LBB127_1754
; %bb.1753:
	v_add_f32_e64 v0, 0x43000000, |s5|
.LBB127_1754:
	s_mov_b32 s11, 0
.LBB127_1755:
	s_delay_alu instid0(SALU_CYCLE_1)
	s_and_not1_b32 vcc_lo, exec_lo, s11
	s_cbranch_vccnz .LBB127_1757
; %bb.1756:
	s_cmp_gt_u32 s10, 0x7f800000
	s_movk_i32 s10, 0x7f
	s_delay_alu instid0(SALU_CYCLE_1) | instskip(NEXT) | instid1(SALU_CYCLE_1)
	s_cselect_b32 s10, s10, 0x7c
	v_mov_b32_e32 v0, s10
.LBB127_1757:
	s_lshr_b32 s5, s5, 24
	s_delay_alu instid0(SALU_CYCLE_1)
	s_and_b32 s5, s5, 0x80
	s_delay_alu instid0(VALU_DEP_1) | instid1(SALU_CYCLE_1)
	v_or_b32_e32 v0, s5, v0
	global_store_b8 v[5:6], v0, off
.LBB127_1758:
	s_mov_b32 s10, 0
	s_mov_b32 s5, -1
.LBB127_1759:
	s_and_not1_b32 vcc_lo, exec_lo, s10
	s_mov_b32 s10, 0
	s_cbranch_vccnz .LBB127_1776
; %bb.1760:
	v_cmp_lt_i16_e32 vcc_lo, 14, v9
	s_mov_b32 s10, -1
	s_cbranch_vccz .LBB127_1774
; %bb.1761:
	v_cmp_eq_u16_e32 vcc_lo, 15, v9
	s_mov_b32 s4, -1
	s_cbranch_vccz .LBB127_1773
; %bb.1762:
	v_and_b32_e64 v0, 0xff, s6
	s_delay_alu instid0(VALU_DEP_1)
	v_cmp_gt_i16_e32 vcc_lo, 0x80, v0
	s_cbranch_vccnz .LBB127_1765
; %bb.1763:
	v_cmp_eq_u16_e32 vcc_lo, 0x80, v0
	s_cbranch_vccz .LBB127_1766
; %bb.1764:
	s_mov_b32 s5, 0
	s_mov_b32 s4, 0x7f800001
	s_branch .LBB127_1767
.LBB127_1765:
	s_mov_b32 s5, 0
                                        ; implicit-def: $sgpr4
	s_branch .LBB127_1768
.LBB127_1766:
	s_mov_b32 s5, -1
                                        ; implicit-def: $sgpr4
.LBB127_1767:
	s_mov_b32 s10, 0
.LBB127_1768:
	s_delay_alu instid0(SALU_CYCLE_1)
	s_and_b32 vcc_lo, exec_lo, s10
	s_cbranch_vccz .LBB127_1770
; %bb.1769:
	v_cmp_ne_u16_e64 s5, 0, v0
	s_mov_b32 s4, 0
.LBB127_1770:
	s_delay_alu instid0(VALU_DEP_1)
	s_and_not1_b32 vcc_lo, exec_lo, s5
	s_cbranch_vccnz .LBB127_1772
; %bb.1771:
	v_lshrrev_b16 v0, 2, s6
	s_and_b32 s4, s6, 3
	s_lshl_b32 s12, s6, 24
	s_clz_i32_u32 s5, s4
	s_delay_alu instid0(SALU_CYCLE_1) | instskip(SKIP_4) | instid1(VALU_DEP_1)
	s_min_u32 s5, s5, 32
	v_readfirstlane_b32 s10, v0
	s_sub_i32 s11, s5, 29
	s_sub_i32 s5, 30, s5
	s_lshl_b32 s11, s6, s11
	s_and_b32 s10, s10, 31
	s_and_b32 s11, s11, 3
	s_cmp_eq_u32 s10, 0
	s_cselect_b32 s5, s5, s10
	s_cselect_b32 s4, s11, s4
	s_lshl_b32 s5, s5, 23
	s_and_b32 s10, s12, 0x80000000
	s_add_i32 s5, s5, 0x37800000
	s_lshl_b32 s4, s4, 21
	s_or_b32 s5, s10, s5
	s_delay_alu instid0(SALU_CYCLE_1)
	s_or_b32 s4, s5, s4
.LBB127_1772:
	s_delay_alu instid0(SALU_CYCLE_1) | instskip(NEXT) | instid1(SALU_CYCLE_1)
	s_bfe_u32 s5, s4, 0x10010
	s_add_i32 s5, s4, s5
	v_cmp_o_f32_e64 s4, s4, s4
	s_addk_i32 s5, 0x7fff
	s_delay_alu instid0(SALU_CYCLE_1) | instskip(NEXT) | instid1(VALU_DEP_1)
	s_lshr_b32 s5, s5, 16
	s_and_b32 s4, s4, exec_lo
	s_cselect_b32 s4, s5, 0x7fc0
	s_mov_b32 s5, -1
	v_mov_b32_e32 v0, s4
	s_mov_b32 s4, 0
	global_store_b16 v[5:6], v0, off
.LBB127_1773:
	s_mov_b32 s10, 0
.LBB127_1774:
	s_delay_alu instid0(SALU_CYCLE_1)
	s_and_b32 vcc_lo, exec_lo, s10
	s_mov_b32 s10, 0
	s_cbranch_vccz .LBB127_1776
; %bb.1775:
	v_cmp_ne_u16_e64 s4, 11, v9
	s_mov_b32 s10, -1
.LBB127_1776:
	s_delay_alu instid0(VALU_DEP_1)
	s_and_b32 vcc_lo, exec_lo, s4
	s_cbranch_vccnz .LBB127_1798
; %bb.1777:
	s_and_not1_b32 vcc_lo, exec_lo, s10
	s_cbranch_vccnz .LBB127_1789
.LBB127_1778:
	v_and_b32_e64 v0, 0xff, s6
	s_delay_alu instid0(VALU_DEP_1)
	v_cmp_gt_i16_e32 vcc_lo, 0x80, v0
	s_cbranch_vccnz .LBB127_1781
; %bb.1779:
	v_cmp_eq_u16_e32 vcc_lo, 0x80, v0
	s_cbranch_vccz .LBB127_1782
; %bb.1780:
	s_mov_b32 s5, 0
	s_mov_b32 s4, -1
	s_branch .LBB127_1783
.LBB127_1781:
	s_mov_b32 s10, -1
	s_mov_b32 s5, 0
                                        ; implicit-def: $sgpr4
	s_branch .LBB127_1784
.LBB127_1782:
	s_mov_b32 s5, -1
                                        ; implicit-def: $sgpr4
.LBB127_1783:
	s_mov_b32 s10, 0
.LBB127_1784:
	s_delay_alu instid0(SALU_CYCLE_1)
	s_and_b32 vcc_lo, exec_lo, s10
	s_cbranch_vccz .LBB127_1786
; %bb.1785:
	v_cmp_ne_u16_e64 s5, 0, v0
	s_mov_b32 s4, 0
.LBB127_1786:
	s_delay_alu instid0(VALU_DEP_1)
	s_and_not1_b32 vcc_lo, exec_lo, s5
	s_cbranch_vccnz .LBB127_1788
; %bb.1787:
	v_lshrrev_b16 v0, 2, s6
	s_and_b32 s4, s6, 3
	s_delay_alu instid0(SALU_CYCLE_1) | instskip(NEXT) | instid1(SALU_CYCLE_1)
	s_clz_i32_u32 s5, s4
	s_min_u32 s5, s5, 32
	s_delay_alu instid0(VALU_DEP_1) | instskip(SKIP_3) | instid1(VALU_DEP_1)
	v_readfirstlane_b32 s10, v0
	s_sub_i32 s11, s5, 29
	s_sub_i32 s5, 30, s5
	s_lshl_b32 s11, s6, s11
	s_and_b32 s10, s10, 31
	s_and_b32 s11, s11, 3
	s_cmp_eq_u32 s10, 0
	s_cselect_b32 s5, s5, s10
	s_cselect_b32 s4, s11, s4
	s_lshl_b32 s5, s5, 23
	s_lshl_b32 s4, s4, 21
	s_add_i32 s5, s5, 0x37800000
	s_delay_alu instid0(SALU_CYCLE_1) | instskip(NEXT) | instid1(SALU_CYCLE_1)
	s_and_b32 s5, s5, 0x7f800000
	s_or_b32 s4, s5, s4
	s_delay_alu instid0(SALU_CYCLE_1)
	s_cmp_lg_u32 s4, 0
	s_cselect_b32 s4, -1, 0
.LBB127_1788:
	s_delay_alu instid0(SALU_CYCLE_1)
	v_cndmask_b32_e64 v0, 0, 1, s4
	s_mov_b32 s5, -1
	global_store_b8 v[5:6], v0, off
.LBB127_1789:
	s_mov_b32 s4, 0
.LBB127_1790:
	s_delay_alu instid0(SALU_CYCLE_1)
	s_and_b32 vcc_lo, exec_lo, s4
	s_cbranch_vccz .LBB127_1928
; %bb.1791:
	v_cmp_gt_i16_e32 vcc_lo, 5, v9
	s_mov_b32 s4, -1
	s_cbranch_vccnz .LBB127_1876
; %bb.1792:
	v_cmp_gt_i16_e32 vcc_lo, 8, v9
	s_cbranch_vccnz .LBB127_1836
; %bb.1793:
	v_cmp_gt_i16_e32 vcc_lo, 9, v9
	s_cbranch_vccnz .LBB127_1823
; %bb.1794:
	v_cmp_lt_i16_e32 vcc_lo, 9, v9
	s_cbranch_vccz .LBB127_1810
; %bb.1795:
	v_and_b32_e64 v0, 0xff, s6
	s_delay_alu instid0(VALU_DEP_1)
	v_cmp_gt_i16_e32 vcc_lo, 0x80, v0
	s_cbranch_vccnz .LBB127_1800
; %bb.1796:
	v_cmp_eq_u16_e32 vcc_lo, 0x80, v0
	s_cbranch_vccz .LBB127_1803
; %bb.1797:
	s_mov_b32 s10, 0
	s_mov_b32 s5, 0x7ff80000
	s_brev_b32 s4, 4
	s_branch .LBB127_1804
.LBB127_1798:
	s_cbranch_execnz .LBB127_1801
; %bb.1799:
	s_or_b32 s7, s7, exec_lo
	s_cbranch_execz .LBB127_1778
	s_branch .LBB127_1789
.LBB127_1800:
	s_mov_b32 s11, -1
	s_mov_b32 s10, 0
                                        ; implicit-def: $sgpr4_sgpr5
	s_branch .LBB127_1805
.LBB127_1801:
	s_trap 2
	s_sendmsg_rtn_b32 s0, sendmsg(MSG_RTN_GET_DOORBELL)
	s_mov_b32 ttmp2, m0
	s_waitcnt lgkmcnt(0)
	s_and_b32 s0, s0, 0x3ff
	s_delay_alu instid0(SALU_CYCLE_1) | instskip(NEXT) | instid1(SALU_CYCLE_1)
	s_bitset1_b32 s0, 10
	s_mov_b32 m0, s0
	s_sendmsg sendmsg(MSG_INTERRUPT)
	s_mov_b32 m0, ttmp2
.LBB127_1802:                           ; =>This Inner Loop Header: Depth=1
	s_sethalt 5
	s_branch .LBB127_1802
.LBB127_1803:
	s_mov_b32 s10, -1
                                        ; implicit-def: $sgpr4_sgpr5
.LBB127_1804:
	s_mov_b32 s11, 0
.LBB127_1805:
	s_delay_alu instid0(SALU_CYCLE_1)
	s_and_b32 vcc_lo, exec_lo, s11
	s_cbranch_vccz .LBB127_1807
; %bb.1806:
	v_cmp_ne_u16_e64 s10, 0, v0
	s_mov_b64 s[4:5], 0
.LBB127_1807:
	s_delay_alu instid0(SALU_CYCLE_1) | instskip(NEXT) | instid1(VALU_DEP_2)
	v_dual_mov_b32 v0, s4 :: v_dual_mov_b32 v1, s5
	s_and_not1_b32 vcc_lo, exec_lo, s10
	s_cbranch_vccnz .LBB127_1809
; %bb.1808:
	v_lshrrev_b16 v0, 2, s6
	s_and_b32 s4, s6, 3
	s_lshl_b32 s12, s6, 24
	s_clz_i32_u32 s5, s4
	s_delay_alu instid0(SALU_CYCLE_1) | instskip(SKIP_4) | instid1(VALU_DEP_1)
	s_min_u32 s5, s5, 32
	v_readfirstlane_b32 s10, v0
	s_sub_i32 s11, s5, 29
	s_sub_i32 s5, 30, s5
	s_lshl_b32 s11, s6, s11
	s_and_b32 s10, s10, 31
	s_and_b32 s11, s11, 3
	s_cmp_eq_u32 s10, 0
	s_cselect_b32 s5, s5, s10
	s_cselect_b32 s4, s11, s4
	s_lshl_b32 s5, s5, 23
	s_and_b32 s10, s12, 0x80000000
	s_add_i32 s5, s5, 0x37800000
	s_lshl_b32 s4, s4, 21
	s_or_b32 s5, s10, s5
	s_delay_alu instid0(SALU_CYCLE_1) | instskip(NEXT) | instid1(SALU_CYCLE_1)
	s_or_b32 s4, s5, s4
	v_cvt_f64_f32_e32 v[0:1], s4
.LBB127_1809:
	v_mov_b32_e32 v2, 0
	s_mov_b32 s4, 0
	s_delay_alu instid0(VALU_DEP_1)
	v_mov_b32_e32 v3, v2
	global_store_b128 v[5:6], v[0:3], off
.LBB127_1810:
	s_and_b32 vcc_lo, exec_lo, s4
	s_cbranch_vccz .LBB127_1822
; %bb.1811:
	v_and_b32_e64 v1, 0xff, s6
	s_delay_alu instid0(VALU_DEP_1)
	v_cmp_gt_i16_e32 vcc_lo, 0x80, v1
	s_cbranch_vccnz .LBB127_1814
; %bb.1812:
	v_cmp_eq_u16_e32 vcc_lo, 0x80, v1
	s_cbranch_vccz .LBB127_1815
; %bb.1813:
	s_mov_b32 s4, 0
	s_mov_b32 s5, 0x7f800001
	s_branch .LBB127_1816
.LBB127_1814:
	s_mov_b32 s10, -1
	s_mov_b32 s4, 0
                                        ; implicit-def: $sgpr5
	s_branch .LBB127_1817
.LBB127_1815:
	s_mov_b32 s4, -1
                                        ; implicit-def: $sgpr5
.LBB127_1816:
	s_mov_b32 s10, 0
.LBB127_1817:
	v_mov_b32_e32 v0, s5
	s_and_b32 vcc_lo, exec_lo, s10
	s_cbranch_vccz .LBB127_1819
; %bb.1818:
	v_and_b32_e32 v0, 0xffff, v1
	v_cmp_ne_u16_e64 s4, 0, v1
.LBB127_1819:
	s_delay_alu instid0(VALU_DEP_1)
	s_and_not1_b32 vcc_lo, exec_lo, s4
	s_cbranch_vccnz .LBB127_1821
; %bb.1820:
	v_lshrrev_b16 v0, 2, s6
	s_and_b32 s4, s6, 3
	s_lshl_b32 s12, s6, 24
	s_clz_i32_u32 s5, s4
	s_delay_alu instid0(SALU_CYCLE_1) | instskip(SKIP_4) | instid1(VALU_DEP_1)
	s_min_u32 s5, s5, 32
	v_readfirstlane_b32 s10, v0
	s_sub_i32 s11, s5, 29
	s_sub_i32 s5, 30, s5
	s_lshl_b32 s11, s6, s11
	s_and_b32 s10, s10, 31
	s_and_b32 s11, s11, 3
	s_cmp_eq_u32 s10, 0
	s_cselect_b32 s5, s5, s10
	s_cselect_b32 s4, s11, s4
	s_lshl_b32 s5, s5, 23
	s_and_b32 s10, s12, 0x80000000
	s_add_i32 s5, s5, 0x37800000
	s_lshl_b32 s4, s4, 21
	s_or_b32 s5, s10, s5
	s_delay_alu instid0(SALU_CYCLE_1) | instskip(NEXT) | instid1(SALU_CYCLE_1)
	s_or_b32 s4, s5, s4
	v_mov_b32_e32 v0, s4
.LBB127_1821:
	v_mov_b32_e32 v1, 0
	global_store_b64 v[5:6], v[0:1], off
.LBB127_1822:
	s_mov_b32 s4, 0
.LBB127_1823:
	s_delay_alu instid0(SALU_CYCLE_1)
	s_and_not1_b32 vcc_lo, exec_lo, s4
	s_cbranch_vccnz .LBB127_1835
; %bb.1824:
	v_and_b32_e64 v0, 0xff, s6
	s_delay_alu instid0(VALU_DEP_1)
	v_cmp_gt_i16_e32 vcc_lo, 0x80, v0
	s_cbranch_vccnz .LBB127_1827
; %bb.1825:
	v_cmp_eq_u16_e32 vcc_lo, 0x80, v0
	s_cbranch_vccz .LBB127_1828
; %bb.1826:
	s_mov_b32 s4, 0
	s_movk_i32 s5, 0x7e00
	s_branch .LBB127_1829
.LBB127_1827:
	s_mov_b32 s10, -1
	s_mov_b32 s4, 0
                                        ; implicit-def: $sgpr5
	s_branch .LBB127_1830
.LBB127_1828:
	s_mov_b32 s4, -1
                                        ; implicit-def: $sgpr5
.LBB127_1829:
	s_mov_b32 s10, 0
.LBB127_1830:
	v_mov_b32_e32 v1, s5
	s_and_b32 vcc_lo, exec_lo, s10
	s_cbranch_vccz .LBB127_1832
; %bb.1831:
	v_and_b32_e32 v1, 0xffff, v0
	v_cmp_ne_u16_e64 s4, 0, v0
.LBB127_1832:
	s_delay_alu instid0(VALU_DEP_1)
	s_and_not1_b32 vcc_lo, exec_lo, s4
	s_cbranch_vccnz .LBB127_1834
; %bb.1833:
	v_lshrrev_b16 v0, 2, s6
	s_and_b32 s4, s6, 3
	s_lshl_b32 s12, s6, 24
	s_clz_i32_u32 s5, s4
	s_delay_alu instid0(SALU_CYCLE_1) | instskip(SKIP_4) | instid1(VALU_DEP_1)
	s_min_u32 s5, s5, 32
	v_readfirstlane_b32 s10, v0
	s_sub_i32 s11, s5, 29
	s_sub_i32 s5, 30, s5
	s_lshl_b32 s11, s6, s11
	s_and_b32 s10, s10, 31
	s_and_b32 s11, s11, 3
	s_cmp_eq_u32 s10, 0
	s_cselect_b32 s5, s5, s10
	s_cselect_b32 s4, s11, s4
	s_lshl_b32 s5, s5, 23
	s_and_b32 s10, s12, 0x80000000
	s_add_i32 s5, s5, 0x37800000
	s_lshl_b32 s4, s4, 21
	s_or_b32 s5, s10, s5
	s_delay_alu instid0(SALU_CYCLE_1) | instskip(NEXT) | instid1(SALU_CYCLE_1)
	s_or_b32 s4, s5, s4
	v_cvt_f16_f32_e32 v0, s4
	s_delay_alu instid0(VALU_DEP_1)
	v_and_b32_e32 v1, 0xffff, v0
.LBB127_1834:
	global_store_b32 v[5:6], v1, off
.LBB127_1835:
	s_mov_b32 s4, 0
.LBB127_1836:
	s_delay_alu instid0(SALU_CYCLE_1)
	s_and_not1_b32 vcc_lo, exec_lo, s4
	s_cbranch_vccnz .LBB127_1875
; %bb.1837:
	v_cmp_gt_i16_e32 vcc_lo, 6, v9
	s_mov_b32 s4, -1
	s_cbranch_vccnz .LBB127_1863
; %bb.1838:
	v_cmp_lt_i16_e32 vcc_lo, 6, v9
	s_cbranch_vccz .LBB127_1850
; %bb.1839:
	v_and_b32_e64 v0, 0xff, s6
	s_delay_alu instid0(VALU_DEP_1)
	v_cmp_gt_i16_e32 vcc_lo, 0x80, v0
	s_cbranch_vccnz .LBB127_1842
; %bb.1840:
	v_cmp_eq_u16_e32 vcc_lo, 0x80, v0
	s_cbranch_vccz .LBB127_1843
; %bb.1841:
	s_mov_b32 s10, 0
	s_mov_b32 s5, 0x7ff80000
	s_brev_b32 s4, 4
	s_branch .LBB127_1844
.LBB127_1842:
	s_mov_b32 s11, -1
	s_mov_b32 s10, 0
                                        ; implicit-def: $sgpr4_sgpr5
	s_branch .LBB127_1845
.LBB127_1843:
	s_mov_b32 s10, -1
                                        ; implicit-def: $sgpr4_sgpr5
.LBB127_1844:
	s_mov_b32 s11, 0
.LBB127_1845:
	s_delay_alu instid0(SALU_CYCLE_1)
	s_and_b32 vcc_lo, exec_lo, s11
	s_cbranch_vccz .LBB127_1847
; %bb.1846:
	v_cmp_ne_u16_e64 s10, 0, v0
	s_mov_b64 s[4:5], 0
.LBB127_1847:
	s_delay_alu instid0(SALU_CYCLE_1) | instskip(NEXT) | instid1(VALU_DEP_2)
	v_dual_mov_b32 v0, s4 :: v_dual_mov_b32 v1, s5
	s_and_not1_b32 vcc_lo, exec_lo, s10
	s_cbranch_vccnz .LBB127_1849
; %bb.1848:
	v_lshrrev_b16 v0, 2, s6
	s_and_b32 s4, s6, 3
	s_lshl_b32 s12, s6, 24
	s_clz_i32_u32 s5, s4
	s_delay_alu instid0(SALU_CYCLE_1) | instskip(SKIP_4) | instid1(VALU_DEP_1)
	s_min_u32 s5, s5, 32
	v_readfirstlane_b32 s10, v0
	s_sub_i32 s11, s5, 29
	s_sub_i32 s5, 30, s5
	s_lshl_b32 s11, s6, s11
	s_and_b32 s10, s10, 31
	s_and_b32 s11, s11, 3
	s_cmp_eq_u32 s10, 0
	s_cselect_b32 s5, s5, s10
	s_cselect_b32 s4, s11, s4
	s_lshl_b32 s5, s5, 23
	s_and_b32 s10, s12, 0x80000000
	s_add_i32 s5, s5, 0x37800000
	s_lshl_b32 s4, s4, 21
	s_or_b32 s5, s10, s5
	s_delay_alu instid0(SALU_CYCLE_1) | instskip(NEXT) | instid1(SALU_CYCLE_1)
	s_or_b32 s4, s5, s4
	v_cvt_f64_f32_e32 v[0:1], s4
.LBB127_1849:
	s_mov_b32 s4, 0
	global_store_b64 v[5:6], v[0:1], off
.LBB127_1850:
	s_and_b32 vcc_lo, exec_lo, s4
	s_cbranch_vccz .LBB127_1862
; %bb.1851:
	v_and_b32_e64 v0, 0xff, s6
	s_delay_alu instid0(VALU_DEP_1)
	v_cmp_gt_i16_e32 vcc_lo, 0x80, v0
	s_cbranch_vccnz .LBB127_1854
; %bb.1852:
	v_cmp_eq_u16_e32 vcc_lo, 0x80, v0
	s_cbranch_vccz .LBB127_1855
; %bb.1853:
	s_mov_b32 s4, 0
	s_mov_b32 s5, 0x7f800001
	s_branch .LBB127_1856
.LBB127_1854:
	s_mov_b32 s10, -1
	s_mov_b32 s4, 0
                                        ; implicit-def: $sgpr5
	s_branch .LBB127_1857
.LBB127_1855:
	s_mov_b32 s4, -1
                                        ; implicit-def: $sgpr5
.LBB127_1856:
	s_mov_b32 s10, 0
.LBB127_1857:
	v_mov_b32_e32 v1, s5
	s_and_b32 vcc_lo, exec_lo, s10
	s_cbranch_vccz .LBB127_1859
; %bb.1858:
	v_and_b32_e32 v1, 0xffff, v0
	v_cmp_ne_u16_e64 s4, 0, v0
.LBB127_1859:
	s_delay_alu instid0(VALU_DEP_1)
	s_and_not1_b32 vcc_lo, exec_lo, s4
	s_cbranch_vccnz .LBB127_1861
; %bb.1860:
	v_lshrrev_b16 v0, 2, s6
	s_and_b32 s4, s6, 3
	s_lshl_b32 s12, s6, 24
	s_clz_i32_u32 s5, s4
	s_delay_alu instid0(SALU_CYCLE_1) | instskip(SKIP_4) | instid1(VALU_DEP_1)
	s_min_u32 s5, s5, 32
	v_readfirstlane_b32 s10, v0
	s_sub_i32 s11, s5, 29
	s_sub_i32 s5, 30, s5
	s_lshl_b32 s11, s6, s11
	s_and_b32 s10, s10, 31
	s_and_b32 s11, s11, 3
	s_cmp_eq_u32 s10, 0
	s_cselect_b32 s5, s5, s10
	s_cselect_b32 s4, s11, s4
	s_lshl_b32 s5, s5, 23
	s_and_b32 s10, s12, 0x80000000
	s_add_i32 s5, s5, 0x37800000
	s_lshl_b32 s4, s4, 21
	s_or_b32 s5, s10, s5
	s_delay_alu instid0(SALU_CYCLE_1) | instskip(NEXT) | instid1(SALU_CYCLE_1)
	s_or_b32 s4, s5, s4
	v_mov_b32_e32 v1, s4
.LBB127_1861:
	global_store_b32 v[5:6], v1, off
.LBB127_1862:
	s_mov_b32 s4, 0
.LBB127_1863:
	s_delay_alu instid0(SALU_CYCLE_1)
	s_and_not1_b32 vcc_lo, exec_lo, s4
	s_cbranch_vccnz .LBB127_1875
; %bb.1864:
	v_and_b32_e64 v0, 0xff, s6
	s_delay_alu instid0(VALU_DEP_1)
	v_cmp_gt_i16_e32 vcc_lo, 0x80, v0
	s_cbranch_vccnz .LBB127_1867
; %bb.1865:
	v_cmp_eq_u16_e32 vcc_lo, 0x80, v0
	s_cbranch_vccz .LBB127_1868
; %bb.1866:
	s_mov_b32 s4, 0
	s_movk_i32 s5, 0x7e00
	s_branch .LBB127_1869
.LBB127_1867:
	s_mov_b32 s10, -1
	s_mov_b32 s4, 0
                                        ; implicit-def: $sgpr5
	s_branch .LBB127_1870
.LBB127_1868:
	s_mov_b32 s4, -1
                                        ; implicit-def: $sgpr5
.LBB127_1869:
	s_mov_b32 s10, 0
.LBB127_1870:
	v_mov_b32_e32 v1, s5
	s_and_b32 vcc_lo, exec_lo, s10
	s_cbranch_vccz .LBB127_1872
; %bb.1871:
	v_cmp_ne_u16_e64 s4, 0, v0
	v_mov_b32_e32 v1, v0
.LBB127_1872:
	s_delay_alu instid0(VALU_DEP_2)
	s_and_not1_b32 vcc_lo, exec_lo, s4
	s_cbranch_vccnz .LBB127_1874
; %bb.1873:
	v_lshrrev_b16 v0, 2, s6
	s_and_b32 s4, s6, 3
	s_lshl_b32 s12, s6, 24
	s_clz_i32_u32 s5, s4
	s_delay_alu instid0(SALU_CYCLE_1) | instskip(SKIP_4) | instid1(VALU_DEP_1)
	s_min_u32 s5, s5, 32
	v_readfirstlane_b32 s10, v0
	s_sub_i32 s11, s5, 29
	s_sub_i32 s5, 30, s5
	s_lshl_b32 s11, s6, s11
	s_and_b32 s10, s10, 31
	s_and_b32 s11, s11, 3
	s_cmp_eq_u32 s10, 0
	s_cselect_b32 s5, s5, s10
	s_cselect_b32 s4, s11, s4
	s_lshl_b32 s5, s5, 23
	s_and_b32 s10, s12, 0x80000000
	s_add_i32 s5, s5, 0x37800000
	s_lshl_b32 s4, s4, 21
	s_or_b32 s5, s10, s5
	s_delay_alu instid0(SALU_CYCLE_1) | instskip(NEXT) | instid1(SALU_CYCLE_1)
	s_or_b32 s4, s5, s4
	v_cvt_f16_f32_e32 v1, s4
.LBB127_1874:
	global_store_b16 v[5:6], v1, off
.LBB127_1875:
	s_mov_b32 s4, 0
.LBB127_1876:
	s_delay_alu instid0(SALU_CYCLE_1)
	s_and_not1_b32 vcc_lo, exec_lo, s4
	s_cbranch_vccnz .LBB127_1927
; %bb.1877:
	v_cmp_gt_i16_e32 vcc_lo, 2, v9
	s_mov_b32 s4, -1
	s_cbranch_vccnz .LBB127_1908
; %bb.1878:
	v_cmp_gt_i16_e32 vcc_lo, 3, v9
	s_cbranch_vccnz .LBB127_1898
; %bb.1879:
	v_cmp_lt_i16_e32 vcc_lo, 3, v9
	s_cbranch_vccz .LBB127_1888
; %bb.1880:
	v_and_b32_e64 v0, 0xff, s6
	s_delay_alu instid0(VALU_DEP_1)
	v_cmp_gt_i16_e32 vcc_lo, 0x80, v0
	s_cbranch_vccnz .LBB127_1882
; %bb.1881:
	v_cmp_ne_u16_e64 s10, 0x80, v0
	s_mov_b32 s11, 0
	s_mov_b64 s[4:5], 0
	s_branch .LBB127_1883
.LBB127_1882:
	s_mov_b32 s11, -1
	s_mov_b32 s10, 0
                                        ; implicit-def: $sgpr4_sgpr5
.LBB127_1883:
	s_and_not1_b32 vcc_lo, exec_lo, s11
	s_cbranch_vccnz .LBB127_1885
; %bb.1884:
	v_cmp_ne_u16_e64 s10, 0, v0
	s_mov_b64 s[4:5], 0
.LBB127_1885:
	s_delay_alu instid0(SALU_CYCLE_1) | instskip(NEXT) | instid1(VALU_DEP_2)
	v_dual_mov_b32 v0, s4 :: v_dual_mov_b32 v1, s5
	s_and_not1_b32 vcc_lo, exec_lo, s10
	s_cbranch_vccnz .LBB127_1887
; %bb.1886:
	v_lshrrev_b16 v0, 2, s6
	s_and_b32 s4, s6, 3
	s_lshl_b32 s11, s6, 24
	s_clz_i32_u32 s5, s4
	s_delay_alu instid0(SALU_CYCLE_1) | instskip(SKIP_4) | instid1(VALU_DEP_1)
	s_min_u32 s5, s5, 32
	v_readfirstlane_b32 s10, v0
	s_sub_i32 s12, s5, 29
	s_sub_i32 s5, 30, s5
	s_lshl_b32 s12, s6, s12
	s_and_b32 s10, s10, 31
	s_and_b32 s12, s12, 3
	s_cmp_eq_u32 s10, 0
	s_cselect_b32 s5, s5, s10
	s_cselect_b32 s4, s12, s4
	s_lshl_b32 s5, s5, 23
	s_and_b32 s10, s11, 0x80000000
	s_add_i32 s5, s5, 0x37800000
	s_lshl_b32 s4, s4, 21
	s_or_b32 s5, s10, s5
	s_delay_alu instid0(SALU_CYCLE_1) | instskip(NEXT) | instid1(SALU_CYCLE_1)
	s_or_b32 s4, s5, s4
	v_trunc_f32_e32 v0, s4
	s_delay_alu instid0(VALU_DEP_1) | instskip(SKIP_1) | instid1(VALU_DEP_2)
	v_mul_f32_e64 v1, 0x2f800000, |v0|
	v_ashrrev_i32_e32 v3, 31, v0
	v_floor_f32_e32 v1, v1
	s_delay_alu instid0(VALU_DEP_1) | instskip(SKIP_1) | instid1(VALU_DEP_2)
	v_fma_f32 v2, 0xcf800000, v1, |v0|
	v_cvt_u32_f32_e32 v1, v1
	v_cvt_u32_f32_e32 v0, v2
	s_delay_alu instid0(VALU_DEP_2) | instskip(NEXT) | instid1(VALU_DEP_2)
	v_xor_b32_e32 v1, v1, v3
	v_xor_b32_e32 v0, v0, v3
	s_delay_alu instid0(VALU_DEP_1) | instskip(NEXT) | instid1(VALU_DEP_3)
	v_sub_co_u32 v0, vcc_lo, v0, v3
	v_sub_co_ci_u32_e32 v1, vcc_lo, v1, v3, vcc_lo
.LBB127_1887:
	s_mov_b32 s4, 0
	global_store_b64 v[5:6], v[0:1], off
.LBB127_1888:
	s_and_b32 vcc_lo, exec_lo, s4
	s_cbranch_vccz .LBB127_1897
; %bb.1889:
	v_and_b32_e64 v0, 0xff, s6
	s_delay_alu instid0(VALU_DEP_1)
	v_cmp_gt_i16_e32 vcc_lo, 0x80, v0
	s_cbranch_vccnz .LBB127_1891
; %bb.1890:
	v_cmp_ne_u16_e64 s4, 0x80, v0
	s_mov_b32 s10, 0
	s_mov_b32 s5, 0
	s_branch .LBB127_1892
.LBB127_1891:
	s_mov_b32 s10, -1
	s_mov_b32 s4, 0
                                        ; implicit-def: $sgpr5
.LBB127_1892:
	s_and_not1_b32 vcc_lo, exec_lo, s10
	s_cbranch_vccnz .LBB127_1894
; %bb.1893:
	v_cmp_ne_u16_e64 s4, 0, v0
	s_mov_b32 s5, 0
.LBB127_1894:
	s_delay_alu instid0(SALU_CYCLE_1) | instskip(NEXT) | instid1(VALU_DEP_2)
	v_mov_b32_e32 v0, s5
	s_and_not1_b32 vcc_lo, exec_lo, s4
	s_cbranch_vccnz .LBB127_1896
; %bb.1895:
	v_lshrrev_b16 v0, 2, s6
	s_and_b32 s4, s6, 3
	s_lshl_b32 s12, s6, 24
	s_clz_i32_u32 s5, s4
	s_delay_alu instid0(SALU_CYCLE_1) | instskip(SKIP_4) | instid1(VALU_DEP_1)
	s_min_u32 s5, s5, 32
	v_readfirstlane_b32 s10, v0
	s_sub_i32 s11, s5, 29
	s_sub_i32 s5, 30, s5
	s_lshl_b32 s11, s6, s11
	s_and_b32 s10, s10, 31
	s_and_b32 s11, s11, 3
	s_cmp_eq_u32 s10, 0
	s_cselect_b32 s5, s5, s10
	s_cselect_b32 s4, s11, s4
	s_lshl_b32 s5, s5, 23
	s_and_b32 s10, s12, 0x80000000
	s_add_i32 s5, s5, 0x37800000
	s_lshl_b32 s4, s4, 21
	s_or_b32 s5, s10, s5
	s_delay_alu instid0(SALU_CYCLE_1) | instskip(NEXT) | instid1(SALU_CYCLE_1)
	s_or_b32 s4, s5, s4
	v_cvt_i32_f32_e32 v0, s4
.LBB127_1896:
	global_store_b32 v[5:6], v0, off
.LBB127_1897:
	s_mov_b32 s4, 0
.LBB127_1898:
	s_delay_alu instid0(SALU_CYCLE_1)
	s_and_not1_b32 vcc_lo, exec_lo, s4
	s_cbranch_vccnz .LBB127_1907
; %bb.1899:
	v_and_b32_e64 v0, 0xff, s6
	s_delay_alu instid0(VALU_DEP_1)
	v_cmp_gt_i16_e32 vcc_lo, 0x80, v0
	s_cbranch_vccnz .LBB127_1901
; %bb.1900:
	v_cmp_ne_u16_e64 s4, 0x80, v0
	s_mov_b32 s10, 0
	s_mov_b32 s5, 0
	s_branch .LBB127_1902
.LBB127_1901:
	s_mov_b32 s10, -1
	s_mov_b32 s4, 0
                                        ; implicit-def: $sgpr5
.LBB127_1902:
	s_and_not1_b32 vcc_lo, exec_lo, s10
	s_cbranch_vccnz .LBB127_1904
; %bb.1903:
	v_cmp_ne_u16_e64 s4, 0, v0
	s_mov_b32 s5, 0
.LBB127_1904:
	s_delay_alu instid0(SALU_CYCLE_1) | instskip(NEXT) | instid1(VALU_DEP_2)
	v_mov_b32_e32 v0, s5
	s_and_not1_b32 vcc_lo, exec_lo, s4
	s_cbranch_vccnz .LBB127_1906
; %bb.1905:
	v_lshrrev_b16 v0, 2, s6
	s_and_b32 s4, s6, 3
	s_lshl_b32 s12, s6, 24
	s_clz_i32_u32 s5, s4
	s_delay_alu instid0(SALU_CYCLE_1) | instskip(SKIP_4) | instid1(VALU_DEP_1)
	s_min_u32 s5, s5, 32
	v_readfirstlane_b32 s10, v0
	s_sub_i32 s11, s5, 29
	s_sub_i32 s5, 30, s5
	s_lshl_b32 s11, s6, s11
	s_and_b32 s10, s10, 31
	s_and_b32 s11, s11, 3
	s_cmp_eq_u32 s10, 0
	s_cselect_b32 s5, s5, s10
	s_cselect_b32 s4, s11, s4
	s_lshl_b32 s5, s5, 23
	s_and_b32 s10, s12, 0x80000000
	s_add_i32 s5, s5, 0x37800000
	s_lshl_b32 s4, s4, 21
	s_or_b32 s5, s10, s5
	s_delay_alu instid0(SALU_CYCLE_1) | instskip(NEXT) | instid1(SALU_CYCLE_1)
	s_or_b32 s4, s5, s4
	v_cvt_i32_f32_e32 v0, s4
.LBB127_1906:
	global_store_b16 v[5:6], v0, off
.LBB127_1907:
	s_mov_b32 s4, 0
.LBB127_1908:
	s_delay_alu instid0(SALU_CYCLE_1)
	s_and_not1_b32 vcc_lo, exec_lo, s4
	s_cbranch_vccnz .LBB127_1927
; %bb.1909:
	v_cmp_lt_i16_e32 vcc_lo, 0, v9
	s_mov_b32 s4, 0
	s_mov_b32 s5, -1
	s_cbranch_vccz .LBB127_1918
; %bb.1910:
	v_and_b32_e64 v0, 0xff, s6
	s_delay_alu instid0(VALU_DEP_1)
	v_cmp_gt_i16_e32 vcc_lo, 0x80, v0
	s_cbranch_vccnz .LBB127_1912
; %bb.1911:
	v_cmp_ne_u16_e64 s4, 0x80, v0
	s_mov_b32 s10, 0
	s_mov_b32 s5, 0
	s_branch .LBB127_1913
.LBB127_1912:
	s_mov_b32 s10, -1
                                        ; implicit-def: $sgpr5
.LBB127_1913:
	s_delay_alu instid0(SALU_CYCLE_1)
	s_and_not1_b32 vcc_lo, exec_lo, s10
	s_cbranch_vccnz .LBB127_1915
; %bb.1914:
	v_cmp_ne_u16_e64 s4, 0, v0
	s_mov_b32 s5, 0
.LBB127_1915:
	s_delay_alu instid0(SALU_CYCLE_1) | instskip(NEXT) | instid1(VALU_DEP_2)
	v_mov_b32_e32 v0, s5
	s_and_not1_b32 vcc_lo, exec_lo, s4
	s_cbranch_vccnz .LBB127_1917
; %bb.1916:
	v_lshrrev_b16 v0, 2, s6
	s_and_b32 s4, s6, 3
	s_lshl_b32 s12, s6, 24
	s_clz_i32_u32 s5, s4
	s_delay_alu instid0(SALU_CYCLE_1) | instskip(SKIP_4) | instid1(VALU_DEP_1)
	s_min_u32 s5, s5, 32
	v_readfirstlane_b32 s10, v0
	s_sub_i32 s11, s5, 29
	s_sub_i32 s5, 30, s5
	s_lshl_b32 s11, s6, s11
	s_and_b32 s10, s10, 31
	s_and_b32 s11, s11, 3
	s_cmp_eq_u32 s10, 0
	s_cselect_b32 s5, s5, s10
	s_cselect_b32 s4, s11, s4
	s_lshl_b32 s5, s5, 23
	s_and_b32 s10, s12, 0x80000000
	s_add_i32 s5, s5, 0x37800000
	s_lshl_b32 s4, s4, 21
	s_or_b32 s5, s10, s5
	s_delay_alu instid0(SALU_CYCLE_1) | instskip(NEXT) | instid1(SALU_CYCLE_1)
	s_or_b32 s4, s5, s4
	v_cvt_i32_f32_e32 v0, s4
.LBB127_1917:
	s_mov_b32 s5, 0
	global_store_b8 v[5:6], v0, off
.LBB127_1918:
	s_and_b32 vcc_lo, exec_lo, s5
	s_cbranch_vccz .LBB127_1927
; %bb.1919:
	v_and_b32_e64 v0, 0xff, s6
	s_delay_alu instid0(VALU_DEP_1)
	v_cmp_gt_i16_e32 vcc_lo, 0x80, v0
	s_cbranch_vccnz .LBB127_1921
; %bb.1920:
	v_cmp_ne_u16_e64 s4, 0x80, v0
	s_mov_b32 s10, 0
	s_mov_b32 s5, 0
	s_branch .LBB127_1922
.LBB127_1921:
	s_mov_b32 s10, -1
	s_mov_b32 s4, 0
                                        ; implicit-def: $sgpr5
.LBB127_1922:
	s_and_not1_b32 vcc_lo, exec_lo, s10
	s_cbranch_vccnz .LBB127_1924
; %bb.1923:
	v_cmp_ne_u16_e64 s4, 0, v0
	s_mov_b32 s5, 0
.LBB127_1924:
	s_delay_alu instid0(SALU_CYCLE_1) | instskip(NEXT) | instid1(VALU_DEP_2)
	v_mov_b32_e32 v0, s5
	s_and_not1_b32 vcc_lo, exec_lo, s4
	s_cbranch_vccnz .LBB127_1926
; %bb.1925:
	v_lshrrev_b16 v0, 2, s6
	s_and_b32 s4, s6, 3
	s_lshl_b32 s11, s6, 24
	s_clz_i32_u32 s5, s4
	s_delay_alu instid0(SALU_CYCLE_1) | instskip(SKIP_4) | instid1(VALU_DEP_1)
	s_min_u32 s5, s5, 32
	v_readfirstlane_b32 s10, v0
	s_sub_i32 s12, s5, 29
	s_sub_i32 s5, 30, s5
	s_lshl_b32 s12, s6, s12
	s_and_b32 s10, s10, 31
	s_and_b32 s12, s12, 3
	s_cmp_eq_u32 s10, 0
	s_cselect_b32 s5, s5, s10
	s_cselect_b32 s4, s12, s4
	s_lshl_b32 s5, s5, 23
	s_and_b32 s10, s11, 0x80000000
	s_add_i32 s5, s5, 0x37800000
	s_lshl_b32 s4, s4, 21
	s_or_b32 s5, s10, s5
	s_delay_alu instid0(SALU_CYCLE_1) | instskip(NEXT) | instid1(SALU_CYCLE_1)
	s_or_b32 s4, s5, s4
	v_trunc_f32_e32 v0, s4
	s_delay_alu instid0(VALU_DEP_1) | instskip(NEXT) | instid1(VALU_DEP_1)
	v_mul_f32_e64 v1, 0x2f800000, |v0|
	v_floor_f32_e32 v1, v1
	s_delay_alu instid0(VALU_DEP_1) | instskip(SKIP_1) | instid1(VALU_DEP_2)
	v_fma_f32 v1, 0xcf800000, v1, |v0|
	v_ashrrev_i32_e32 v0, 31, v0
	v_cvt_u32_f32_e32 v1, v1
	s_delay_alu instid0(VALU_DEP_1) | instskip(NEXT) | instid1(VALU_DEP_1)
	v_xor_b32_e32 v1, v1, v0
	v_sub_nc_u32_e32 v0, v1, v0
.LBB127_1926:
	global_store_b8 v[5:6], v0, off
.LBB127_1927:
	s_mov_b32 s5, -1
.LBB127_1928:
	s_delay_alu instid0(SALU_CYCLE_1)
	s_and_not1_b32 vcc_lo, exec_lo, s5
	s_cbranch_vccnz .LBB127_1938
; %bb.1929:
	s_load_b32 s0, s[0:1], 0x118
	s_mov_b32 s4, 0
	s_waitcnt lgkmcnt(0)
	v_lshrrev_b16 v6, 8, s0
	v_add_co_u32 v4, s0, s2, v4
	s_delay_alu instid0(VALU_DEP_1) | instskip(NEXT) | instid1(VALU_DEP_3)
	v_add_co_ci_u32_e64 v5, null, s3, 0, s0
	v_cmp_gt_i16_e32 vcc_lo, 11, v6
	s_mov_b32 s0, -1
	s_cbranch_vccnz .LBB127_1939
; %bb.1930:
	v_cmp_lt_i16_e32 vcc_lo, 25, v6
	s_mov_b32 s1, -1
	s_mov_b32 s0, 0
	s_cbranch_vccz .LBB127_2362
; %bb.1931:
	v_cmp_lt_i16_e32 vcc_lo, 28, v6
	s_cbranch_vccz .LBB127_2320
; %bb.1932:
	v_cmp_lt_i16_e32 vcc_lo, 43, v6
	;; [unrolled: 3-line block ×3, first 2 shown]
	s_cbranch_vccz .LBB127_2293
; %bb.1934:
	v_cmp_eq_u16_e32 vcc_lo, 46, v6
	s_mov_b32 s0, -1
	s_cbranch_vccz .LBB127_2292
; %bb.1935:
	v_and_b32_e64 v0, 0xff, s6
	s_delay_alu instid0(VALU_DEP_1)
	v_cmp_gt_i16_e32 vcc_lo, 0x80, v0
	s_cbranch_vccnz .LBB127_2085
; %bb.1936:
	v_cmp_eq_u16_e32 vcc_lo, 0x80, v0
	s_cbranch_vccz .LBB127_2285
; %bb.1937:
	s_mov_b32 s1, 0
	s_mov_b32 s0, 0x7f800001
	s_branch .LBB127_2286
.LBB127_1938:
	s_mov_b32 s0, 0
	s_mov_b32 s4, 0
                                        ; implicit-def: $vgpr4_vgpr5
                                        ; implicit-def: $vgpr6
.LBB127_1939:
	s_and_b32 s5, s0, exec_lo
	s_and_not1_b32 s0, s8, exec_lo
	s_and_b32 s1, s7, exec_lo
	s_and_b32 s22, s4, exec_lo
	s_or_b32 s8, s0, s1
.LBB127_1940:
	s_or_b32 exec_lo, exec_lo, s9
	s_and_saveexec_b32 s0, s8
	s_cbranch_execz .LBB127_1943
; %bb.1941:
	; divergent unreachable
	s_or_b32 exec_lo, exec_lo, s0
	s_and_saveexec_b32 s0, s22
	s_cbranch_execnz .LBB127_1944
.LBB127_1942:
	s_or_b32 exec_lo, exec_lo, s0
	s_and_saveexec_b32 s0, s5
	s_cbranch_execnz .LBB127_1952
	s_branch .LBB127_2081
.LBB127_1943:
	s_or_b32 exec_lo, exec_lo, s0
	s_and_saveexec_b32 s0, s22
	s_cbranch_execz .LBB127_1942
.LBB127_1944:
	v_and_b32_e64 v0, 0xff, s6
	s_delay_alu instid0(VALU_DEP_1)
	v_cmp_gt_i16_e32 vcc_lo, 0x80, v0
	s_cbranch_vccnz .LBB127_1947
; %bb.1945:
	v_cmp_eq_u16_e32 vcc_lo, 0x80, v0
	s_cbranch_vccz .LBB127_1959
; %bb.1946:
	s_mov_b32 s2, 0
	s_mov_b32 s1, -1
	s_branch .LBB127_1949
.LBB127_1947:
	s_mov_b32 s2, 0
                                        ; implicit-def: $sgpr1
	s_cbranch_execz .LBB127_1949
; %bb.1948:
	v_cmp_ne_u16_e64 s2, 0, v0
	s_mov_b32 s1, 0
.LBB127_1949:
	s_delay_alu instid0(VALU_DEP_1)
	s_and_not1_b32 vcc_lo, exec_lo, s2
	s_cbranch_vccnz .LBB127_1951
; %bb.1950:
	v_lshrrev_b16 v0, 2, s6
	s_and_b32 s1, s6, 3
	s_delay_alu instid0(SALU_CYCLE_1) | instskip(NEXT) | instid1(SALU_CYCLE_1)
	s_clz_i32_u32 s2, s1
	s_min_u32 s2, s2, 32
	s_delay_alu instid0(VALU_DEP_1) | instskip(SKIP_3) | instid1(VALU_DEP_1)
	v_readfirstlane_b32 s3, v0
	s_sub_i32 s4, s2, 29
	s_sub_i32 s2, 30, s2
	s_lshl_b32 s4, s6, s4
	s_and_b32 s3, s3, 31
	s_and_b32 s4, s4, 3
	s_cmp_eq_u32 s3, 0
	s_cselect_b32 s2, s2, s3
	s_cselect_b32 s1, s4, s1
	s_lshl_b32 s2, s2, 23
	s_lshl_b32 s1, s1, 21
	s_add_i32 s2, s2, 0x37800000
	s_delay_alu instid0(SALU_CYCLE_1) | instskip(NEXT) | instid1(SALU_CYCLE_1)
	s_and_b32 s2, s2, 0x7f800000
	s_or_b32 s1, s2, s1
	s_delay_alu instid0(SALU_CYCLE_1)
	s_cmp_lg_u32 s1, 0
	s_cselect_b32 s1, -1, 0
.LBB127_1951:
	s_delay_alu instid0(SALU_CYCLE_1)
	v_cndmask_b32_e64 v0, 0, 1, s1
	global_store_b8 v[4:5], v0, off
	s_or_b32 exec_lo, exec_lo, s0
	s_and_saveexec_b32 s0, s5
	s_cbranch_execz .LBB127_2081
.LBB127_1952:
	v_cmp_gt_i16_e32 vcc_lo, 5, v6
	s_mov_b32 s0, -1
	s_cbranch_vccnz .LBB127_2034
; %bb.1953:
	v_cmp_gt_i16_e32 vcc_lo, 8, v6
	s_cbranch_vccnz .LBB127_1986
; %bb.1954:
	v_cmp_gt_i16_e32 vcc_lo, 9, v6
	s_cbranch_vccnz .LBB127_1981
; %bb.1955:
	v_cmp_lt_i16_e32 vcc_lo, 9, v6
	s_cbranch_vccz .LBB127_1968
; %bb.1956:
	v_and_b32_e64 v0, 0xff, s6
	s_delay_alu instid0(VALU_DEP_1)
	v_cmp_gt_i16_e32 vcc_lo, 0x80, v0
	s_cbranch_vccnz .LBB127_1960
; %bb.1957:
	v_cmp_eq_u16_e32 vcc_lo, 0x80, v0
	s_cbranch_vccz .LBB127_1961
; %bb.1958:
	s_mov_b32 s2, 0
	s_mov_b32 s1, 0x7ff80000
	s_brev_b32 s0, 4
	s_branch .LBB127_1962
.LBB127_1959:
	s_mov_b32 s2, -1
                                        ; implicit-def: $sgpr1
	s_branch .LBB127_1949
.LBB127_1960:
	s_mov_b32 s3, -1
	s_mov_b32 s2, 0
                                        ; implicit-def: $sgpr0_sgpr1
	s_branch .LBB127_1963
.LBB127_1961:
	s_mov_b32 s2, -1
                                        ; implicit-def: $sgpr0_sgpr1
.LBB127_1962:
	s_mov_b32 s3, 0
.LBB127_1963:
	s_delay_alu instid0(SALU_CYCLE_1)
	s_and_b32 vcc_lo, exec_lo, s3
	s_cbranch_vccz .LBB127_1965
; %bb.1964:
	v_cmp_ne_u16_e64 s2, 0, v0
	s_mov_b64 s[0:1], 0
.LBB127_1965:
	s_delay_alu instid0(SALU_CYCLE_1) | instskip(NEXT) | instid1(VALU_DEP_2)
	v_dual_mov_b32 v0, s0 :: v_dual_mov_b32 v1, s1
	s_and_not1_b32 vcc_lo, exec_lo, s2
	s_cbranch_vccnz .LBB127_1967
; %bb.1966:
	v_lshrrev_b16 v0, 2, s6
	s_and_b32 s0, s6, 3
	s_lshl_b32 s4, s6, 24
	s_clz_i32_u32 s1, s0
	s_delay_alu instid0(SALU_CYCLE_1) | instskip(SKIP_4) | instid1(VALU_DEP_1)
	s_min_u32 s1, s1, 32
	v_readfirstlane_b32 s2, v0
	s_sub_i32 s3, s1, 29
	s_sub_i32 s1, 30, s1
	s_lshl_b32 s3, s6, s3
	s_and_b32 s2, s2, 31
	s_and_b32 s3, s3, 3
	s_cmp_eq_u32 s2, 0
	s_cselect_b32 s1, s1, s2
	s_cselect_b32 s0, s3, s0
	s_lshl_b32 s1, s1, 23
	s_and_b32 s2, s4, 0x80000000
	s_add_i32 s1, s1, 0x37800000
	s_lshl_b32 s0, s0, 21
	s_or_b32 s1, s2, s1
	s_delay_alu instid0(SALU_CYCLE_1) | instskip(NEXT) | instid1(SALU_CYCLE_1)
	s_or_b32 s0, s1, s0
	v_cvt_f64_f32_e32 v[0:1], s0
.LBB127_1967:
	v_mov_b32_e32 v2, 0
	s_mov_b32 s0, 0
	s_delay_alu instid0(VALU_DEP_1)
	v_mov_b32_e32 v3, v2
	global_store_b128 v[4:5], v[0:3], off
.LBB127_1968:
	s_and_b32 vcc_lo, exec_lo, s0
	s_cbranch_vccz .LBB127_1980
; %bb.1969:
	v_and_b32_e64 v1, 0xff, s6
	s_delay_alu instid0(VALU_DEP_1)
	v_cmp_gt_i16_e32 vcc_lo, 0x80, v1
	s_cbranch_vccnz .LBB127_1972
; %bb.1970:
	v_cmp_eq_u16_e32 vcc_lo, 0x80, v1
	s_cbranch_vccz .LBB127_1973
; %bb.1971:
	s_mov_b32 s0, 0
	s_mov_b32 s1, 0x7f800001
	s_branch .LBB127_1974
.LBB127_1972:
	s_mov_b32 s2, -1
	s_mov_b32 s0, 0
                                        ; implicit-def: $sgpr1
	s_branch .LBB127_1975
.LBB127_1973:
	s_mov_b32 s0, -1
                                        ; implicit-def: $sgpr1
.LBB127_1974:
	s_mov_b32 s2, 0
.LBB127_1975:
	v_mov_b32_e32 v0, s1
	s_and_b32 vcc_lo, exec_lo, s2
	s_cbranch_vccz .LBB127_1977
; %bb.1976:
	v_and_b32_e32 v0, 0xffff, v1
	v_cmp_ne_u16_e64 s0, 0, v1
.LBB127_1977:
	s_delay_alu instid0(VALU_DEP_1)
	s_and_not1_b32 vcc_lo, exec_lo, s0
	s_cbranch_vccnz .LBB127_1979
; %bb.1978:
	v_lshrrev_b16 v0, 2, s6
	s_and_b32 s0, s6, 3
	s_lshl_b32 s4, s6, 24
	s_clz_i32_u32 s1, s0
	s_delay_alu instid0(SALU_CYCLE_1) | instskip(SKIP_4) | instid1(VALU_DEP_1)
	s_min_u32 s1, s1, 32
	v_readfirstlane_b32 s2, v0
	s_sub_i32 s3, s1, 29
	s_sub_i32 s1, 30, s1
	s_lshl_b32 s3, s6, s3
	s_and_b32 s2, s2, 31
	s_and_b32 s3, s3, 3
	s_cmp_eq_u32 s2, 0
	s_cselect_b32 s1, s1, s2
	s_cselect_b32 s0, s3, s0
	s_lshl_b32 s1, s1, 23
	s_and_b32 s2, s4, 0x80000000
	s_add_i32 s1, s1, 0x37800000
	s_lshl_b32 s0, s0, 21
	s_or_b32 s1, s2, s1
	s_delay_alu instid0(SALU_CYCLE_1) | instskip(NEXT) | instid1(SALU_CYCLE_1)
	s_or_b32 s0, s1, s0
	v_mov_b32_e32 v0, s0
.LBB127_1979:
	v_mov_b32_e32 v1, 0
	global_store_b64 v[4:5], v[0:1], off
.LBB127_1980:
	s_mov_b32 s0, 0
.LBB127_1981:
	s_delay_alu instid0(SALU_CYCLE_1)
	s_and_not1_b32 vcc_lo, exec_lo, s0
	s_cbranch_vccnz .LBB127_1985
; %bb.1982:
	v_and_b32_e64 v0, 0xff, s6
	s_delay_alu instid0(VALU_DEP_1)
	v_cmp_gt_i16_e32 vcc_lo, 0x80, v0
	s_cbranch_vccnz .LBB127_1992
; %bb.1983:
	v_cmp_eq_u16_e32 vcc_lo, 0x80, v0
	s_cbranch_vccz .LBB127_1993
; %bb.1984:
	s_mov_b32 s0, 0
	s_movk_i32 s1, 0x7e00
	s_branch .LBB127_1994
.LBB127_1985:
	s_mov_b32 s0, 0
.LBB127_1986:
	s_delay_alu instid0(SALU_CYCLE_1)
	s_and_not1_b32 vcc_lo, exec_lo, s0
	s_cbranch_vccnz .LBB127_2033
.LBB127_1987:
	v_cmp_gt_i16_e32 vcc_lo, 6, v6
	s_mov_b32 s0, -1
	s_cbranch_vccnz .LBB127_2021
; %bb.1988:
	v_cmp_lt_i16_e32 vcc_lo, 6, v6
	s_cbranch_vccz .LBB127_2008
; %bb.1989:
	v_and_b32_e64 v0, 0xff, s6
	s_delay_alu instid0(VALU_DEP_1)
	v_cmp_gt_i16_e32 vcc_lo, 0x80, v0
	s_cbranch_vccnz .LBB127_2000
; %bb.1990:
	v_cmp_eq_u16_e32 vcc_lo, 0x80, v0
	s_cbranch_vccz .LBB127_2001
; %bb.1991:
	s_mov_b32 s2, 0
	s_mov_b32 s1, 0x7ff80000
	s_brev_b32 s0, 4
	s_branch .LBB127_2002
.LBB127_1992:
	s_mov_b32 s2, -1
	s_mov_b32 s0, 0
                                        ; implicit-def: $sgpr1
	s_branch .LBB127_1995
.LBB127_1993:
	s_mov_b32 s0, -1
                                        ; implicit-def: $sgpr1
.LBB127_1994:
	s_mov_b32 s2, 0
.LBB127_1995:
	v_mov_b32_e32 v1, s1
	s_and_b32 vcc_lo, exec_lo, s2
	s_cbranch_vccz .LBB127_1997
; %bb.1996:
	v_and_b32_e32 v1, 0xffff, v0
	v_cmp_ne_u16_e64 s0, 0, v0
.LBB127_1997:
	s_delay_alu instid0(VALU_DEP_1)
	s_and_not1_b32 vcc_lo, exec_lo, s0
	s_cbranch_vccnz .LBB127_1999
; %bb.1998:
	v_lshrrev_b16 v0, 2, s6
	s_and_b32 s0, s6, 3
	s_lshl_b32 s4, s6, 24
	s_clz_i32_u32 s1, s0
	s_delay_alu instid0(SALU_CYCLE_1) | instskip(SKIP_4) | instid1(VALU_DEP_1)
	s_min_u32 s1, s1, 32
	v_readfirstlane_b32 s2, v0
	s_sub_i32 s3, s1, 29
	s_sub_i32 s1, 30, s1
	s_lshl_b32 s3, s6, s3
	s_and_b32 s2, s2, 31
	s_and_b32 s3, s3, 3
	s_cmp_eq_u32 s2, 0
	s_cselect_b32 s1, s1, s2
	s_cselect_b32 s0, s3, s0
	s_lshl_b32 s1, s1, 23
	s_and_b32 s2, s4, 0x80000000
	s_add_i32 s1, s1, 0x37800000
	s_lshl_b32 s0, s0, 21
	s_or_b32 s1, s2, s1
	s_delay_alu instid0(SALU_CYCLE_1) | instskip(NEXT) | instid1(SALU_CYCLE_1)
	s_or_b32 s0, s1, s0
	v_cvt_f16_f32_e32 v0, s0
	s_delay_alu instid0(VALU_DEP_1)
	v_and_b32_e32 v1, 0xffff, v0
.LBB127_1999:
	global_store_b32 v[4:5], v1, off
	s_cbranch_execz .LBB127_1987
	s_branch .LBB127_2033
.LBB127_2000:
	s_mov_b32 s3, -1
	s_mov_b32 s2, 0
                                        ; implicit-def: $sgpr0_sgpr1
	s_branch .LBB127_2003
.LBB127_2001:
	s_mov_b32 s2, -1
                                        ; implicit-def: $sgpr0_sgpr1
.LBB127_2002:
	s_mov_b32 s3, 0
.LBB127_2003:
	s_delay_alu instid0(SALU_CYCLE_1)
	s_and_b32 vcc_lo, exec_lo, s3
	s_cbranch_vccz .LBB127_2005
; %bb.2004:
	v_cmp_ne_u16_e64 s2, 0, v0
	s_mov_b64 s[0:1], 0
.LBB127_2005:
	s_delay_alu instid0(SALU_CYCLE_1) | instskip(NEXT) | instid1(VALU_DEP_2)
	v_dual_mov_b32 v0, s0 :: v_dual_mov_b32 v1, s1
	s_and_not1_b32 vcc_lo, exec_lo, s2
	s_cbranch_vccnz .LBB127_2007
; %bb.2006:
	v_lshrrev_b16 v0, 2, s6
	s_and_b32 s0, s6, 3
	s_lshl_b32 s4, s6, 24
	s_clz_i32_u32 s1, s0
	s_delay_alu instid0(SALU_CYCLE_1) | instskip(SKIP_4) | instid1(VALU_DEP_1)
	s_min_u32 s1, s1, 32
	v_readfirstlane_b32 s2, v0
	s_sub_i32 s3, s1, 29
	s_sub_i32 s1, 30, s1
	s_lshl_b32 s3, s6, s3
	s_and_b32 s2, s2, 31
	s_and_b32 s3, s3, 3
	s_cmp_eq_u32 s2, 0
	s_cselect_b32 s1, s1, s2
	s_cselect_b32 s0, s3, s0
	s_lshl_b32 s1, s1, 23
	s_and_b32 s2, s4, 0x80000000
	s_add_i32 s1, s1, 0x37800000
	s_lshl_b32 s0, s0, 21
	s_or_b32 s1, s2, s1
	s_delay_alu instid0(SALU_CYCLE_1) | instskip(NEXT) | instid1(SALU_CYCLE_1)
	s_or_b32 s0, s1, s0
	v_cvt_f64_f32_e32 v[0:1], s0
.LBB127_2007:
	s_mov_b32 s0, 0
	global_store_b64 v[4:5], v[0:1], off
.LBB127_2008:
	s_and_b32 vcc_lo, exec_lo, s0
	s_cbranch_vccz .LBB127_2020
; %bb.2009:
	v_and_b32_e64 v0, 0xff, s6
	s_delay_alu instid0(VALU_DEP_1)
	v_cmp_gt_i16_e32 vcc_lo, 0x80, v0
	s_cbranch_vccnz .LBB127_2012
; %bb.2010:
	v_cmp_eq_u16_e32 vcc_lo, 0x80, v0
	s_cbranch_vccz .LBB127_2013
; %bb.2011:
	s_mov_b32 s0, 0
	s_mov_b32 s1, 0x7f800001
	s_branch .LBB127_2014
.LBB127_2012:
	s_mov_b32 s2, -1
	s_mov_b32 s0, 0
                                        ; implicit-def: $sgpr1
	s_branch .LBB127_2015
.LBB127_2013:
	s_mov_b32 s0, -1
                                        ; implicit-def: $sgpr1
.LBB127_2014:
	s_mov_b32 s2, 0
.LBB127_2015:
	v_mov_b32_e32 v1, s1
	s_and_b32 vcc_lo, exec_lo, s2
	s_cbranch_vccz .LBB127_2017
; %bb.2016:
	v_and_b32_e32 v1, 0xffff, v0
	v_cmp_ne_u16_e64 s0, 0, v0
.LBB127_2017:
	s_delay_alu instid0(VALU_DEP_1)
	s_and_not1_b32 vcc_lo, exec_lo, s0
	s_cbranch_vccnz .LBB127_2019
; %bb.2018:
	v_lshrrev_b16 v0, 2, s6
	s_and_b32 s0, s6, 3
	s_lshl_b32 s4, s6, 24
	s_clz_i32_u32 s1, s0
	s_delay_alu instid0(SALU_CYCLE_1) | instskip(SKIP_4) | instid1(VALU_DEP_1)
	s_min_u32 s1, s1, 32
	v_readfirstlane_b32 s2, v0
	s_sub_i32 s3, s1, 29
	s_sub_i32 s1, 30, s1
	s_lshl_b32 s3, s6, s3
	s_and_b32 s2, s2, 31
	s_and_b32 s3, s3, 3
	s_cmp_eq_u32 s2, 0
	s_cselect_b32 s1, s1, s2
	s_cselect_b32 s0, s3, s0
	s_lshl_b32 s1, s1, 23
	s_and_b32 s2, s4, 0x80000000
	s_add_i32 s1, s1, 0x37800000
	s_lshl_b32 s0, s0, 21
	s_or_b32 s1, s2, s1
	s_delay_alu instid0(SALU_CYCLE_1) | instskip(NEXT) | instid1(SALU_CYCLE_1)
	s_or_b32 s0, s1, s0
	v_mov_b32_e32 v1, s0
.LBB127_2019:
	global_store_b32 v[4:5], v1, off
.LBB127_2020:
	s_mov_b32 s0, 0
.LBB127_2021:
	s_delay_alu instid0(SALU_CYCLE_1)
	s_and_not1_b32 vcc_lo, exec_lo, s0
	s_cbranch_vccnz .LBB127_2033
; %bb.2022:
	v_and_b32_e64 v0, 0xff, s6
	s_delay_alu instid0(VALU_DEP_1)
	v_cmp_gt_i16_e32 vcc_lo, 0x80, v0
	s_cbranch_vccnz .LBB127_2025
; %bb.2023:
	v_cmp_eq_u16_e32 vcc_lo, 0x80, v0
	s_cbranch_vccz .LBB127_2026
; %bb.2024:
	s_mov_b32 s0, 0
	s_movk_i32 s1, 0x7e00
	s_branch .LBB127_2027
.LBB127_2025:
	s_mov_b32 s2, -1
	s_mov_b32 s0, 0
                                        ; implicit-def: $sgpr1
	s_branch .LBB127_2028
.LBB127_2026:
	s_mov_b32 s0, -1
                                        ; implicit-def: $sgpr1
.LBB127_2027:
	s_mov_b32 s2, 0
.LBB127_2028:
	v_mov_b32_e32 v1, s1
	s_and_b32 vcc_lo, exec_lo, s2
	s_cbranch_vccz .LBB127_2030
; %bb.2029:
	v_cmp_ne_u16_e64 s0, 0, v0
	v_mov_b32_e32 v1, v0
.LBB127_2030:
	s_delay_alu instid0(VALU_DEP_2)
	s_and_not1_b32 vcc_lo, exec_lo, s0
	s_cbranch_vccnz .LBB127_2032
; %bb.2031:
	v_lshrrev_b16 v0, 2, s6
	s_and_b32 s0, s6, 3
	s_lshl_b32 s4, s6, 24
	s_clz_i32_u32 s1, s0
	s_delay_alu instid0(SALU_CYCLE_1) | instskip(SKIP_4) | instid1(VALU_DEP_1)
	s_min_u32 s1, s1, 32
	v_readfirstlane_b32 s2, v0
	s_sub_i32 s3, s1, 29
	s_sub_i32 s1, 30, s1
	s_lshl_b32 s3, s6, s3
	s_and_b32 s2, s2, 31
	s_and_b32 s3, s3, 3
	s_cmp_eq_u32 s2, 0
	s_cselect_b32 s1, s1, s2
	s_cselect_b32 s0, s3, s0
	s_lshl_b32 s1, s1, 23
	s_and_b32 s2, s4, 0x80000000
	s_add_i32 s1, s1, 0x37800000
	s_lshl_b32 s0, s0, 21
	s_or_b32 s1, s2, s1
	s_delay_alu instid0(SALU_CYCLE_1) | instskip(NEXT) | instid1(SALU_CYCLE_1)
	s_or_b32 s0, s1, s0
	v_cvt_f16_f32_e32 v1, s0
.LBB127_2032:
	global_store_b16 v[4:5], v1, off
.LBB127_2033:
	s_mov_b32 s0, 0
.LBB127_2034:
	s_delay_alu instid0(SALU_CYCLE_1)
	s_and_not1_b32 vcc_lo, exec_lo, s0
	s_cbranch_vccnz .LBB127_2081
; %bb.2035:
	v_cmp_gt_i16_e32 vcc_lo, 2, v6
	s_mov_b32 s0, -1
	s_cbranch_vccnz .LBB127_2060
; %bb.2036:
	v_cmp_gt_i16_e32 vcc_lo, 3, v6
	s_cbranch_vccnz .LBB127_2056
; %bb.2037:
	v_cmp_lt_i16_e32 vcc_lo, 3, v6
	s_cbranch_vccz .LBB127_2046
; %bb.2038:
	v_and_b32_e64 v0, 0xff, s6
	s_delay_alu instid0(VALU_DEP_1)
	v_cmp_gt_i16_e32 vcc_lo, 0x80, v0
	s_cbranch_vccnz .LBB127_2040
; %bb.2039:
	v_cmp_ne_u16_e64 s2, 0x80, v0
	s_mov_b32 s3, 0
	s_mov_b64 s[0:1], 0
	s_branch .LBB127_2041
.LBB127_2040:
	s_mov_b32 s3, -1
	s_mov_b32 s2, 0
                                        ; implicit-def: $sgpr0_sgpr1
.LBB127_2041:
	s_and_not1_b32 vcc_lo, exec_lo, s3
	s_cbranch_vccnz .LBB127_2043
; %bb.2042:
	v_cmp_ne_u16_e64 s2, 0, v0
	s_mov_b64 s[0:1], 0
.LBB127_2043:
	s_delay_alu instid0(SALU_CYCLE_1) | instskip(NEXT) | instid1(VALU_DEP_2)
	v_dual_mov_b32 v0, s0 :: v_dual_mov_b32 v1, s1
	s_and_not1_b32 vcc_lo, exec_lo, s2
	s_cbranch_vccnz .LBB127_2045
; %bb.2044:
	v_lshrrev_b16 v0, 2, s6
	s_and_b32 s0, s6, 3
	s_lshl_b32 s3, s6, 24
	s_clz_i32_u32 s1, s0
	s_delay_alu instid0(SALU_CYCLE_1) | instskip(SKIP_4) | instid1(VALU_DEP_1)
	s_min_u32 s1, s1, 32
	v_readfirstlane_b32 s2, v0
	s_sub_i32 s4, s1, 29
	s_sub_i32 s1, 30, s1
	s_lshl_b32 s4, s6, s4
	s_and_b32 s2, s2, 31
	s_and_b32 s4, s4, 3
	s_cmp_eq_u32 s2, 0
	s_cselect_b32 s1, s1, s2
	s_cselect_b32 s0, s4, s0
	s_lshl_b32 s1, s1, 23
	s_and_b32 s2, s3, 0x80000000
	s_add_i32 s1, s1, 0x37800000
	s_lshl_b32 s0, s0, 21
	s_or_b32 s1, s2, s1
	s_delay_alu instid0(SALU_CYCLE_1) | instskip(NEXT) | instid1(SALU_CYCLE_1)
	s_or_b32 s0, s1, s0
	v_trunc_f32_e32 v0, s0
	s_delay_alu instid0(VALU_DEP_1) | instskip(SKIP_1) | instid1(VALU_DEP_2)
	v_mul_f32_e64 v1, 0x2f800000, |v0|
	v_ashrrev_i32_e32 v3, 31, v0
	v_floor_f32_e32 v1, v1
	s_delay_alu instid0(VALU_DEP_1) | instskip(SKIP_1) | instid1(VALU_DEP_2)
	v_fma_f32 v2, 0xcf800000, v1, |v0|
	v_cvt_u32_f32_e32 v1, v1
	v_cvt_u32_f32_e32 v0, v2
	s_delay_alu instid0(VALU_DEP_2) | instskip(NEXT) | instid1(VALU_DEP_2)
	v_xor_b32_e32 v1, v1, v3
	v_xor_b32_e32 v0, v0, v3
	s_delay_alu instid0(VALU_DEP_1) | instskip(NEXT) | instid1(VALU_DEP_3)
	v_sub_co_u32 v0, vcc_lo, v0, v3
	v_sub_co_ci_u32_e32 v1, vcc_lo, v1, v3, vcc_lo
.LBB127_2045:
	s_mov_b32 s0, 0
	global_store_b64 v[4:5], v[0:1], off
.LBB127_2046:
	s_and_b32 vcc_lo, exec_lo, s0
	s_cbranch_vccz .LBB127_2055
; %bb.2047:
	v_and_b32_e64 v0, 0xff, s6
	s_delay_alu instid0(VALU_DEP_1)
	v_cmp_gt_i16_e32 vcc_lo, 0x80, v0
	s_cbranch_vccnz .LBB127_2049
; %bb.2048:
	v_cmp_ne_u16_e64 s0, 0x80, v0
	s_mov_b32 s2, 0
	s_mov_b32 s1, 0
	s_branch .LBB127_2050
.LBB127_2049:
	s_mov_b32 s2, -1
	s_mov_b32 s0, 0
                                        ; implicit-def: $sgpr1
.LBB127_2050:
	s_and_not1_b32 vcc_lo, exec_lo, s2
	s_cbranch_vccnz .LBB127_2052
; %bb.2051:
	v_cmp_ne_u16_e64 s0, 0, v0
	s_mov_b32 s1, 0
.LBB127_2052:
	s_delay_alu instid0(SALU_CYCLE_1) | instskip(NEXT) | instid1(VALU_DEP_2)
	v_mov_b32_e32 v0, s1
	s_and_not1_b32 vcc_lo, exec_lo, s0
	s_cbranch_vccnz .LBB127_2054
; %bb.2053:
	v_lshrrev_b16 v0, 2, s6
	s_and_b32 s0, s6, 3
	s_lshl_b32 s4, s6, 24
	s_clz_i32_u32 s1, s0
	s_delay_alu instid0(SALU_CYCLE_1) | instskip(SKIP_4) | instid1(VALU_DEP_1)
	s_min_u32 s1, s1, 32
	v_readfirstlane_b32 s2, v0
	s_sub_i32 s3, s1, 29
	s_sub_i32 s1, 30, s1
	s_lshl_b32 s3, s6, s3
	s_and_b32 s2, s2, 31
	s_and_b32 s3, s3, 3
	s_cmp_eq_u32 s2, 0
	s_cselect_b32 s1, s1, s2
	s_cselect_b32 s0, s3, s0
	s_lshl_b32 s1, s1, 23
	s_and_b32 s2, s4, 0x80000000
	s_add_i32 s1, s1, 0x37800000
	s_lshl_b32 s0, s0, 21
	s_or_b32 s1, s2, s1
	s_delay_alu instid0(SALU_CYCLE_1) | instskip(NEXT) | instid1(SALU_CYCLE_1)
	s_or_b32 s0, s1, s0
	v_cvt_i32_f32_e32 v0, s0
.LBB127_2054:
	global_store_b32 v[4:5], v0, off
.LBB127_2055:
	s_mov_b32 s0, 0
.LBB127_2056:
	s_delay_alu instid0(SALU_CYCLE_1)
	s_and_not1_b32 vcc_lo, exec_lo, s0
	s_cbranch_vccnz .LBB127_2059
; %bb.2057:
	v_and_b32_e64 v0, 0xff, s6
	s_delay_alu instid0(VALU_DEP_1)
	v_cmp_gt_i16_e32 vcc_lo, 0x80, v0
	s_cbranch_vccnz .LBB127_2064
; %bb.2058:
	v_cmp_ne_u16_e64 s0, 0x80, v0
	s_mov_b32 s2, 0
	s_mov_b32 s1, 0
	s_branch .LBB127_2065
.LBB127_2059:
	s_mov_b32 s0, 0
.LBB127_2060:
	s_delay_alu instid0(SALU_CYCLE_1)
	s_and_not1_b32 vcc_lo, exec_lo, s0
	s_cbranch_vccnz .LBB127_2081
.LBB127_2061:
	v_cmp_lt_i16_e32 vcc_lo, 0, v6
	s_mov_b32 s0, 0
	s_mov_b32 s1, -1
	s_cbranch_vccz .LBB127_2076
; %bb.2062:
	v_and_b32_e64 v0, 0xff, s6
	s_delay_alu instid0(VALU_DEP_1)
	v_cmp_gt_i16_e32 vcc_lo, 0x80, v0
	s_cbranch_vccnz .LBB127_2070
; %bb.2063:
	v_cmp_ne_u16_e64 s0, 0x80, v0
	s_mov_b32 s2, 0
	s_mov_b32 s1, 0
	s_branch .LBB127_2071
.LBB127_2064:
	s_mov_b32 s2, -1
	s_mov_b32 s0, 0
                                        ; implicit-def: $sgpr1
.LBB127_2065:
	s_and_not1_b32 vcc_lo, exec_lo, s2
	s_cbranch_vccnz .LBB127_2067
; %bb.2066:
	v_cmp_ne_u16_e64 s0, 0, v0
	s_mov_b32 s1, 0
.LBB127_2067:
	s_delay_alu instid0(SALU_CYCLE_1) | instskip(NEXT) | instid1(VALU_DEP_2)
	v_mov_b32_e32 v0, s1
	s_and_not1_b32 vcc_lo, exec_lo, s0
	s_cbranch_vccnz .LBB127_2069
; %bb.2068:
	v_lshrrev_b16 v0, 2, s6
	s_and_b32 s0, s6, 3
	s_lshl_b32 s4, s6, 24
	s_clz_i32_u32 s1, s0
	s_delay_alu instid0(SALU_CYCLE_1) | instskip(SKIP_4) | instid1(VALU_DEP_1)
	s_min_u32 s1, s1, 32
	v_readfirstlane_b32 s2, v0
	s_sub_i32 s3, s1, 29
	s_sub_i32 s1, 30, s1
	s_lshl_b32 s3, s6, s3
	s_and_b32 s2, s2, 31
	s_and_b32 s3, s3, 3
	s_cmp_eq_u32 s2, 0
	s_cselect_b32 s1, s1, s2
	s_cselect_b32 s0, s3, s0
	s_lshl_b32 s1, s1, 23
	s_and_b32 s2, s4, 0x80000000
	s_add_i32 s1, s1, 0x37800000
	s_lshl_b32 s0, s0, 21
	s_or_b32 s1, s2, s1
	s_delay_alu instid0(SALU_CYCLE_1) | instskip(NEXT) | instid1(SALU_CYCLE_1)
	s_or_b32 s0, s1, s0
	v_cvt_i32_f32_e32 v0, s0
.LBB127_2069:
	global_store_b16 v[4:5], v0, off
	s_cbranch_execnz .LBB127_2081
	s_branch .LBB127_2061
.LBB127_2070:
	s_mov_b32 s2, -1
                                        ; implicit-def: $sgpr1
.LBB127_2071:
	s_delay_alu instid0(SALU_CYCLE_1)
	s_and_not1_b32 vcc_lo, exec_lo, s2
	s_cbranch_vccnz .LBB127_2073
; %bb.2072:
	v_cmp_ne_u16_e64 s0, 0, v0
	s_mov_b32 s1, 0
.LBB127_2073:
	s_delay_alu instid0(SALU_CYCLE_1) | instskip(NEXT) | instid1(VALU_DEP_2)
	v_mov_b32_e32 v0, s1
	s_and_not1_b32 vcc_lo, exec_lo, s0
	s_cbranch_vccnz .LBB127_2075
; %bb.2074:
	v_lshrrev_b16 v0, 2, s6
	s_and_b32 s0, s6, 3
	s_lshl_b32 s4, s6, 24
	s_clz_i32_u32 s1, s0
	s_delay_alu instid0(SALU_CYCLE_1) | instskip(SKIP_4) | instid1(VALU_DEP_1)
	s_min_u32 s1, s1, 32
	v_readfirstlane_b32 s2, v0
	s_sub_i32 s3, s1, 29
	s_sub_i32 s1, 30, s1
	s_lshl_b32 s3, s6, s3
	s_and_b32 s2, s2, 31
	s_and_b32 s3, s3, 3
	s_cmp_eq_u32 s2, 0
	s_cselect_b32 s1, s1, s2
	s_cselect_b32 s0, s3, s0
	s_lshl_b32 s1, s1, 23
	s_and_b32 s2, s4, 0x80000000
	s_add_i32 s1, s1, 0x37800000
	s_lshl_b32 s0, s0, 21
	s_or_b32 s1, s2, s1
	s_delay_alu instid0(SALU_CYCLE_1) | instskip(NEXT) | instid1(SALU_CYCLE_1)
	s_or_b32 s0, s1, s0
	v_cvt_i32_f32_e32 v0, s0
.LBB127_2075:
	s_mov_b32 s1, 0
	global_store_b8 v[4:5], v0, off
.LBB127_2076:
	s_and_b32 vcc_lo, exec_lo, s1
	s_cbranch_vccz .LBB127_2081
; %bb.2077:
	v_and_b32_e64 v0, 0xff, s6
	s_delay_alu instid0(VALU_DEP_1)
	v_cmp_gt_i16_e32 vcc_lo, 0x80, v0
	s_cbranch_vccnz .LBB127_2082
; %bb.2078:
	v_cmp_ne_u16_e64 s0, 0x80, v0
	s_mov_b32 s1, 0
	s_cbranch_execz .LBB127_2083
; %bb.2079:
	v_mov_b32_e32 v0, s1
	s_delay_alu instid0(VALU_DEP_2)
	s_and_not1_b32 vcc_lo, exec_lo, s0
	s_cbranch_vccnz .LBB127_2084
.LBB127_2080:
	v_lshrrev_b16 v0, 2, s6
	s_and_b32 s0, s6, 3
	s_lshl_b32 s3, s6, 24
	s_clz_i32_u32 s1, s0
	s_delay_alu instid0(SALU_CYCLE_1) | instskip(SKIP_4) | instid1(VALU_DEP_1)
	s_min_u32 s1, s1, 32
	v_readfirstlane_b32 s2, v0
	s_sub_i32 s4, s1, 29
	s_sub_i32 s1, 30, s1
	s_lshl_b32 s4, s6, s4
	s_and_b32 s2, s2, 31
	s_and_b32 s4, s4, 3
	s_cmp_eq_u32 s2, 0
	s_cselect_b32 s1, s1, s2
	s_cselect_b32 s0, s4, s0
	s_lshl_b32 s1, s1, 23
	s_and_b32 s2, s3, 0x80000000
	s_add_i32 s1, s1, 0x37800000
	s_lshl_b32 s0, s0, 21
	s_or_b32 s1, s2, s1
	s_delay_alu instid0(SALU_CYCLE_1) | instskip(NEXT) | instid1(SALU_CYCLE_1)
	s_or_b32 s0, s1, s0
	v_trunc_f32_e32 v0, s0
	s_delay_alu instid0(VALU_DEP_1) | instskip(NEXT) | instid1(VALU_DEP_1)
	v_mul_f32_e64 v1, 0x2f800000, |v0|
	v_floor_f32_e32 v1, v1
	s_delay_alu instid0(VALU_DEP_1) | instskip(SKIP_1) | instid1(VALU_DEP_2)
	v_fma_f32 v1, 0xcf800000, v1, |v0|
	v_ashrrev_i32_e32 v0, 31, v0
	v_cvt_u32_f32_e32 v1, v1
	s_delay_alu instid0(VALU_DEP_1) | instskip(NEXT) | instid1(VALU_DEP_1)
	v_xor_b32_e32 v1, v1, v0
	v_sub_nc_u32_e32 v0, v1, v0
	global_store_b8 v[4:5], v0, off
	s_nop 0
	s_sendmsg sendmsg(MSG_DEALLOC_VGPRS)
	s_endpgm
.LBB127_2081:
	s_nop 0
	s_sendmsg sendmsg(MSG_DEALLOC_VGPRS)
	s_endpgm
.LBB127_2082:
	s_mov_b32 s0, 0
                                        ; implicit-def: $sgpr1
.LBB127_2083:
	v_cmp_ne_u16_e64 s0, 0, v0
	s_mov_b32 s1, 0
	s_delay_alu instid0(SALU_CYCLE_1) | instskip(NEXT) | instid1(VALU_DEP_2)
	v_mov_b32_e32 v0, s1
	s_and_not1_b32 vcc_lo, exec_lo, s0
	s_cbranch_vccz .LBB127_2080
.LBB127_2084:
	global_store_b8 v[4:5], v0, off
	s_nop 0
	s_sendmsg sendmsg(MSG_DEALLOC_VGPRS)
	s_endpgm
.LBB127_2085:
	s_mov_b32 s2, -1
	s_mov_b32 s1, 0
                                        ; implicit-def: $sgpr0
	s_branch .LBB127_2287
.LBB127_2086:
                                        ; implicit-def: $sgpr16
.LBB127_2087:
	s_mov_b32 s19, 0
.LBB127_2088:
	s_delay_alu instid0(SALU_CYCLE_1)
	s_and_b32 vcc_lo, exec_lo, s19
	s_cbranch_vccz .LBB127_2090
; %bb.2089:
	v_cmp_ne_u16_e64 s18, 0, v0
	s_mov_b32 s16, 0
.LBB127_2090:
	s_delay_alu instid0(VALU_DEP_1)
	s_and_not1_b32 vcc_lo, exec_lo, s18
	s_cbranch_vccnz .LBB127_2092
; %bb.2091:
	s_mov_b32 s16, s26
.LBB127_2092:
	s_delay_alu instid0(SALU_CYCLE_1) | instskip(NEXT) | instid1(SALU_CYCLE_1)
	s_bfe_u32 s18, s16, 0x10010
	s_add_i32 s18, s16, s18
	v_cmp_o_f32_e64 s16, s16, s16
	s_addk_i32 s18, 0x7fff
	s_delay_alu instid0(SALU_CYCLE_1) | instskip(NEXT) | instid1(VALU_DEP_1)
	s_lshr_b32 s18, s18, 16
	s_and_b32 s16, s16, exec_lo
	s_cselect_b32 s16, s18, 0x7fc0
	s_mov_b32 s18, 0
	v_mov_b32_e32 v0, s16
	s_mov_b32 s16, -1
	global_store_b32 v[10:11], v0, off
.LBB127_2093:
	s_and_b32 vcc_lo, exec_lo, s17
	s_cbranch_vccz .LBB127_2106
; %bb.2094:
	v_cmp_eq_u16_e32 vcc_lo, 44, v13
	s_mov_b32 s18, -1
	s_cbranch_vccz .LBB127_2106
; %bb.2095:
	v_and_b32_e64 v0, 0xff, s25
	s_delay_alu instid0(VALU_DEP_1)
	v_cmp_gt_i16_e32 vcc_lo, 0x80, v0
	v_readfirstlane_b32 s17, v0
	s_cbranch_vccnz .LBB127_2098
; %bb.2096:
	s_delay_alu instid0(VALU_DEP_1) | instskip(NEXT) | instid1(VALU_DEP_1)
	v_cmp_eq_u16_e64 s16, 0x80, s17
	s_and_b32 vcc_lo, exec_lo, s16
	s_cbranch_vccz .LBB127_2099
; %bb.2097:
	s_mov_b32 s18, 0
	s_mov_b32 s16, 0x7f800001
	s_branch .LBB127_2100
.LBB127_2098:
	s_mov_b32 s19, -1
	s_mov_b32 s18, 0
                                        ; implicit-def: $sgpr16
	s_branch .LBB127_2101
.LBB127_2099:
                                        ; implicit-def: $sgpr16
.LBB127_2100:
	s_mov_b32 s19, 0
.LBB127_2101:
	s_delay_alu instid0(SALU_CYCLE_1)
	s_and_b32 vcc_lo, exec_lo, s19
	s_cbranch_vccz .LBB127_2111
; %bb.2102:
	v_cmp_ne_u16_e64 s18, s17, 0
	s_and_b32 s16, 0xffff, s17
	s_delay_alu instid0(VALU_DEP_1)
	s_and_not1_b32 vcc_lo, exec_lo, s18
	s_cbranch_vccz .LBB127_2112
.LBB127_2103:
	v_mov_b32_e32 v0, 0xff
	s_bfe_u32 s17, s16, 0x80017
	s_delay_alu instid0(SALU_CYCLE_1)
	s_cmpk_eq_i32 s17, 0xff
	s_cbranch_scc1 .LBB127_2105
.LBB127_2104:
	s_lshr_b32 s18, s16, 23
	s_bitcmp1_b32 s16, 22
	s_cselect_b32 s19, -1, 0
	s_and_b32 s16, s16, 0x3fffff
	s_delay_alu instid0(SALU_CYCLE_1) | instskip(NEXT) | instid1(SALU_CYCLE_1)
	s_or_b32 s16, s17, s16
	s_cmp_lg_u32 s16, 0
	s_cselect_b32 s16, -1, 0
	s_delay_alu instid0(SALU_CYCLE_1) | instskip(NEXT) | instid1(SALU_CYCLE_1)
	s_and_b32 s16, s19, s16
	v_cndmask_b32_e64 v0, 0, 1, s16
	s_delay_alu instid0(VALU_DEP_1)
	v_add_nc_u32_e32 v0, s18, v0
.LBB127_2105:
	s_mov_b32 s16, -1
	s_mov_b32 s18, 0
	global_store_b8 v[10:11], v0, off
.LBB127_2106:
	s_mov_b32 s17, 0
.LBB127_2107:
	s_delay_alu instid0(SALU_CYCLE_1)
	s_and_b32 vcc_lo, exec_lo, s17
	s_cbranch_vccz .LBB127_2119
; %bb.2108:
	v_cmp_eq_u16_e32 vcc_lo, 29, v13
	s_mov_b32 s18, -1
	s_cbranch_vccz .LBB127_2119
; %bb.2109:
	v_and_b32_e64 v0, 0xff, s25
	s_delay_alu instid0(VALU_DEP_1)
	v_cmp_gt_i16_e32 vcc_lo, 0x80, v0
	s_cbranch_vccnz .LBB127_2113
; %bb.2110:
	v_cmp_ne_u16_e64 s18, 0x80, v0
	s_mov_b32 s19, 0
	s_mov_b64 s[16:17], 0
	s_branch .LBB127_2114
.LBB127_2111:
	s_and_not1_b32 vcc_lo, exec_lo, s18
	s_cbranch_vccnz .LBB127_2103
.LBB127_2112:
	s_mov_b32 s16, s28
	v_mov_b32_e32 v0, 0xff
	s_bfe_u32 s17, s16, 0x80017
	s_delay_alu instid0(SALU_CYCLE_1)
	s_cmpk_eq_i32 s17, 0xff
	s_cbranch_scc0 .LBB127_2104
	s_branch .LBB127_2105
.LBB127_2113:
	s_mov_b32 s19, -1
	s_mov_b32 s18, 0
                                        ; implicit-def: $sgpr16_sgpr17
.LBB127_2114:
	s_and_not1_b32 vcc_lo, exec_lo, s19
	s_cbranch_vccnz .LBB127_2116
; %bb.2115:
	v_cmp_ne_u16_e64 s18, 0, v0
	s_mov_b64 s[16:17], 0
.LBB127_2116:
	s_delay_alu instid0(SALU_CYCLE_1) | instskip(NEXT) | instid1(VALU_DEP_2)
	v_dual_mov_b32 v0, s16 :: v_dual_mov_b32 v1, s17
	s_and_not1_b32 vcc_lo, exec_lo, s18
	s_cbranch_vccnz .LBB127_2118
; %bb.2117:
	v_dual_mov_b32 v0, v8 :: v_dual_mov_b32 v1, v9
.LBB127_2118:
	s_mov_b32 s16, -1
	s_mov_b32 s18, 0
	global_store_b64 v[10:11], v[0:1], off
.LBB127_2119:
	s_mov_b32 s17, 0
.LBB127_2120:
	s_delay_alu instid0(SALU_CYCLE_1)
	s_and_b32 vcc_lo, exec_lo, s17
	s_cbranch_vccz .LBB127_2162
; %bb.2121:
	v_cmp_gt_i16_e32 vcc_lo, 27, v13
	s_mov_b32 s16, -1
	s_cbranch_vccnz .LBB127_2141
; %bb.2122:
	v_cmp_lt_i16_e32 vcc_lo, 27, v13
	s_cbranch_vccz .LBB127_2131
; %bb.2123:
	v_and_b32_e64 v0, 0xff, s25
	s_delay_alu instid0(VALU_DEP_1)
	v_cmp_gt_i16_e32 vcc_lo, 0x80, v0
	s_cbranch_vccnz .LBB127_2125
; %bb.2124:
	v_cmp_ne_u16_e64 s16, 0x80, v0
	s_mov_b32 s19, 0
	s_mov_b32 s17, 0
	s_branch .LBB127_2126
.LBB127_2125:
	s_mov_b32 s19, -1
	s_mov_b32 s16, 0
                                        ; implicit-def: $sgpr17
.LBB127_2126:
	s_and_not1_b32 vcc_lo, exec_lo, s19
	s_cbranch_vccnz .LBB127_2128
; %bb.2127:
	v_cmp_ne_u16_e64 s16, 0, v0
	s_mov_b32 s17, 0
.LBB127_2128:
	s_delay_alu instid0(SALU_CYCLE_1) | instskip(NEXT) | instid1(VALU_DEP_2)
	v_mov_b32_e32 v0, s17
	s_and_not1_b32 vcc_lo, exec_lo, s16
	s_cbranch_vccnz .LBB127_2130
; %bb.2129:
	v_mov_b32_e32 v0, v17
.LBB127_2130:
	s_mov_b32 s16, 0
	global_store_b32 v[10:11], v0, off
.LBB127_2131:
	s_and_b32 vcc_lo, exec_lo, s16
	s_cbranch_vccz .LBB127_2140
; %bb.2132:
	v_and_b32_e64 v0, 0xff, s25
	s_delay_alu instid0(VALU_DEP_1)
	v_cmp_gt_i16_e32 vcc_lo, 0x80, v0
	s_cbranch_vccnz .LBB127_2134
; %bb.2133:
	v_cmp_ne_u16_e64 s16, 0x80, v0
	s_mov_b32 s19, 0
	s_mov_b32 s17, 0
	s_branch .LBB127_2135
.LBB127_2134:
	s_mov_b32 s19, -1
	s_mov_b32 s16, 0
                                        ; implicit-def: $sgpr17
.LBB127_2135:
	s_and_not1_b32 vcc_lo, exec_lo, s19
	s_cbranch_vccnz .LBB127_2137
; %bb.2136:
	v_cmp_ne_u16_e64 s16, 0, v0
	s_mov_b32 s17, 0
.LBB127_2137:
	s_delay_alu instid0(SALU_CYCLE_1) | instskip(NEXT) | instid1(VALU_DEP_2)
	v_mov_b32_e32 v0, s17
	s_and_not1_b32 vcc_lo, exec_lo, s16
	s_cbranch_vccnz .LBB127_2139
; %bb.2138:
	v_mov_b32_e32 v0, v17
.LBB127_2139:
	global_store_b16 v[10:11], v0, off
.LBB127_2140:
	s_mov_b32 s16, 0
.LBB127_2141:
	s_delay_alu instid0(SALU_CYCLE_1)
	s_and_not1_b32 vcc_lo, exec_lo, s16
	s_cbranch_vccnz .LBB127_2161
; %bb.2142:
	v_and_b32_e64 v0, 0xff, s25
	s_delay_alu instid0(VALU_DEP_1)
	v_cmp_gt_i16_e32 vcc_lo, 0x80, v0
	s_cbranch_vccnz .LBB127_2145
; %bb.2143:
	v_cmp_eq_u16_e32 vcc_lo, 0x80, v0
	s_cbranch_vccz .LBB127_2146
; %bb.2144:
	s_mov_b32 s17, 0
	s_mov_b32 s16, 0x7f800001
	s_branch .LBB127_2147
.LBB127_2145:
	s_mov_b32 s19, -1
	s_mov_b32 s17, 0
                                        ; implicit-def: $sgpr16
	s_branch .LBB127_2148
.LBB127_2146:
	s_mov_b32 s17, -1
                                        ; implicit-def: $sgpr16
.LBB127_2147:
	s_mov_b32 s19, 0
.LBB127_2148:
	s_delay_alu instid0(SALU_CYCLE_1)
	s_and_b32 vcc_lo, exec_lo, s19
	s_cbranch_vccz .LBB127_2151
; %bb.2149:
	v_cmp_ne_u16_e64 s17, 0, v0
	s_mov_b32 s16, 0
	s_delay_alu instid0(VALU_DEP_1)
	s_and_not1_b32 vcc_lo, exec_lo, s17
	s_cbranch_vccz .LBB127_2152
.LBB127_2150:
	v_mov_b32_e32 v1, 0x80
	s_and_b32 s17, s16, 0x7fffffff
	s_delay_alu instid0(SALU_CYCLE_1)
	s_cmp_gt_u32 s17, 0x437fffff
	s_cbranch_scc0 .LBB127_2153
	s_branch .LBB127_2160
.LBB127_2151:
	s_and_not1_b32 vcc_lo, exec_lo, s17
	s_cbranch_vccnz .LBB127_2150
.LBB127_2152:
	s_mov_b32 s16, s26
	v_mov_b32_e32 v1, 0x80
	s_and_b32 s17, s16, 0x7fffffff
	s_delay_alu instid0(SALU_CYCLE_1)
	s_cmp_gt_u32 s17, 0x437fffff
	s_cbranch_scc1 .LBB127_2160
.LBB127_2153:
	s_cmp_lt_u32 s17, 0x3c000000
	s_cbranch_scc1 .LBB127_2155
; %bb.2154:
	s_bfe_u32 s17, s16, 0x10014
	s_mov_b32 s19, 0
	s_add_i32 s17, s16, s17
	s_delay_alu instid0(SALU_CYCLE_1) | instskip(NEXT) | instid1(SALU_CYCLE_1)
	s_add_i32 s17, s17, 0x487ffff
	s_lshr_b32 s39, s17, 20
	s_mov_b32 s17, -1
	s_branch .LBB127_2156
.LBB127_2155:
	s_mov_b32 s19, -1
	s_mov_b32 s17, 0
                                        ; implicit-def: $sgpr39
.LBB127_2156:
	v_mov_b32_e32 v0, s39
	s_and_not1_b32 vcc_lo, exec_lo, s19
                                        ; implicit-def: $sgpr19
	s_cbranch_vccnz .LBB127_2158
; %bb.2157:
	v_add_f32_e64 v0, 0x46000000, |s16|
	s_mov_b32 s19, 0
	s_delay_alu instid0(VALU_DEP_1) | instskip(NEXT) | instid1(VALU_DEP_1)
	v_and_b32_e32 v0, 0xff, v0
	v_cmp_ne_u32_e64 s17, 0, v0
.LBB127_2158:
	v_mov_b32_e32 v1, s19
	s_delay_alu instid0(VALU_DEP_2)
	s_and_not1_b32 vcc_lo, exec_lo, s17
	s_cbranch_vccnz .LBB127_2160
; %bb.2159:
	s_lshr_b32 s16, s16, 24
	s_delay_alu instid0(SALU_CYCLE_1) | instskip(NEXT) | instid1(SALU_CYCLE_1)
	s_and_b32 s16, s16, 0x80
	v_or_b32_e32 v1, s16, v0
.LBB127_2160:
	global_store_b8 v[10:11], v1, off
.LBB127_2161:
	s_mov_b32 s16, -1
.LBB127_2162:
	s_mov_b32 s17, 0
.LBB127_2163:
	s_delay_alu instid0(SALU_CYCLE_1)
	s_and_b32 vcc_lo, exec_lo, s17
	s_cbranch_vccz .LBB127_2242
; %bb.2164:
	v_cmp_lt_i16_e32 vcc_lo, 22, v13
	s_mov_b32 s17, -1
	s_cbranch_vccz .LBB127_2214
; %bb.2165:
	v_cmp_gt_i16_e32 vcc_lo, 24, v13
	s_mov_b32 s16, -1
	s_cbranch_vccnz .LBB127_2191
; %bb.2166:
	v_cmp_lt_i16_e32 vcc_lo, 24, v13
	s_cbranch_vccz .LBB127_2168
; %bb.2167:
	v_mov_b32_e32 v0, s25
	s_mov_b32 s16, 0
	global_store_b8 v[10:11], v0, off
.LBB127_2168:
	s_and_not1_b32 vcc_lo, exec_lo, s16
	s_cbranch_vccnz .LBB127_2190
; %bb.2169:
	v_and_b32_e64 v0, 0xff, s25
	s_delay_alu instid0(VALU_DEP_1)
	v_cmp_gt_i16_e32 vcc_lo, 0x80, v0
	s_cbranch_vccnz .LBB127_2172
; %bb.2170:
	v_cmp_eq_u16_e32 vcc_lo, 0x80, v0
	s_cbranch_vccz .LBB127_2173
; %bb.2171:
	s_mov_b32 s17, 0
	s_mov_b32 s16, 0x7f800001
	s_branch .LBB127_2174
.LBB127_2172:
	s_mov_b32 s19, -1
	s_mov_b32 s17, 0
                                        ; implicit-def: $sgpr16
	s_branch .LBB127_2175
.LBB127_2173:
                                        ; implicit-def: $sgpr16
.LBB127_2174:
	s_mov_b32 s19, 0
.LBB127_2175:
	s_delay_alu instid0(SALU_CYCLE_1)
	s_and_b32 vcc_lo, exec_lo, s19
	s_cbranch_vccz .LBB127_2180
; %bb.2176:
	v_cmp_ne_u16_e64 s17, 0, v0
	s_mov_b32 s16, 0
	s_delay_alu instid0(VALU_DEP_1)
	s_and_not1_b32 vcc_lo, exec_lo, s17
	s_cbranch_vccz .LBB127_2181
.LBB127_2177:
	s_and_b32 s17, s16, 0x7fffffff
	s_delay_alu instid0(SALU_CYCLE_1)
	s_cmp_gt_u32 s17, 0x43efffff
	s_cbranch_scc1 .LBB127_2182
.LBB127_2178:
	s_cmp_lt_u32 s17, 0x3c800000
	s_cbranch_scc1 .LBB127_2183
; %bb.2179:
	s_bfe_u32 s19, s16, 0x10014
	s_delay_alu instid0(SALU_CYCLE_1) | instskip(NEXT) | instid1(SALU_CYCLE_1)
	s_add_i32 s19, s16, s19
	s_add_i32 s19, s19, 0x407ffff
	s_delay_alu instid0(SALU_CYCLE_1)
	s_and_b32 s39, s19, 0xff00000
	s_lshr_b32 s19, s19, 20
	s_cmp_lg_u32 s39, 0x7f00000
	s_cselect_b32 s39, s19, 0x7e
	s_mov_b32 s19, 0
	s_branch .LBB127_2184
.LBB127_2180:
	s_and_not1_b32 vcc_lo, exec_lo, s17
	s_cbranch_vccnz .LBB127_2177
.LBB127_2181:
	s_mov_b32 s16, s26
	s_delay_alu instid0(SALU_CYCLE_1) | instskip(NEXT) | instid1(SALU_CYCLE_1)
	s_and_b32 s17, s16, 0x7fffffff
	s_cmp_gt_u32 s17, 0x43efffff
	s_cbranch_scc0 .LBB127_2178
.LBB127_2182:
	s_mov_b32 s19, -1
                                        ; implicit-def: $vgpr0
	s_branch .LBB127_2187
.LBB127_2183:
	s_mov_b32 s19, -1
                                        ; implicit-def: $sgpr39
.LBB127_2184:
	v_mov_b32_e32 v0, s39
	s_and_not1_b32 vcc_lo, exec_lo, s19
	s_cbranch_vccnz .LBB127_2186
; %bb.2185:
	v_add_f32_e64 v0, 0x46800000, |s16|
.LBB127_2186:
	s_mov_b32 s19, 0
.LBB127_2187:
	s_delay_alu instid0(SALU_CYCLE_1)
	s_and_not1_b32 vcc_lo, exec_lo, s19
	s_cbranch_vccnz .LBB127_2189
; %bb.2188:
	s_cmp_gt_u32 s17, 0x7f800000
	s_movk_i32 s17, 0x7f
	s_delay_alu instid0(SALU_CYCLE_1) | instskip(NEXT) | instid1(SALU_CYCLE_1)
	s_cselect_b32 s17, s17, 0x7e
	v_mov_b32_e32 v0, s17
.LBB127_2189:
	s_lshr_b32 s16, s16, 24
	s_delay_alu instid0(SALU_CYCLE_1)
	s_and_b32 s16, s16, 0x80
	s_delay_alu instid0(VALU_DEP_1) | instid1(SALU_CYCLE_1)
	v_or_b32_e32 v0, s16, v0
	global_store_b8 v[10:11], v0, off
.LBB127_2190:
	s_mov_b32 s16, 0
.LBB127_2191:
	s_delay_alu instid0(SALU_CYCLE_1)
	s_and_not1_b32 vcc_lo, exec_lo, s16
	s_cbranch_vccnz .LBB127_2213
; %bb.2192:
	v_and_b32_e64 v0, 0xff, s25
	s_delay_alu instid0(VALU_DEP_1)
	v_cmp_gt_i16_e32 vcc_lo, 0x80, v0
	s_cbranch_vccnz .LBB127_2195
; %bb.2193:
	v_cmp_eq_u16_e32 vcc_lo, 0x80, v0
	s_cbranch_vccz .LBB127_2196
; %bb.2194:
	s_mov_b32 s17, 0
	s_mov_b32 s16, 0x7f800001
	s_branch .LBB127_2197
.LBB127_2195:
	s_mov_b32 s19, -1
	s_mov_b32 s17, 0
                                        ; implicit-def: $sgpr16
	s_branch .LBB127_2198
.LBB127_2196:
	s_mov_b32 s17, -1
                                        ; implicit-def: $sgpr16
.LBB127_2197:
	s_mov_b32 s19, 0
.LBB127_2198:
	s_delay_alu instid0(SALU_CYCLE_1)
	s_and_b32 vcc_lo, exec_lo, s19
	s_cbranch_vccz .LBB127_2203
; %bb.2199:
	v_cmp_ne_u16_e64 s17, 0, v0
	s_mov_b32 s16, 0
	s_delay_alu instid0(VALU_DEP_1)
	s_and_not1_b32 vcc_lo, exec_lo, s17
	s_cbranch_vccz .LBB127_2204
.LBB127_2200:
	s_and_b32 s17, s16, 0x7fffffff
	s_delay_alu instid0(SALU_CYCLE_1)
	s_cmp_gt_u32 s17, 0x477fffff
	s_cbranch_scc1 .LBB127_2205
.LBB127_2201:
	s_cmp_lt_u32 s17, 0x38800000
	s_cbranch_scc1 .LBB127_2206
; %bb.2202:
	s_bfe_u32 s19, s16, 0x10015
	s_delay_alu instid0(SALU_CYCLE_1) | instskip(NEXT) | instid1(SALU_CYCLE_1)
	s_add_i32 s19, s16, s19
	s_add_i32 s19, s19, 0x80fffff
	s_delay_alu instid0(SALU_CYCLE_1)
	s_lshr_b32 s39, s19, 21
	s_mov_b32 s19, 0
	s_branch .LBB127_2207
.LBB127_2203:
	s_and_not1_b32 vcc_lo, exec_lo, s17
	s_cbranch_vccnz .LBB127_2200
.LBB127_2204:
	s_mov_b32 s16, s26
	s_delay_alu instid0(SALU_CYCLE_1) | instskip(NEXT) | instid1(SALU_CYCLE_1)
	s_and_b32 s17, s16, 0x7fffffff
	s_cmp_gt_u32 s17, 0x477fffff
	s_cbranch_scc0 .LBB127_2201
.LBB127_2205:
	s_mov_b32 s19, -1
                                        ; implicit-def: $vgpr0
	s_branch .LBB127_2210
.LBB127_2206:
	s_mov_b32 s19, -1
                                        ; implicit-def: $sgpr39
.LBB127_2207:
	v_mov_b32_e32 v0, s39
	s_and_not1_b32 vcc_lo, exec_lo, s19
	s_cbranch_vccnz .LBB127_2209
; %bb.2208:
	v_add_f32_e64 v0, 0x43000000, |s16|
.LBB127_2209:
	s_mov_b32 s19, 0
.LBB127_2210:
	s_delay_alu instid0(SALU_CYCLE_1)
	s_and_not1_b32 vcc_lo, exec_lo, s19
	s_cbranch_vccnz .LBB127_2212
; %bb.2211:
	s_cmp_gt_u32 s17, 0x7f800000
	s_movk_i32 s17, 0x7f
	s_delay_alu instid0(SALU_CYCLE_1) | instskip(NEXT) | instid1(SALU_CYCLE_1)
	s_cselect_b32 s17, s17, 0x7c
	v_mov_b32_e32 v0, s17
.LBB127_2212:
	s_lshr_b32 s16, s16, 24
	s_delay_alu instid0(SALU_CYCLE_1)
	s_and_b32 s16, s16, 0x80
	s_delay_alu instid0(VALU_DEP_1) | instid1(SALU_CYCLE_1)
	v_or_b32_e32 v0, s16, v0
	global_store_b8 v[10:11], v0, off
.LBB127_2213:
	s_mov_b32 s17, 0
	s_mov_b32 s16, -1
.LBB127_2214:
	s_and_not1_b32 vcc_lo, exec_lo, s17
	s_cbranch_vccnz .LBB127_2242
; %bb.2215:
	v_cmp_lt_i16_e32 vcc_lo, 14, v13
	s_mov_b32 s17, -1
	s_cbranch_vccz .LBB127_2229
; %bb.2216:
	v_cmp_eq_u16_e32 vcc_lo, 15, v13
	s_mov_b32 s18, -1
	s_cbranch_vccz .LBB127_2228
; %bb.2217:
	v_and_b32_e64 v0, 0xff, s25
	s_delay_alu instid0(VALU_DEP_1)
	v_cmp_gt_i16_e32 vcc_lo, 0x80, v0
	s_cbranch_vccnz .LBB127_2220
; %bb.2218:
	v_cmp_eq_u16_e32 vcc_lo, 0x80, v0
	s_cbranch_vccz .LBB127_2221
; %bb.2219:
	s_mov_b32 s17, 0
	s_mov_b32 s16, 0x7f800001
	s_branch .LBB127_2222
.LBB127_2220:
	s_mov_b32 s17, 0
                                        ; implicit-def: $sgpr16
	s_branch .LBB127_2223
.LBB127_2221:
                                        ; implicit-def: $sgpr16
.LBB127_2222:
	s_mov_b32 s18, 0
.LBB127_2223:
	s_delay_alu instid0(SALU_CYCLE_1)
	s_and_b32 vcc_lo, exec_lo, s18
	s_cbranch_vccz .LBB127_2225
; %bb.2224:
	v_cmp_ne_u16_e64 s17, 0, v0
	s_mov_b32 s16, 0
.LBB127_2225:
	s_delay_alu instid0(VALU_DEP_1)
	s_and_not1_b32 vcc_lo, exec_lo, s17
	s_cbranch_vccnz .LBB127_2227
; %bb.2226:
	s_mov_b32 s16, s26
.LBB127_2227:
	s_delay_alu instid0(SALU_CYCLE_1) | instskip(SKIP_4) | instid1(SALU_CYCLE_1)
	s_bfe_u32 s17, s16, 0x10010
	s_mov_b32 s18, 0
	s_add_i32 s17, s16, s17
	v_cmp_o_f32_e64 s16, s16, s16
	s_addk_i32 s17, 0x7fff
	s_lshr_b32 s17, s17, 16
	s_delay_alu instid0(VALU_DEP_1) | instskip(SKIP_1) | instid1(SALU_CYCLE_1)
	s_and_b32 s16, s16, exec_lo
	s_cselect_b32 s16, s17, 0x7fc0
	v_mov_b32_e32 v0, s16
	s_mov_b32 s16, -1
	global_store_b16 v[10:11], v0, off
.LBB127_2228:
	s_mov_b32 s17, 0
.LBB127_2229:
	s_delay_alu instid0(SALU_CYCLE_1)
	s_and_b32 vcc_lo, exec_lo, s17
	s_cbranch_vccz .LBB127_2242
; %bb.2230:
	v_cmp_eq_u16_e32 vcc_lo, 11, v13
	s_mov_b32 s18, -1
	s_cbranch_vccz .LBB127_2242
; %bb.2231:
	v_and_b32_e64 v0, 0xff, s25
	s_delay_alu instid0(VALU_DEP_1)
	v_cmp_gt_i16_e32 vcc_lo, 0x80, v0
	s_cbranch_vccnz .LBB127_2234
; %bb.2232:
	v_cmp_eq_u16_e32 vcc_lo, 0x80, v0
	s_cbranch_vccz .LBB127_2235
; %bb.2233:
	s_mov_b32 s17, 0
	s_mov_b32 s16, -1
	s_branch .LBB127_2236
.LBB127_2234:
	s_mov_b32 s17, 0
                                        ; implicit-def: $sgpr16
	s_branch .LBB127_2237
.LBB127_2235:
	s_mov_b32 s17, -1
                                        ; implicit-def: $sgpr16
.LBB127_2236:
	s_mov_b32 s18, 0
.LBB127_2237:
	s_delay_alu instid0(SALU_CYCLE_1)
	s_and_b32 vcc_lo, exec_lo, s18
	s_cbranch_vccz .LBB127_2239
; %bb.2238:
	v_cmp_ne_u16_e64 s17, 0, v0
	s_mov_b32 s16, 0
.LBB127_2239:
	s_delay_alu instid0(VALU_DEP_1)
	s_and_not1_b32 vcc_lo, exec_lo, s17
	s_cbranch_vccnz .LBB127_2241
; %bb.2240:
	s_mov_b32 s16, s27
.LBB127_2241:
	s_delay_alu instid0(SALU_CYCLE_1)
	v_cndmask_b32_e64 v0, 0, 1, s16
	s_mov_b32 s16, -1
	s_mov_b32 s18, 0
	global_store_b8 v[10:11], v0, off
.LBB127_2242:
.LBB127_2243:
	s_and_not1_b32 vcc_lo, exec_lo, s16
	s_cbranch_vccnz .LBB127_1630
.LBB127_2244:
	v_add_nc_u32_e32 v16, 0x80, v16
	s_mov_b32 s16, -1
.LBB127_2245:
	s_and_not1_b32 s17, s36, exec_lo
	s_and_b32 s18, s18, exec_lo
	s_or_not1_b32 s39, s16, exec_lo
	s_or_b32 s18, s17, s18
.LBB127_2246:
	s_or_b32 exec_lo, exec_lo, s38
	s_mov_b32 s16, 0
	s_mov_b32 s17, 0
                                        ; implicit-def: $vgpr10_vgpr11
	s_and_saveexec_b32 s19, s39
	s_cbranch_execz .LBB127_2570
; %bb.2247:
	v_cmp_gt_i32_e32 vcc_lo, s30, v16
	s_mov_b32 s38, s18
                                        ; implicit-def: $vgpr10_vgpr11
	s_and_saveexec_b32 s30, vcc_lo
	s_cbranch_execz .LBB127_2569
; %bb.2248:
	s_and_not1_b32 vcc_lo, exec_lo, s23
	s_cbranch_vccnz .LBB127_2253
; %bb.2249:
	v_mov_b32_e32 v0, 0
	s_and_not1_b32 vcc_lo, exec_lo, s33
	s_cbranch_vccnz .LBB127_2258
; %bb.2250:
	s_add_i32 s33, s31, 1
	s_cmp_eq_u32 s21, 2
	s_mov_b32 s31, 0
	s_cbranch_scc1 .LBB127_2254
; %bb.2251:
	v_dual_mov_b32 v0, 0 :: v_dual_mov_b32 v1, v16
	s_and_b32 s31, s33, 28
	s_mov_b32 s38, 0
	s_mov_b64 s[16:17], s[2:3]
.LBB127_2252:                           ; =>This Inner Loop Header: Depth=1
	s_clause 0x1
	s_load_b256 s[40:47], s[16:17], 0x4
	s_load_b128 s[48:51], s[16:17], 0x24
	s_load_b128 s[52:55], s[14:15], 0x0
	s_add_u32 s16, s16, 48
	s_addc_u32 s17, s17, 0
	s_add_i32 s38, s38, 4
	s_add_u32 s14, s14, 16
	s_addc_u32 s15, s15, 0
	s_cmp_eq_u32 s31, s38
	s_waitcnt lgkmcnt(0)
	v_mul_hi_u32 v2, s41, v1
	s_delay_alu instid0(VALU_DEP_1) | instskip(NEXT) | instid1(VALU_DEP_1)
	v_add_nc_u32_e32 v2, v1, v2
	v_lshrrev_b32_e32 v2, s42, v2
	s_delay_alu instid0(VALU_DEP_1) | instskip(SKIP_1) | instid1(VALU_DEP_2)
	v_mul_hi_u32 v3, s44, v2
	v_mul_lo_u32 v18, v2, s40
	v_add_nc_u32_e32 v3, v2, v3
	s_delay_alu instid0(VALU_DEP_2) | instskip(NEXT) | instid1(VALU_DEP_2)
	v_sub_nc_u32_e32 v18, v1, v18
	v_lshrrev_b32_e32 v3, s45, v3
	s_delay_alu instid0(VALU_DEP_2) | instskip(NEXT) | instid1(VALU_DEP_2)
	v_mul_lo_u32 v18, v18, s52
	v_mul_hi_u32 v10, s47, v3
	v_mul_lo_u32 v19, v3, s43
	s_delay_alu instid0(VALU_DEP_2) | instskip(NEXT) | instid1(VALU_DEP_2)
	v_add_nc_u32_e32 v10, v3, v10
	v_sub_nc_u32_e32 v2, v2, v19
	s_delay_alu instid0(VALU_DEP_2) | instskip(NEXT) | instid1(VALU_DEP_2)
	v_lshrrev_b32_e32 v10, s48, v10
	v_mul_lo_u32 v2, v2, s53
	s_delay_alu instid0(VALU_DEP_2) | instskip(NEXT) | instid1(VALU_DEP_2)
	v_mul_hi_u32 v11, s50, v10
	v_add3_u32 v0, v18, v0, v2
	s_delay_alu instid0(VALU_DEP_2) | instskip(NEXT) | instid1(VALU_DEP_1)
	v_add_nc_u32_e32 v11, v10, v11
	v_lshrrev_b32_e32 v1, s51, v11
	v_mul_lo_u32 v11, v10, s46
	s_delay_alu instid0(VALU_DEP_2) | instskip(NEXT) | instid1(VALU_DEP_2)
	v_mul_lo_u32 v20, v1, s49
	v_sub_nc_u32_e32 v3, v3, v11
	s_delay_alu instid0(VALU_DEP_2) | instskip(NEXT) | instid1(VALU_DEP_2)
	v_sub_nc_u32_e32 v10, v10, v20
	v_mul_lo_u32 v3, v3, s54
	s_delay_alu instid0(VALU_DEP_2) | instskip(NEXT) | instid1(VALU_DEP_1)
	v_mul_lo_u32 v10, v10, s55
	v_add3_u32 v0, v3, v0, v10
	s_cbranch_scc0 .LBB127_2252
	s_branch .LBB127_2255
.LBB127_2253:
	s_mov_b32 s14, -1
                                        ; implicit-def: $vgpr0
	s_branch .LBB127_2259
.LBB127_2254:
	v_mov_b32_e32 v1, v16
.LBB127_2255:
	s_and_b32 s33, s33, 3
	s_delay_alu instid0(SALU_CYCLE_1)
	s_cmp_eq_u32 s33, 0
	s_cbranch_scc1 .LBB127_2258
; %bb.2256:
	s_lshl_b32 s14, s31, 2
	s_mul_i32 s16, s31, 12
	s_add_u32 s14, s14, s2
	s_addc_u32 s15, s3, 0
	s_add_u32 s14, s14, 0xc4
	s_addc_u32 s15, s15, 0
	;; [unrolled: 2-line block ×3, first 2 shown]
.LBB127_2257:                           ; =>This Inner Loop Header: Depth=1
	s_clause 0x1
	s_load_b64 s[38:39], s[16:17], 0x4
	s_load_b32 s31, s[16:17], 0xc
	s_add_u32 s16, s16, 12
	s_addc_u32 s17, s17, 0
	s_waitcnt lgkmcnt(0)
	v_mul_hi_u32 v2, s39, v1
	s_load_b32 s39, s[14:15], 0x0
	s_add_u32 s14, s14, 4
	s_addc_u32 s15, s15, 0
	s_add_i32 s33, s33, -1
	s_delay_alu instid0(SALU_CYCLE_1) | instskip(NEXT) | instid1(VALU_DEP_1)
	s_cmp_lg_u32 s33, 0
	v_add_nc_u32_e32 v2, v1, v2
	s_delay_alu instid0(VALU_DEP_1) | instskip(NEXT) | instid1(VALU_DEP_1)
	v_lshrrev_b32_e32 v10, s31, v2
	v_mul_lo_u32 v2, v10, s38
	s_delay_alu instid0(VALU_DEP_1) | instskip(SKIP_1) | instid1(VALU_DEP_1)
	v_sub_nc_u32_e32 v1, v1, v2
	s_waitcnt lgkmcnt(0)
	v_mad_u64_u32 v[2:3], null, v1, s39, v[0:1]
	v_mov_b32_e32 v1, v10
	s_delay_alu instid0(VALU_DEP_2)
	v_mov_b32_e32 v0, v2
	s_cbranch_scc1 .LBB127_2257
.LBB127_2258:
	s_mov_b32 s14, 0
.LBB127_2259:
	s_delay_alu instid0(SALU_CYCLE_1)
	s_and_not1_b32 vcc_lo, exec_lo, s14
	s_cbranch_vccnz .LBB127_2262
; %bb.2260:
	s_waitcnt lgkmcnt(0)
	v_mul_hi_u32 v0, s5, v16
	s_and_not1_b32 vcc_lo, exec_lo, s29
	s_delay_alu instid0(VALU_DEP_1) | instskip(NEXT) | instid1(VALU_DEP_1)
	v_add_nc_u32_e32 v0, v16, v0
	v_lshrrev_b32_e32 v1, s6, v0
	s_delay_alu instid0(VALU_DEP_1) | instskip(NEXT) | instid1(VALU_DEP_1)
	v_mul_lo_u32 v0, v1, s4
	v_sub_nc_u32_e32 v0, v16, v0
	s_delay_alu instid0(VALU_DEP_1)
	v_mul_lo_u32 v0, v0, s10
	s_cbranch_vccnz .LBB127_2262
; %bb.2261:
	v_mul_hi_u32 v2, s12, v1
	s_delay_alu instid0(VALU_DEP_1) | instskip(NEXT) | instid1(VALU_DEP_1)
	v_add_nc_u32_e32 v2, v1, v2
	v_lshrrev_b32_e32 v2, s13, v2
	s_delay_alu instid0(VALU_DEP_1) | instskip(NEXT) | instid1(VALU_DEP_1)
	v_mul_lo_u32 v2, v2, s7
	v_sub_nc_u32_e32 v3, v1, v2
	s_delay_alu instid0(VALU_DEP_1) | instskip(NEXT) | instid1(VALU_DEP_1)
	v_mad_u64_u32 v[1:2], null, v3, s11, v[0:1]
	v_mov_b32_e32 v0, v1
.LBB127_2262:
	v_cmp_gt_i16_e32 vcc_lo, 11, v13
	s_waitcnt lgkmcnt(0)
	s_delay_alu instid0(VALU_DEP_2) | instskip(NEXT) | instid1(VALU_DEP_1)
	v_add_co_u32 v10, s4, s8, v0
	v_add_co_ci_u32_e64 v11, null, s9, 0, s4
	s_mov_b32 s6, 0
	s_mov_b32 s5, -1
	s_mov_b32 s4, s18
	s_cbranch_vccnz .LBB127_2568
; %bb.2263:
	v_cmp_lt_i16_e32 vcc_lo, 25, v13
	s_mov_b32 s4, s18
	s_cbranch_vccz .LBB127_2499
; %bb.2264:
	v_cmp_lt_i16_e32 vcc_lo, 28, v13
	s_mov_b32 s4, s18
	s_cbranch_vccz .LBB127_2457
	;; [unrolled: 4-line block ×4, first 2 shown]
; %bb.2267:
	v_cmp_eq_u16_e32 vcc_lo, 46, v13
	s_mov_b32 s4, -1
	s_cbranch_vccz .LBB127_2278
; %bb.2268:
	v_and_b32_e64 v0, 0xff, s25
	s_delay_alu instid0(VALU_DEP_1)
	v_cmp_gt_i16_e32 vcc_lo, 0x80, v0
	s_cbranch_vccnz .LBB127_2271
; %bb.2269:
	v_cmp_eq_u16_e32 vcc_lo, 0x80, v0
	s_cbranch_vccz .LBB127_2272
; %bb.2270:
	s_mov_b32 s5, 0
	s_mov_b32 s4, 0x7f800001
	s_branch .LBB127_2273
.LBB127_2271:
	s_mov_b32 s6, -1
	s_mov_b32 s5, 0
.LBB127_2272:
                                        ; implicit-def: $sgpr4
.LBB127_2273:
	s_and_b32 vcc_lo, exec_lo, s6
	s_cbranch_vccz .LBB127_2275
; %bb.2274:
	v_cmp_ne_u16_e64 s5, 0, v0
	s_mov_b32 s4, 0
.LBB127_2275:
	s_delay_alu instid0(VALU_DEP_1)
	s_and_not1_b32 vcc_lo, exec_lo, s5
	s_cbranch_vccnz .LBB127_2277
; %bb.2276:
	s_mov_b32 s4, s26
.LBB127_2277:
	s_delay_alu instid0(SALU_CYCLE_1) | instskip(NEXT) | instid1(SALU_CYCLE_1)
	s_bfe_u32 s5, s4, 0x10010
	s_add_i32 s5, s4, s5
	v_cmp_o_f32_e64 s4, s4, s4
	s_addk_i32 s5, 0x7fff
	s_delay_alu instid0(SALU_CYCLE_1) | instskip(NEXT) | instid1(VALU_DEP_1)
	s_lshr_b32 s5, s5, 16
	s_and_b32 s4, s4, exec_lo
	s_cselect_b32 s4, s5, 0x7fc0
	s_delay_alu instid0(SALU_CYCLE_1)
	v_mov_b32_e32 v0, s4
	s_mov_b32 s4, 0
	global_store_b32 v[10:11], v0, off
.LBB127_2278:
	s_mov_b32 s5, 0
.LBB127_2279:
	s_delay_alu instid0(SALU_CYCLE_1)
	s_and_b32 vcc_lo, exec_lo, s5
	s_cbranch_vccz .LBB127_2443
; %bb.2280:
	v_cmp_eq_u16_e32 vcc_lo, 44, v13
	s_mov_b32 s4, -1
	s_cbranch_vccz .LBB127_2443
; %bb.2281:
	v_and_b32_e64 v0, 0xff, s25
	s_delay_alu instid0(VALU_DEP_1)
	v_cmp_gt_i16_e32 vcc_lo, 0x80, v0
	v_readfirstlane_b32 s5, v0
	s_cbranch_vccnz .LBB127_2284
; %bb.2282:
	s_delay_alu instid0(VALU_DEP_1) | instskip(NEXT) | instid1(VALU_DEP_1)
	v_cmp_eq_u16_e64 s4, 0x80, s5
	s_and_b32 vcc_lo, exec_lo, s4
	s_cbranch_vccz .LBB127_2436
; %bb.2283:
	s_mov_b32 s6, 0
	s_mov_b32 s4, 0x7f800001
	s_branch .LBB127_2437
.LBB127_2284:
	s_mov_b32 s7, -1
	s_mov_b32 s6, 0
                                        ; implicit-def: $sgpr4
	s_branch .LBB127_2438
.LBB127_2285:
                                        ; implicit-def: $sgpr0
.LBB127_2286:
	s_mov_b32 s2, 0
.LBB127_2287:
	s_delay_alu instid0(SALU_CYCLE_1)
	s_and_b32 vcc_lo, exec_lo, s2
	s_cbranch_vccz .LBB127_2289
; %bb.2288:
	v_cmp_ne_u16_e64 s1, 0, v0
	s_mov_b32 s0, 0
.LBB127_2289:
	s_delay_alu instid0(VALU_DEP_1)
	s_and_not1_b32 vcc_lo, exec_lo, s1
	s_cbranch_vccnz .LBB127_2291
; %bb.2290:
	v_lshrrev_b16 v0, 2, s6
	s_and_b32 s0, s6, 3
	s_lshl_b32 s5, s6, 24
	s_clz_i32_u32 s1, s0
	s_delay_alu instid0(SALU_CYCLE_1) | instskip(SKIP_4) | instid1(VALU_DEP_1)
	s_min_u32 s1, s1, 32
	v_readfirstlane_b32 s2, v0
	s_sub_i32 s3, s1, 29
	s_sub_i32 s1, 30, s1
	s_lshl_b32 s3, s6, s3
	s_and_b32 s2, s2, 31
	s_and_b32 s3, s3, 3
	s_cmp_eq_u32 s2, 0
	s_cselect_b32 s1, s1, s2
	s_cselect_b32 s0, s3, s0
	s_lshl_b32 s1, s1, 23
	s_and_b32 s2, s5, 0x80000000
	s_add_i32 s1, s1, 0x37800000
	s_lshl_b32 s0, s0, 21
	s_or_b32 s1, s2, s1
	s_delay_alu instid0(SALU_CYCLE_1)
	s_or_b32 s0, s1, s0
.LBB127_2291:
	s_delay_alu instid0(SALU_CYCLE_1) | instskip(NEXT) | instid1(SALU_CYCLE_1)
	s_bfe_u32 s1, s0, 0x10010
	s_add_i32 s1, s0, s1
	v_cmp_o_f32_e64 s0, s0, s0
	s_addk_i32 s1, 0x7fff
	s_delay_alu instid0(SALU_CYCLE_1) | instskip(NEXT) | instid1(VALU_DEP_1)
	s_lshr_b32 s1, s1, 16
	s_and_b32 s0, s0, exec_lo
	s_cselect_b32 s0, s1, 0x7fc0
	s_delay_alu instid0(SALU_CYCLE_1)
	v_mov_b32_e32 v0, s0
	s_mov_b32 s0, 0
	global_store_b32 v[4:5], v0, off
.LBB127_2292:
	s_mov_b32 s1, 0
.LBB127_2293:
	s_delay_alu instid0(SALU_CYCLE_1)
	s_and_b32 vcc_lo, exec_lo, s1
	s_cbranch_vccz .LBB127_2306
; %bb.2294:
	v_cmp_eq_u16_e32 vcc_lo, 44, v6
	s_mov_b32 s0, -1
	s_cbranch_vccz .LBB127_2306
; %bb.2295:
	v_and_b32_e64 v0, 0xff, s6
	s_delay_alu instid0(VALU_DEP_1)
	v_cmp_gt_i16_e32 vcc_lo, 0x80, v0
	v_readfirstlane_b32 s1, v0
	s_cbranch_vccnz .LBB127_2298
; %bb.2296:
	s_delay_alu instid0(VALU_DEP_1) | instskip(NEXT) | instid1(VALU_DEP_1)
	v_cmp_eq_u16_e64 s0, 0x80, s1
	s_and_b32 vcc_lo, exec_lo, s0
	s_cbranch_vccz .LBB127_2299
; %bb.2297:
	s_mov_b32 s2, 0
	s_mov_b32 s0, 0x7f800001
	s_branch .LBB127_2300
.LBB127_2298:
	s_mov_b32 s3, -1
	s_mov_b32 s2, 0
                                        ; implicit-def: $sgpr0
	s_branch .LBB127_2301
.LBB127_2299:
	s_mov_b32 s2, -1
                                        ; implicit-def: $sgpr0
.LBB127_2300:
	s_mov_b32 s3, 0
.LBB127_2301:
	s_delay_alu instid0(SALU_CYCLE_1)
	s_and_b32 vcc_lo, exec_lo, s3
	s_cbranch_vccz .LBB127_2311
; %bb.2302:
	v_cmp_ne_u16_e64 s2, s1, 0
	s_and_b32 s0, 0xffff, s1
	s_delay_alu instid0(VALU_DEP_1)
	s_and_not1_b32 vcc_lo, exec_lo, s2
	s_cbranch_vccz .LBB127_2312
.LBB127_2303:
	v_mov_b32_e32 v0, 0xff
	s_bfe_u32 s1, s0, 0x80017
	s_delay_alu instid0(SALU_CYCLE_1)
	s_cmpk_eq_i32 s1, 0xff
	s_cbranch_scc1 .LBB127_2305
.LBB127_2304:
	s_lshr_b32 s2, s0, 23
	s_bitcmp1_b32 s0, 22
	s_cselect_b32 s3, -1, 0
	s_and_b32 s0, s0, 0x3fffff
	s_delay_alu instid0(SALU_CYCLE_1) | instskip(NEXT) | instid1(SALU_CYCLE_1)
	s_or_b32 s0, s1, s0
	s_cmp_lg_u32 s0, 0
	s_cselect_b32 s0, -1, 0
	s_delay_alu instid0(SALU_CYCLE_1) | instskip(NEXT) | instid1(SALU_CYCLE_1)
	s_and_b32 s0, s3, s0
	v_cndmask_b32_e64 v0, 0, 1, s0
	s_delay_alu instid0(VALU_DEP_1)
	v_add_nc_u32_e32 v0, s2, v0
.LBB127_2305:
	s_mov_b32 s0, 0
	global_store_b8 v[4:5], v0, off
.LBB127_2306:
	s_mov_b32 s1, 0
.LBB127_2307:
	s_delay_alu instid0(SALU_CYCLE_1)
	s_and_b32 vcc_lo, exec_lo, s1
	s_cbranch_vccz .LBB127_2319
; %bb.2308:
	v_cmp_eq_u16_e32 vcc_lo, 29, v6
	s_mov_b32 s0, -1
	s_cbranch_vccz .LBB127_2319
; %bb.2309:
	v_and_b32_e64 v0, 0xff, s6
	s_delay_alu instid0(VALU_DEP_1)
	v_cmp_gt_i16_e32 vcc_lo, 0x80, v0
	s_cbranch_vccnz .LBB127_2313
; %bb.2310:
	v_cmp_ne_u16_e64 s2, 0x80, v0
	s_mov_b32 s3, 0
	s_mov_b64 s[0:1], 0
	s_branch .LBB127_2314
.LBB127_2311:
	s_and_not1_b32 vcc_lo, exec_lo, s2
	s_cbranch_vccnz .LBB127_2303
.LBB127_2312:
	v_lshrrev_b16 v0, 2, s6
	s_and_b32 s0, s6, 3
	s_delay_alu instid0(SALU_CYCLE_1) | instskip(NEXT) | instid1(SALU_CYCLE_1)
	s_clz_i32_u32 s1, s0
	s_min_u32 s1, s1, 32
	s_delay_alu instid0(VALU_DEP_1) | instskip(SKIP_3) | instid1(VALU_DEP_1)
	v_readfirstlane_b32 s2, v0
	s_sub_i32 s3, s1, 29
	s_sub_i32 s1, 30, s1
	s_lshl_b32 s3, s6, s3
	s_and_b32 s2, s2, 31
	s_and_b32 s3, s3, 3
	s_cmp_eq_u32 s2, 0
	s_cselect_b32 s0, s3, s0
	s_cselect_b32 s1, s1, s2
	s_lshl_b32 s0, s0, 21
	s_lshl_b32 s1, s1, 23
	s_delay_alu instid0(SALU_CYCLE_1) | instskip(NEXT) | instid1(SALU_CYCLE_1)
	s_or_b32 s0, s1, s0
	s_add_i32 s0, s0, 0x37800000
	v_mov_b32_e32 v0, 0xff
	s_bfe_u32 s1, s0, 0x80017
	s_delay_alu instid0(SALU_CYCLE_1)
	s_cmpk_eq_i32 s1, 0xff
	s_cbranch_scc0 .LBB127_2304
	s_branch .LBB127_2305
.LBB127_2313:
	s_mov_b32 s3, -1
	s_mov_b32 s2, 0
                                        ; implicit-def: $sgpr0_sgpr1
.LBB127_2314:
	s_and_not1_b32 vcc_lo, exec_lo, s3
	s_cbranch_vccnz .LBB127_2316
; %bb.2315:
	v_cmp_ne_u16_e64 s2, 0, v0
	s_mov_b64 s[0:1], 0
.LBB127_2316:
	s_delay_alu instid0(SALU_CYCLE_1) | instskip(NEXT) | instid1(VALU_DEP_2)
	v_dual_mov_b32 v0, s0 :: v_dual_mov_b32 v1, s1
	s_and_not1_b32 vcc_lo, exec_lo, s2
	s_cbranch_vccnz .LBB127_2318
; %bb.2317:
	v_lshrrev_b16 v0, 2, s6
	s_and_b32 s0, s6, 3
	s_lshl_b32 s3, s6, 24
	s_clz_i32_u32 s1, s0
	s_delay_alu instid0(SALU_CYCLE_1) | instskip(SKIP_4) | instid1(VALU_DEP_1)
	s_min_u32 s1, s1, 32
	v_readfirstlane_b32 s2, v0
	s_sub_i32 s5, s1, 29
	s_sub_i32 s1, 30, s1
	s_lshl_b32 s5, s6, s5
	s_and_b32 s2, s2, 31
	s_and_b32 s5, s5, 3
	s_cmp_eq_u32 s2, 0
	s_cselect_b32 s1, s1, s2
	s_cselect_b32 s0, s5, s0
	s_lshl_b32 s1, s1, 23
	s_and_b32 s2, s3, 0x80000000
	s_add_i32 s1, s1, 0x37800000
	s_lshl_b32 s0, s0, 21
	s_or_b32 s1, s2, s1
	s_delay_alu instid0(SALU_CYCLE_1) | instskip(NEXT) | instid1(SALU_CYCLE_1)
	s_or_b32 s0, s1, s0
	v_trunc_f32_e32 v0, s0
	s_delay_alu instid0(VALU_DEP_1) | instskip(NEXT) | instid1(VALU_DEP_1)
	v_mul_f32_e32 v1, 0x2f800000, v0
	v_floor_f32_e32 v1, v1
	s_delay_alu instid0(VALU_DEP_1) | instskip(SKIP_1) | instid1(VALU_DEP_2)
	v_fmamk_f32 v0, v1, 0xcf800000, v0
	v_cvt_u32_f32_e32 v1, v1
	v_cvt_u32_f32_e32 v0, v0
.LBB127_2318:
	s_mov_b32 s0, 0
	global_store_b64 v[4:5], v[0:1], off
.LBB127_2319:
	s_mov_b32 s1, 0
.LBB127_2320:
	s_delay_alu instid0(SALU_CYCLE_1)
	s_and_b32 vcc_lo, exec_lo, s1
	s_cbranch_vccz .LBB127_2361
; %bb.2321:
	v_cmp_gt_i16_e32 vcc_lo, 27, v6
	s_mov_b32 s1, -1
	s_cbranch_vccnz .LBB127_2341
; %bb.2322:
	v_cmp_lt_i16_e32 vcc_lo, 27, v6
	s_cbranch_vccz .LBB127_2331
; %bb.2323:
	v_and_b32_e64 v0, 0xff, s6
	s_delay_alu instid0(VALU_DEP_1)
	v_cmp_gt_i16_e32 vcc_lo, 0x80, v0
	s_cbranch_vccnz .LBB127_2325
; %bb.2324:
	v_cmp_ne_u16_e64 s1, 0x80, v0
	s_mov_b32 s3, 0
	s_mov_b32 s2, 0
	s_branch .LBB127_2326
.LBB127_2325:
	s_mov_b32 s3, -1
	s_mov_b32 s1, 0
                                        ; implicit-def: $sgpr2
.LBB127_2326:
	s_and_not1_b32 vcc_lo, exec_lo, s3
	s_cbranch_vccnz .LBB127_2328
; %bb.2327:
	v_cmp_ne_u16_e64 s1, 0, v0
	s_mov_b32 s2, 0
.LBB127_2328:
	s_delay_alu instid0(SALU_CYCLE_1) | instskip(NEXT) | instid1(VALU_DEP_2)
	v_mov_b32_e32 v0, s2
	s_and_not1_b32 vcc_lo, exec_lo, s1
	s_cbranch_vccnz .LBB127_2330
; %bb.2329:
	v_lshrrev_b16 v0, 2, s6
	s_and_b32 s1, s6, 3
	s_lshl_b32 s10, s6, 24
	s_clz_i32_u32 s2, s1
	s_delay_alu instid0(SALU_CYCLE_1) | instskip(SKIP_4) | instid1(VALU_DEP_1)
	s_min_u32 s2, s2, 32
	v_readfirstlane_b32 s3, v0
	s_sub_i32 s5, s2, 29
	s_sub_i32 s2, 30, s2
	s_lshl_b32 s5, s6, s5
	s_and_b32 s3, s3, 31
	s_and_b32 s5, s5, 3
	s_cmp_eq_u32 s3, 0
	s_cselect_b32 s2, s2, s3
	s_cselect_b32 s1, s5, s1
	s_lshl_b32 s2, s2, 23
	s_and_b32 s3, s10, 0x80000000
	s_add_i32 s2, s2, 0x37800000
	s_lshl_b32 s1, s1, 21
	s_or_b32 s2, s3, s2
	s_delay_alu instid0(SALU_CYCLE_1) | instskip(NEXT) | instid1(SALU_CYCLE_1)
	s_or_b32 s1, s2, s1
	v_cvt_u32_f32_e32 v0, s1
.LBB127_2330:
	s_mov_b32 s1, 0
	global_store_b32 v[4:5], v0, off
.LBB127_2331:
	s_and_b32 vcc_lo, exec_lo, s1
	s_cbranch_vccz .LBB127_2340
; %bb.2332:
	v_and_b32_e64 v0, 0xff, s6
	s_delay_alu instid0(VALU_DEP_1)
	v_cmp_gt_i16_e32 vcc_lo, 0x80, v0
	s_cbranch_vccnz .LBB127_2334
; %bb.2333:
	v_cmp_ne_u16_e64 s1, 0x80, v0
	s_mov_b32 s3, 0
	s_mov_b32 s2, 0
	s_branch .LBB127_2335
.LBB127_2334:
	s_mov_b32 s3, -1
	s_mov_b32 s1, 0
                                        ; implicit-def: $sgpr2
.LBB127_2335:
	s_and_not1_b32 vcc_lo, exec_lo, s3
	s_cbranch_vccnz .LBB127_2337
; %bb.2336:
	v_cmp_ne_u16_e64 s1, 0, v0
	s_mov_b32 s2, 0
.LBB127_2337:
	s_delay_alu instid0(SALU_CYCLE_1) | instskip(NEXT) | instid1(VALU_DEP_2)
	v_mov_b32_e32 v0, s2
	s_and_not1_b32 vcc_lo, exec_lo, s1
	s_cbranch_vccnz .LBB127_2339
; %bb.2338:
	v_lshrrev_b16 v0, 2, s6
	s_and_b32 s1, s6, 3
	s_lshl_b32 s10, s6, 24
	s_clz_i32_u32 s2, s1
	s_delay_alu instid0(SALU_CYCLE_1) | instskip(SKIP_4) | instid1(VALU_DEP_1)
	s_min_u32 s2, s2, 32
	v_readfirstlane_b32 s3, v0
	s_sub_i32 s5, s2, 29
	s_sub_i32 s2, 30, s2
	s_lshl_b32 s5, s6, s5
	s_and_b32 s3, s3, 31
	s_and_b32 s5, s5, 3
	s_cmp_eq_u32 s3, 0
	s_cselect_b32 s2, s2, s3
	s_cselect_b32 s1, s5, s1
	s_lshl_b32 s2, s2, 23
	s_and_b32 s3, s10, 0x80000000
	s_add_i32 s2, s2, 0x37800000
	s_lshl_b32 s1, s1, 21
	s_or_b32 s2, s3, s2
	s_delay_alu instid0(SALU_CYCLE_1) | instskip(NEXT) | instid1(SALU_CYCLE_1)
	s_or_b32 s1, s2, s1
	v_cvt_u32_f32_e32 v0, s1
.LBB127_2339:
	global_store_b16 v[4:5], v0, off
.LBB127_2340:
	s_mov_b32 s1, 0
.LBB127_2341:
	s_delay_alu instid0(SALU_CYCLE_1)
	s_and_not1_b32 vcc_lo, exec_lo, s1
	s_cbranch_vccnz .LBB127_2361
; %bb.2342:
	v_and_b32_e64 v0, 0xff, s6
	s_delay_alu instid0(VALU_DEP_1)
	v_cmp_gt_i16_e32 vcc_lo, 0x80, v0
	s_cbranch_vccnz .LBB127_2345
; %bb.2343:
	v_cmp_eq_u16_e32 vcc_lo, 0x80, v0
	s_cbranch_vccz .LBB127_2346
; %bb.2344:
	s_mov_b32 s2, 0
	s_mov_b32 s1, 0x7f800001
	s_branch .LBB127_2347
.LBB127_2345:
	s_mov_b32 s3, -1
	s_mov_b32 s2, 0
                                        ; implicit-def: $sgpr1
	s_branch .LBB127_2348
.LBB127_2346:
	s_mov_b32 s2, -1
                                        ; implicit-def: $sgpr1
.LBB127_2347:
	s_mov_b32 s3, 0
.LBB127_2348:
	s_delay_alu instid0(SALU_CYCLE_1)
	s_and_b32 vcc_lo, exec_lo, s3
	s_cbranch_vccz .LBB127_2351
; %bb.2349:
	v_cmp_ne_u16_e64 s2, 0, v0
	s_mov_b32 s1, 0
	s_delay_alu instid0(VALU_DEP_1)
	s_and_not1_b32 vcc_lo, exec_lo, s2
	s_cbranch_vccz .LBB127_2352
.LBB127_2350:
	v_mov_b32_e32 v1, 0x80
	s_and_b32 s2, s1, 0x7fffffff
	s_delay_alu instid0(SALU_CYCLE_1)
	s_cmp_gt_u32 s2, 0x437fffff
	s_cbranch_scc0 .LBB127_2353
	s_branch .LBB127_2360
.LBB127_2351:
	s_and_not1_b32 vcc_lo, exec_lo, s2
	s_cbranch_vccnz .LBB127_2350
.LBB127_2352:
	v_lshrrev_b16 v0, 2, s6
	s_and_b32 s1, s6, 3
	s_lshl_b32 s10, s6, 24
	s_clz_i32_u32 s2, s1
	s_delay_alu instid0(SALU_CYCLE_1) | instskip(SKIP_4) | instid1(VALU_DEP_1)
	s_min_u32 s2, s2, 32
	v_readfirstlane_b32 s3, v0
	s_sub_i32 s5, s2, 29
	s_sub_i32 s2, 30, s2
	s_lshl_b32 s5, s6, s5
	s_and_b32 s3, s3, 31
	s_and_b32 s5, s5, 3
	s_cmp_eq_u32 s3, 0
	s_cselect_b32 s2, s2, s3
	s_cselect_b32 s1, s5, s1
	s_lshl_b32 s2, s2, 23
	s_and_b32 s3, s10, 0x80000000
	s_add_i32 s2, s2, 0x37800000
	s_lshl_b32 s1, s1, 21
	s_or_b32 s2, s3, s2
	s_delay_alu instid0(SALU_CYCLE_1) | instskip(SKIP_2) | instid1(SALU_CYCLE_1)
	s_or_b32 s1, s2, s1
	v_mov_b32_e32 v1, 0x80
	s_and_b32 s2, s1, 0x7fffffff
	s_cmp_gt_u32 s2, 0x437fffff
	s_cbranch_scc1 .LBB127_2360
.LBB127_2353:
	s_cmp_gt_u32 s2, 0x3bffffff
	s_cbranch_scc0 .LBB127_2355
; %bb.2354:
	s_bfe_u32 s2, s1, 0x10014
	s_mov_b32 s3, 0
	s_add_i32 s2, s1, s2
	s_delay_alu instid0(SALU_CYCLE_1) | instskip(NEXT) | instid1(SALU_CYCLE_1)
	s_add_i32 s2, s2, 0x487ffff
	s_lshr_b32 s5, s2, 20
	s_mov_b32 s2, -1
	s_branch .LBB127_2356
.LBB127_2355:
	s_mov_b32 s3, -1
	s_mov_b32 s2, 0
                                        ; implicit-def: $sgpr5
.LBB127_2356:
	v_mov_b32_e32 v0, s5
	s_and_not1_b32 vcc_lo, exec_lo, s3
                                        ; implicit-def: $sgpr3
	s_cbranch_vccnz .LBB127_2358
; %bb.2357:
	v_add_f32_e64 v0, 0x46000000, |s1|
	s_mov_b32 s3, 0
	s_delay_alu instid0(VALU_DEP_1) | instskip(NEXT) | instid1(VALU_DEP_1)
	v_and_b32_e32 v0, 0xff, v0
	v_cmp_ne_u32_e64 s2, 0, v0
.LBB127_2358:
	v_mov_b32_e32 v1, s3
	s_delay_alu instid0(VALU_DEP_2)
	s_and_not1_b32 vcc_lo, exec_lo, s2
	s_cbranch_vccnz .LBB127_2360
; %bb.2359:
	s_lshr_b32 s1, s1, 24
	s_delay_alu instid0(SALU_CYCLE_1) | instskip(NEXT) | instid1(SALU_CYCLE_1)
	s_and_b32 s1, s1, 0x80
	v_or_b32_e32 v1, s1, v0
.LBB127_2360:
	global_store_b8 v[4:5], v1, off
.LBB127_2361:
	s_mov_b32 s1, 0
.LBB127_2362:
	s_delay_alu instid0(SALU_CYCLE_1)
	s_and_b32 vcc_lo, exec_lo, s1
	s_cbranch_vccz .LBB127_2430
; %bb.2363:
	v_cmp_lt_i16_e32 vcc_lo, 22, v6
	s_mov_b32 s1, -1
	s_cbranch_vccz .LBB127_2413
; %bb.2364:
	v_cmp_gt_i16_e32 vcc_lo, 24, v6
	s_cbranch_vccnz .LBB127_2390
; %bb.2365:
	v_cmp_lt_i16_e32 vcc_lo, 24, v6
	s_cbranch_vccz .LBB127_2367
; %bb.2366:
	v_mov_b32_e32 v0, s6
	s_mov_b32 s1, 0
	global_store_b8 v[4:5], v0, off
.LBB127_2367:
	s_and_not1_b32 vcc_lo, exec_lo, s1
	s_cbranch_vccnz .LBB127_2389
; %bb.2368:
	v_and_b32_e64 v0, 0xff, s6
	s_delay_alu instid0(VALU_DEP_1)
	v_cmp_gt_i16_e32 vcc_lo, 0x80, v0
	s_cbranch_vccnz .LBB127_2371
; %bb.2369:
	v_cmp_eq_u16_e32 vcc_lo, 0x80, v0
	s_cbranch_vccz .LBB127_2372
; %bb.2370:
	s_mov_b32 s2, 0
	s_mov_b32 s1, 0x7f800001
	s_branch .LBB127_2373
.LBB127_2371:
	s_mov_b32 s3, -1
	s_mov_b32 s2, 0
                                        ; implicit-def: $sgpr1
	s_branch .LBB127_2374
.LBB127_2372:
	s_mov_b32 s2, -1
                                        ; implicit-def: $sgpr1
.LBB127_2373:
	s_mov_b32 s3, 0
.LBB127_2374:
	s_delay_alu instid0(SALU_CYCLE_1)
	s_and_b32 vcc_lo, exec_lo, s3
	s_cbranch_vccz .LBB127_2379
; %bb.2375:
	v_cmp_ne_u16_e64 s2, 0, v0
	s_mov_b32 s1, 0
	s_delay_alu instid0(VALU_DEP_1)
	s_and_not1_b32 vcc_lo, exec_lo, s2
	s_cbranch_vccz .LBB127_2380
.LBB127_2376:
	s_and_b32 s2, s1, 0x7fffffff
	s_delay_alu instid0(SALU_CYCLE_1)
	s_cmp_lt_u32 s2, 0x43f00000
	s_cbranch_scc0 .LBB127_2381
.LBB127_2377:
	s_cmp_gt_u32 s2, 0x3c7fffff
	s_cbranch_scc0 .LBB127_2382
; %bb.2378:
	s_bfe_u32 s3, s1, 0x10014
	s_delay_alu instid0(SALU_CYCLE_1) | instskip(NEXT) | instid1(SALU_CYCLE_1)
	s_add_i32 s3, s1, s3
	s_add_i32 s3, s3, 0x407ffff
	s_delay_alu instid0(SALU_CYCLE_1)
	s_and_b32 s4, s3, 0xff00000
	s_lshr_b32 s3, s3, 20
	s_cmp_lg_u32 s4, 0x7f00000
	s_cselect_b32 s4, s3, 0x7e
	s_mov_b32 s3, 0
	s_branch .LBB127_2383
.LBB127_2379:
	s_and_not1_b32 vcc_lo, exec_lo, s2
	s_cbranch_vccnz .LBB127_2376
.LBB127_2380:
	v_lshrrev_b16 v0, 2, s6
	s_and_b32 s1, s6, 3
	s_lshl_b32 s5, s6, 24
	s_clz_i32_u32 s2, s1
	s_delay_alu instid0(SALU_CYCLE_1) | instskip(SKIP_4) | instid1(VALU_DEP_1)
	s_min_u32 s2, s2, 32
	v_readfirstlane_b32 s3, v0
	s_sub_i32 s4, s2, 29
	s_sub_i32 s2, 30, s2
	s_lshl_b32 s4, s6, s4
	s_and_b32 s3, s3, 31
	s_and_b32 s4, s4, 3
	s_cmp_eq_u32 s3, 0
	s_cselect_b32 s2, s2, s3
	s_cselect_b32 s1, s4, s1
	s_lshl_b32 s2, s2, 23
	s_and_b32 s3, s5, 0x80000000
	s_add_i32 s2, s2, 0x37800000
	s_lshl_b32 s1, s1, 21
	s_or_b32 s2, s3, s2
	s_delay_alu instid0(SALU_CYCLE_1) | instskip(NEXT) | instid1(SALU_CYCLE_1)
	s_or_b32 s1, s2, s1
	s_and_b32 s2, s1, 0x7fffffff
	s_delay_alu instid0(SALU_CYCLE_1)
	s_cmp_lt_u32 s2, 0x43f00000
	s_cbranch_scc1 .LBB127_2377
.LBB127_2381:
	s_mov_b32 s3, -1
                                        ; implicit-def: $vgpr0
	s_branch .LBB127_2386
.LBB127_2382:
	s_mov_b32 s3, -1
                                        ; implicit-def: $sgpr4
.LBB127_2383:
	v_mov_b32_e32 v0, s4
	s_and_not1_b32 vcc_lo, exec_lo, s3
	s_cbranch_vccnz .LBB127_2385
; %bb.2384:
	v_add_f32_e64 v0, 0x46800000, |s1|
.LBB127_2385:
	s_mov_b32 s3, 0
.LBB127_2386:
	s_delay_alu instid0(SALU_CYCLE_1)
	s_and_not1_b32 vcc_lo, exec_lo, s3
	s_cbranch_vccnz .LBB127_2388
; %bb.2387:
	s_cmp_gt_u32 s2, 0x7f800000
	s_movk_i32 s2, 0x7f
	s_delay_alu instid0(SALU_CYCLE_1) | instskip(NEXT) | instid1(SALU_CYCLE_1)
	s_cselect_b32 s2, s2, 0x7e
	v_mov_b32_e32 v0, s2
.LBB127_2388:
	s_lshr_b32 s1, s1, 24
	s_delay_alu instid0(SALU_CYCLE_1)
	s_and_b32 s1, s1, 0x80
	s_delay_alu instid0(VALU_DEP_1) | instid1(SALU_CYCLE_1)
	v_or_b32_e32 v0, s1, v0
	global_store_b8 v[4:5], v0, off
.LBB127_2389:
	s_mov_b32 s1, 0
.LBB127_2390:
	s_delay_alu instid0(SALU_CYCLE_1)
	s_and_not1_b32 vcc_lo, exec_lo, s1
	s_cbranch_vccnz .LBB127_2412
; %bb.2391:
	v_and_b32_e64 v0, 0xff, s6
	s_delay_alu instid0(VALU_DEP_1)
	v_cmp_gt_i16_e32 vcc_lo, 0x80, v0
	s_cbranch_vccnz .LBB127_2394
; %bb.2392:
	v_cmp_eq_u16_e32 vcc_lo, 0x80, v0
	s_cbranch_vccz .LBB127_2395
; %bb.2393:
	s_mov_b32 s2, 0
	s_mov_b32 s1, 0x7f800001
	s_branch .LBB127_2396
.LBB127_2394:
	s_mov_b32 s3, -1
	s_mov_b32 s2, 0
                                        ; implicit-def: $sgpr1
	s_branch .LBB127_2397
.LBB127_2395:
	s_mov_b32 s2, -1
                                        ; implicit-def: $sgpr1
.LBB127_2396:
	s_mov_b32 s3, 0
.LBB127_2397:
	s_delay_alu instid0(SALU_CYCLE_1)
	s_and_b32 vcc_lo, exec_lo, s3
	s_cbranch_vccz .LBB127_2402
; %bb.2398:
	v_cmp_ne_u16_e64 s2, 0, v0
	s_mov_b32 s1, 0
	s_delay_alu instid0(VALU_DEP_1)
	s_and_not1_b32 vcc_lo, exec_lo, s2
	s_cbranch_vccz .LBB127_2403
.LBB127_2399:
	s_and_b32 s2, s1, 0x7fffffff
	s_delay_alu instid0(SALU_CYCLE_1)
	s_cmp_lt_u32 s2, 0x47800000
	s_cbranch_scc0 .LBB127_2404
.LBB127_2400:
	s_cmp_gt_u32 s2, 0x387fffff
	s_cbranch_scc0 .LBB127_2405
; %bb.2401:
	s_bfe_u32 s3, s1, 0x10015
	s_delay_alu instid0(SALU_CYCLE_1) | instskip(NEXT) | instid1(SALU_CYCLE_1)
	s_add_i32 s3, s1, s3
	s_add_i32 s3, s3, 0x80fffff
	s_delay_alu instid0(SALU_CYCLE_1)
	s_lshr_b32 s4, s3, 21
	s_mov_b32 s3, 0
	s_branch .LBB127_2406
.LBB127_2402:
	s_and_not1_b32 vcc_lo, exec_lo, s2
	s_cbranch_vccnz .LBB127_2399
.LBB127_2403:
	v_lshrrev_b16 v0, 2, s6
	s_and_b32 s1, s6, 3
	s_lshl_b32 s5, s6, 24
	s_clz_i32_u32 s2, s1
	s_delay_alu instid0(SALU_CYCLE_1) | instskip(SKIP_4) | instid1(VALU_DEP_1)
	s_min_u32 s2, s2, 32
	v_readfirstlane_b32 s3, v0
	s_sub_i32 s4, s2, 29
	s_sub_i32 s2, 30, s2
	s_lshl_b32 s4, s6, s4
	s_and_b32 s3, s3, 31
	s_and_b32 s4, s4, 3
	s_cmp_eq_u32 s3, 0
	s_cselect_b32 s2, s2, s3
	s_cselect_b32 s1, s4, s1
	s_lshl_b32 s2, s2, 23
	s_and_b32 s3, s5, 0x80000000
	s_add_i32 s2, s2, 0x37800000
	s_lshl_b32 s1, s1, 21
	s_or_b32 s2, s3, s2
	s_delay_alu instid0(SALU_CYCLE_1) | instskip(NEXT) | instid1(SALU_CYCLE_1)
	s_or_b32 s1, s2, s1
	s_and_b32 s2, s1, 0x7fffffff
	s_delay_alu instid0(SALU_CYCLE_1)
	s_cmp_lt_u32 s2, 0x47800000
	s_cbranch_scc1 .LBB127_2400
.LBB127_2404:
	s_mov_b32 s3, -1
                                        ; implicit-def: $vgpr0
	s_branch .LBB127_2409
.LBB127_2405:
	s_mov_b32 s3, -1
                                        ; implicit-def: $sgpr4
.LBB127_2406:
	v_mov_b32_e32 v0, s4
	s_and_not1_b32 vcc_lo, exec_lo, s3
	s_cbranch_vccnz .LBB127_2408
; %bb.2407:
	v_add_f32_e64 v0, 0x43000000, |s1|
.LBB127_2408:
	s_mov_b32 s3, 0
.LBB127_2409:
	s_delay_alu instid0(SALU_CYCLE_1)
	s_and_not1_b32 vcc_lo, exec_lo, s3
	s_cbranch_vccnz .LBB127_2411
; %bb.2410:
	s_cmp_gt_u32 s2, 0x7f800000
	s_movk_i32 s2, 0x7f
	s_delay_alu instid0(SALU_CYCLE_1) | instskip(NEXT) | instid1(SALU_CYCLE_1)
	s_cselect_b32 s2, s2, 0x7c
	v_mov_b32_e32 v0, s2
.LBB127_2411:
	s_lshr_b32 s1, s1, 24
	s_delay_alu instid0(SALU_CYCLE_1)
	s_and_b32 s1, s1, 0x80
	s_delay_alu instid0(VALU_DEP_1) | instid1(SALU_CYCLE_1)
	v_or_b32_e32 v0, s1, v0
	global_store_b8 v[4:5], v0, off
.LBB127_2412:
	s_mov_b32 s1, 0
.LBB127_2413:
	s_delay_alu instid0(SALU_CYCLE_1)
	s_and_not1_b32 vcc_lo, exec_lo, s1
	s_mov_b32 s4, 0
	s_cbranch_vccnz .LBB127_2430
; %bb.2414:
	v_cmp_lt_i16_e32 vcc_lo, 14, v6
	s_mov_b32 s1, -1
	s_cbranch_vccz .LBB127_2428
; %bb.2415:
	v_cmp_eq_u16_e32 vcc_lo, 15, v6
	s_mov_b32 s0, -1
	s_cbranch_vccz .LBB127_2427
; %bb.2416:
	v_and_b32_e64 v0, 0xff, s6
	s_delay_alu instid0(VALU_DEP_1)
	v_cmp_gt_i16_e32 vcc_lo, 0x80, v0
	s_cbranch_vccnz .LBB127_2419
; %bb.2417:
	v_cmp_eq_u16_e32 vcc_lo, 0x80, v0
	s_cbranch_vccz .LBB127_2420
; %bb.2418:
	s_mov_b32 s1, 0
	s_mov_b32 s0, 0x7f800001
	s_branch .LBB127_2421
.LBB127_2419:
	s_mov_b32 s2, -1
	s_mov_b32 s1, 0
                                        ; implicit-def: $sgpr0
	s_branch .LBB127_2422
.LBB127_2420:
                                        ; implicit-def: $sgpr0
.LBB127_2421:
	s_mov_b32 s2, 0
.LBB127_2422:
	s_delay_alu instid0(SALU_CYCLE_1)
	s_and_b32 vcc_lo, exec_lo, s2
	s_cbranch_vccz .LBB127_2424
; %bb.2423:
	v_cmp_ne_u16_e64 s1, 0, v0
	s_mov_b32 s0, 0
.LBB127_2424:
	s_delay_alu instid0(VALU_DEP_1)
	s_and_not1_b32 vcc_lo, exec_lo, s1
	s_cbranch_vccnz .LBB127_2426
; %bb.2425:
	v_lshrrev_b16 v0, 2, s6
	s_and_b32 s0, s6, 3
	s_lshl_b32 s4, s6, 24
	s_clz_i32_u32 s1, s0
	s_delay_alu instid0(SALU_CYCLE_1) | instskip(SKIP_4) | instid1(VALU_DEP_1)
	s_min_u32 s1, s1, 32
	v_readfirstlane_b32 s2, v0
	s_sub_i32 s3, s1, 29
	s_sub_i32 s1, 30, s1
	s_lshl_b32 s3, s6, s3
	s_and_b32 s2, s2, 31
	s_and_b32 s3, s3, 3
	s_cmp_eq_u32 s2, 0
	s_cselect_b32 s1, s1, s2
	s_cselect_b32 s0, s3, s0
	s_lshl_b32 s1, s1, 23
	s_and_b32 s2, s4, 0x80000000
	s_add_i32 s1, s1, 0x37800000
	s_lshl_b32 s0, s0, 21
	s_or_b32 s1, s2, s1
	s_delay_alu instid0(SALU_CYCLE_1)
	s_or_b32 s0, s1, s0
.LBB127_2426:
	s_delay_alu instid0(SALU_CYCLE_1) | instskip(NEXT) | instid1(SALU_CYCLE_1)
	s_bfe_u32 s1, s0, 0x10010
	s_add_i32 s1, s0, s1
	v_cmp_o_f32_e64 s0, s0, s0
	s_addk_i32 s1, 0x7fff
	s_delay_alu instid0(SALU_CYCLE_1) | instskip(NEXT) | instid1(VALU_DEP_1)
	s_lshr_b32 s1, s1, 16
	s_and_b32 s0, s0, exec_lo
	s_cselect_b32 s0, s1, 0x7fc0
	s_delay_alu instid0(SALU_CYCLE_1)
	v_mov_b32_e32 v0, s0
	s_mov_b32 s0, 0
	global_store_b16 v[4:5], v0, off
.LBB127_2427:
	s_mov_b32 s1, 0
.LBB127_2428:
	s_delay_alu instid0(SALU_CYCLE_1)
	s_and_b32 vcc_lo, exec_lo, s1
	s_mov_b32 s4, 0
	s_cbranch_vccz .LBB127_2430
; %bb.2429:
	v_cmp_ne_u16_e64 s0, 11, v6
	s_mov_b32 s4, -1
.LBB127_2430:
	s_delay_alu instid0(VALU_DEP_1)
	s_and_b32 vcc_lo, exec_lo, s0
	s_cbranch_vccnz .LBB127_2432
.LBB127_2431:
	s_mov_b32 s0, 0
	s_branch .LBB127_1939
.LBB127_2432:
	s_cbranch_execnz .LBB127_2434
; %bb.2433:
	s_mov_b32 s4, 0
	s_or_b32 s7, s7, exec_lo
	s_branch .LBB127_2431
.LBB127_2434:
	s_trap 2
	s_sendmsg_rtn_b32 s0, sendmsg(MSG_RTN_GET_DOORBELL)
	s_mov_b32 ttmp2, m0
	s_waitcnt lgkmcnt(0)
	s_and_b32 s0, s0, 0x3ff
	s_delay_alu instid0(SALU_CYCLE_1) | instskip(NEXT) | instid1(SALU_CYCLE_1)
	s_bitset1_b32 s0, 10
	s_mov_b32 m0, s0
	s_sendmsg sendmsg(MSG_INTERRUPT)
	s_mov_b32 m0, ttmp2
.LBB127_2435:                           ; =>This Inner Loop Header: Depth=1
	s_sethalt 5
	s_branch .LBB127_2435
.LBB127_2436:
	s_mov_b32 s6, -1
                                        ; implicit-def: $sgpr4
.LBB127_2437:
	s_mov_b32 s7, 0
.LBB127_2438:
	s_delay_alu instid0(SALU_CYCLE_1)
	s_and_b32 vcc_lo, exec_lo, s7
	s_cbranch_vccz .LBB127_2448
; %bb.2439:
	v_cmp_ne_u16_e64 s6, s5, 0
	s_and_b32 s4, 0xffff, s5
	s_delay_alu instid0(VALU_DEP_1)
	s_and_not1_b32 vcc_lo, exec_lo, s6
	s_cbranch_vccz .LBB127_2449
.LBB127_2440:
	v_mov_b32_e32 v0, 0xff
	s_bfe_u32 s5, s4, 0x80017
	s_delay_alu instid0(SALU_CYCLE_1)
	s_cmpk_eq_i32 s5, 0xff
	s_cbranch_scc1 .LBB127_2442
.LBB127_2441:
	s_lshr_b32 s6, s4, 23
	s_bitcmp1_b32 s4, 22
	s_cselect_b32 s7, -1, 0
	s_and_b32 s4, s4, 0x3fffff
	s_delay_alu instid0(SALU_CYCLE_1) | instskip(NEXT) | instid1(SALU_CYCLE_1)
	s_or_b32 s4, s5, s4
	s_cmp_lg_u32 s4, 0
	s_cselect_b32 s4, -1, 0
	s_delay_alu instid0(SALU_CYCLE_1) | instskip(NEXT) | instid1(SALU_CYCLE_1)
	s_and_b32 s4, s7, s4
	v_cndmask_b32_e64 v0, 0, 1, s4
	s_delay_alu instid0(VALU_DEP_1)
	v_add_nc_u32_e32 v0, s6, v0
.LBB127_2442:
	s_mov_b32 s4, 0
	global_store_b8 v[10:11], v0, off
.LBB127_2443:
	s_mov_b32 s5, 0
.LBB127_2444:
	s_delay_alu instid0(SALU_CYCLE_1)
	s_and_b32 vcc_lo, exec_lo, s5
	s_cbranch_vccz .LBB127_2456
; %bb.2445:
	v_cmp_eq_u16_e32 vcc_lo, 29, v13
	s_mov_b32 s4, -1
	s_cbranch_vccz .LBB127_2456
; %bb.2446:
	v_and_b32_e64 v0, 0xff, s25
	s_delay_alu instid0(VALU_DEP_1)
	v_cmp_gt_i16_e32 vcc_lo, 0x80, v0
	s_cbranch_vccnz .LBB127_2450
; %bb.2447:
	v_cmp_ne_u16_e64 s6, 0x80, v0
	s_mov_b32 s7, 0
	s_mov_b64 s[4:5], 0
	s_branch .LBB127_2451
.LBB127_2448:
	s_and_not1_b32 vcc_lo, exec_lo, s6
	s_cbranch_vccnz .LBB127_2440
.LBB127_2449:
	s_mov_b32 s4, s28
	v_mov_b32_e32 v0, 0xff
	s_bfe_u32 s5, s4, 0x80017
	s_delay_alu instid0(SALU_CYCLE_1)
	s_cmpk_eq_i32 s5, 0xff
	s_cbranch_scc0 .LBB127_2441
	s_branch .LBB127_2442
.LBB127_2450:
	s_mov_b32 s7, -1
	s_mov_b32 s6, 0
                                        ; implicit-def: $sgpr4_sgpr5
.LBB127_2451:
	s_and_not1_b32 vcc_lo, exec_lo, s7
	s_cbranch_vccnz .LBB127_2453
; %bb.2452:
	v_cmp_ne_u16_e64 s6, 0, v0
	s_mov_b64 s[4:5], 0
.LBB127_2453:
	s_delay_alu instid0(SALU_CYCLE_1) | instskip(NEXT) | instid1(VALU_DEP_2)
	v_dual_mov_b32 v0, s4 :: v_dual_mov_b32 v1, s5
	s_and_not1_b32 vcc_lo, exec_lo, s6
	s_cbranch_vccnz .LBB127_2455
; %bb.2454:
	v_dual_mov_b32 v0, v8 :: v_dual_mov_b32 v1, v9
.LBB127_2455:
	s_mov_b32 s4, 0
	global_store_b64 v[10:11], v[0:1], off
.LBB127_2456:
	s_mov_b32 s5, 0
.LBB127_2457:
	s_delay_alu instid0(SALU_CYCLE_1)
	s_and_b32 vcc_lo, exec_lo, s5
	s_cbranch_vccz .LBB127_2498
; %bb.2458:
	v_cmp_gt_i16_e32 vcc_lo, 27, v13
	s_mov_b32 s5, -1
	s_cbranch_vccnz .LBB127_2478
; %bb.2459:
	v_cmp_lt_i16_e32 vcc_lo, 27, v13
	s_cbranch_vccz .LBB127_2468
; %bb.2460:
	v_and_b32_e64 v0, 0xff, s25
	s_delay_alu instid0(VALU_DEP_1)
	v_cmp_gt_i16_e32 vcc_lo, 0x80, v0
	s_cbranch_vccnz .LBB127_2462
; %bb.2461:
	v_cmp_ne_u16_e64 s5, 0x80, v0
	s_mov_b32 s7, 0
	s_mov_b32 s6, 0
	s_branch .LBB127_2463
.LBB127_2462:
	s_mov_b32 s7, -1
	s_mov_b32 s5, 0
                                        ; implicit-def: $sgpr6
.LBB127_2463:
	s_and_not1_b32 vcc_lo, exec_lo, s7
	s_cbranch_vccnz .LBB127_2465
; %bb.2464:
	v_cmp_ne_u16_e64 s5, 0, v0
	s_mov_b32 s6, 0
.LBB127_2465:
	s_delay_alu instid0(SALU_CYCLE_1) | instskip(NEXT) | instid1(VALU_DEP_2)
	v_mov_b32_e32 v0, s6
	s_and_not1_b32 vcc_lo, exec_lo, s5
	s_cbranch_vccnz .LBB127_2467
; %bb.2466:
	v_mov_b32_e32 v0, v17
.LBB127_2467:
	s_mov_b32 s5, 0
	global_store_b32 v[10:11], v0, off
.LBB127_2468:
	s_and_b32 vcc_lo, exec_lo, s5
	s_cbranch_vccz .LBB127_2477
; %bb.2469:
	v_and_b32_e64 v0, 0xff, s25
	s_delay_alu instid0(VALU_DEP_1)
	v_cmp_gt_i16_e32 vcc_lo, 0x80, v0
	s_cbranch_vccnz .LBB127_2471
; %bb.2470:
	v_cmp_ne_u16_e64 s5, 0x80, v0
	s_mov_b32 s7, 0
	s_mov_b32 s6, 0
	s_branch .LBB127_2472
.LBB127_2471:
	s_mov_b32 s7, -1
	s_mov_b32 s5, 0
                                        ; implicit-def: $sgpr6
.LBB127_2472:
	s_and_not1_b32 vcc_lo, exec_lo, s7
	s_cbranch_vccnz .LBB127_2474
; %bb.2473:
	v_cmp_ne_u16_e64 s5, 0, v0
	s_mov_b32 s6, 0
.LBB127_2474:
	s_delay_alu instid0(SALU_CYCLE_1) | instskip(NEXT) | instid1(VALU_DEP_2)
	v_mov_b32_e32 v0, s6
	s_and_not1_b32 vcc_lo, exec_lo, s5
	s_cbranch_vccnz .LBB127_2476
; %bb.2475:
	v_mov_b32_e32 v0, v17
.LBB127_2476:
	global_store_b16 v[10:11], v0, off
.LBB127_2477:
	s_mov_b32 s5, 0
.LBB127_2478:
	s_delay_alu instid0(SALU_CYCLE_1)
	s_and_not1_b32 vcc_lo, exec_lo, s5
	s_cbranch_vccnz .LBB127_2498
; %bb.2479:
	v_and_b32_e64 v0, 0xff, s25
	s_delay_alu instid0(VALU_DEP_1)
	v_cmp_gt_i16_e32 vcc_lo, 0x80, v0
	s_cbranch_vccnz .LBB127_2482
; %bb.2480:
	v_cmp_eq_u16_e32 vcc_lo, 0x80, v0
	s_cbranch_vccz .LBB127_2483
; %bb.2481:
	s_mov_b32 s6, 0
	s_mov_b32 s5, 0x7f800001
	s_branch .LBB127_2484
.LBB127_2482:
	s_mov_b32 s7, -1
	s_mov_b32 s6, 0
                                        ; implicit-def: $sgpr5
	s_branch .LBB127_2485
.LBB127_2483:
	s_mov_b32 s6, -1
                                        ; implicit-def: $sgpr5
.LBB127_2484:
	s_mov_b32 s7, 0
.LBB127_2485:
	s_delay_alu instid0(SALU_CYCLE_1)
	s_and_b32 vcc_lo, exec_lo, s7
	s_cbranch_vccz .LBB127_2488
; %bb.2486:
	v_cmp_ne_u16_e64 s6, 0, v0
	s_mov_b32 s5, 0
	s_delay_alu instid0(VALU_DEP_1)
	s_and_not1_b32 vcc_lo, exec_lo, s6
	s_cbranch_vccz .LBB127_2489
.LBB127_2487:
	v_mov_b32_e32 v1, 0x80
	s_and_b32 s6, s5, 0x7fffffff
	s_delay_alu instid0(SALU_CYCLE_1)
	s_cmp_gt_u32 s6, 0x437fffff
	s_cbranch_scc0 .LBB127_2490
	s_branch .LBB127_2497
.LBB127_2488:
	s_and_not1_b32 vcc_lo, exec_lo, s6
	s_cbranch_vccnz .LBB127_2487
.LBB127_2489:
	s_mov_b32 s5, s26
	v_mov_b32_e32 v1, 0x80
	s_and_b32 s6, s5, 0x7fffffff
	s_delay_alu instid0(SALU_CYCLE_1)
	s_cmp_gt_u32 s6, 0x437fffff
	s_cbranch_scc1 .LBB127_2497
.LBB127_2490:
	s_cmp_lt_u32 s6, 0x3c000000
	s_cbranch_scc1 .LBB127_2492
; %bb.2491:
	s_bfe_u32 s6, s5, 0x10014
	s_mov_b32 s7, 0
	s_add_i32 s6, s5, s6
	s_delay_alu instid0(SALU_CYCLE_1) | instskip(NEXT) | instid1(SALU_CYCLE_1)
	s_add_i32 s6, s6, 0x487ffff
	s_lshr_b32 s8, s6, 20
	s_mov_b32 s6, -1
	s_branch .LBB127_2493
.LBB127_2492:
	s_mov_b32 s7, -1
	s_mov_b32 s6, 0
                                        ; implicit-def: $sgpr8
.LBB127_2493:
	v_mov_b32_e32 v0, s8
	s_and_not1_b32 vcc_lo, exec_lo, s7
                                        ; implicit-def: $sgpr7
	s_cbranch_vccnz .LBB127_2495
; %bb.2494:
	v_add_f32_e64 v0, 0x46000000, |s5|
	s_mov_b32 s7, 0
	s_delay_alu instid0(VALU_DEP_1) | instskip(NEXT) | instid1(VALU_DEP_1)
	v_and_b32_e32 v0, 0xff, v0
	v_cmp_ne_u32_e64 s6, 0, v0
.LBB127_2495:
	v_mov_b32_e32 v1, s7
	s_delay_alu instid0(VALU_DEP_2)
	s_and_not1_b32 vcc_lo, exec_lo, s6
	s_cbranch_vccnz .LBB127_2497
; %bb.2496:
	s_lshr_b32 s5, s5, 24
	s_delay_alu instid0(SALU_CYCLE_1) | instskip(NEXT) | instid1(SALU_CYCLE_1)
	s_and_b32 s5, s5, 0x80
	v_or_b32_e32 v1, s5, v0
.LBB127_2497:
	global_store_b8 v[10:11], v1, off
.LBB127_2498:
	s_mov_b32 s5, 0
.LBB127_2499:
	s_delay_alu instid0(SALU_CYCLE_1)
	s_and_b32 vcc_lo, exec_lo, s5
	s_mov_b32 s5, 0
	s_cbranch_vccz .LBB127_2508
; %bb.2500:
	v_cmp_lt_i16_e32 vcc_lo, 22, v13
	s_mov_b32 s6, -1
	s_cbranch_vccz .LBB127_2551
; %bb.2501:
	v_cmp_gt_i16_e32 vcc_lo, 24, v13
	s_cbranch_vccnz .LBB127_2528
; %bb.2502:
	v_cmp_lt_i16_e32 vcc_lo, 24, v13
	s_cbranch_vccz .LBB127_2504
; %bb.2503:
	v_mov_b32_e32 v0, s25
	s_mov_b32 s6, 0
	global_store_b8 v[10:11], v0, off
.LBB127_2504:
	s_and_not1_b32 vcc_lo, exec_lo, s6
	s_cbranch_vccnz .LBB127_2527
; %bb.2505:
	v_and_b32_e64 v0, 0xff, s25
	s_delay_alu instid0(VALU_DEP_1)
	v_cmp_gt_i16_e32 vcc_lo, 0x80, v0
	s_cbranch_vccnz .LBB127_2509
; %bb.2506:
	v_cmp_eq_u16_e32 vcc_lo, 0x80, v0
	s_cbranch_vccz .LBB127_2510
; %bb.2507:
	s_mov_b32 s7, 0
	s_mov_b32 s6, 0x7f800001
	s_branch .LBB127_2511
.LBB127_2508:
	s_mov_b32 s6, 0
	s_branch .LBB127_2568
.LBB127_2509:
	s_mov_b32 s8, -1
	s_mov_b32 s7, 0
                                        ; implicit-def: $sgpr6
	s_branch .LBB127_2512
.LBB127_2510:
	s_mov_b32 s7, -1
                                        ; implicit-def: $sgpr6
.LBB127_2511:
	s_mov_b32 s8, 0
.LBB127_2512:
	s_delay_alu instid0(SALU_CYCLE_1)
	s_and_b32 vcc_lo, exec_lo, s8
	s_cbranch_vccz .LBB127_2517
; %bb.2513:
	v_cmp_ne_u16_e64 s7, 0, v0
	s_mov_b32 s6, 0
	s_delay_alu instid0(VALU_DEP_1)
	s_and_not1_b32 vcc_lo, exec_lo, s7
	s_cbranch_vccz .LBB127_2518
.LBB127_2514:
	s_and_b32 s7, s6, 0x7fffffff
	s_delay_alu instid0(SALU_CYCLE_1)
	s_cmp_gt_u32 s7, 0x43efffff
	s_cbranch_scc1 .LBB127_2519
.LBB127_2515:
	s_cmp_lt_u32 s7, 0x3c800000
	s_cbranch_scc1 .LBB127_2520
; %bb.2516:
	s_bfe_u32 s8, s6, 0x10014
	s_delay_alu instid0(SALU_CYCLE_1) | instskip(NEXT) | instid1(SALU_CYCLE_1)
	s_add_i32 s8, s6, s8
	s_add_i32 s8, s8, 0x407ffff
	s_delay_alu instid0(SALU_CYCLE_1)
	s_and_b32 s9, s8, 0xff00000
	s_lshr_b32 s8, s8, 20
	s_cmp_lg_u32 s9, 0x7f00000
	s_cselect_b32 s9, s8, 0x7e
	s_mov_b32 s8, 0
	s_branch .LBB127_2521
.LBB127_2517:
	s_and_not1_b32 vcc_lo, exec_lo, s7
	s_cbranch_vccnz .LBB127_2514
.LBB127_2518:
	s_mov_b32 s6, s26
	s_delay_alu instid0(SALU_CYCLE_1) | instskip(NEXT) | instid1(SALU_CYCLE_1)
	s_and_b32 s7, s6, 0x7fffffff
	s_cmp_gt_u32 s7, 0x43efffff
	s_cbranch_scc0 .LBB127_2515
.LBB127_2519:
	s_mov_b32 s8, -1
                                        ; implicit-def: $vgpr0
	s_branch .LBB127_2524
.LBB127_2520:
	s_mov_b32 s8, -1
                                        ; implicit-def: $sgpr9
.LBB127_2521:
	v_mov_b32_e32 v0, s9
	s_and_not1_b32 vcc_lo, exec_lo, s8
	s_cbranch_vccnz .LBB127_2523
; %bb.2522:
	v_add_f32_e64 v0, 0x46800000, |s6|
.LBB127_2523:
	s_mov_b32 s8, 0
.LBB127_2524:
	s_delay_alu instid0(SALU_CYCLE_1)
	s_and_not1_b32 vcc_lo, exec_lo, s8
	s_cbranch_vccnz .LBB127_2526
; %bb.2525:
	s_cmp_gt_u32 s7, 0x7f800000
	s_movk_i32 s7, 0x7f
	s_delay_alu instid0(SALU_CYCLE_1) | instskip(NEXT) | instid1(SALU_CYCLE_1)
	s_cselect_b32 s7, s7, 0x7e
	v_mov_b32_e32 v0, s7
.LBB127_2526:
	s_lshr_b32 s6, s6, 24
	s_delay_alu instid0(SALU_CYCLE_1)
	s_and_b32 s6, s6, 0x80
	s_delay_alu instid0(VALU_DEP_1) | instid1(SALU_CYCLE_1)
	v_or_b32_e32 v0, s6, v0
	global_store_b8 v[10:11], v0, off
.LBB127_2527:
	s_mov_b32 s6, 0
.LBB127_2528:
	s_delay_alu instid0(SALU_CYCLE_1)
	s_and_not1_b32 vcc_lo, exec_lo, s6
	s_cbranch_vccnz .LBB127_2532
; %bb.2529:
	v_and_b32_e64 v0, 0xff, s25
	s_delay_alu instid0(VALU_DEP_1)
	v_cmp_gt_i16_e32 vcc_lo, 0x80, v0
	s_cbranch_vccnz .LBB127_2533
; %bb.2530:
	v_cmp_eq_u16_e32 vcc_lo, 0x80, v0
	s_cbranch_vccz .LBB127_2534
; %bb.2531:
	s_mov_b32 s7, 0
	s_mov_b32 s6, 0x7f800001
	s_branch .LBB127_2535
.LBB127_2532:
	s_mov_b32 s6, 0
	s_branch .LBB127_2551
.LBB127_2533:
	s_mov_b32 s8, -1
	s_mov_b32 s7, 0
                                        ; implicit-def: $sgpr6
	s_branch .LBB127_2536
.LBB127_2534:
	s_mov_b32 s7, -1
                                        ; implicit-def: $sgpr6
.LBB127_2535:
	s_mov_b32 s8, 0
.LBB127_2536:
	s_delay_alu instid0(SALU_CYCLE_1)
	s_and_b32 vcc_lo, exec_lo, s8
	s_cbranch_vccz .LBB127_2541
; %bb.2537:
	v_cmp_ne_u16_e64 s7, 0, v0
	s_mov_b32 s6, 0
	s_delay_alu instid0(VALU_DEP_1)
	s_and_not1_b32 vcc_lo, exec_lo, s7
	s_cbranch_vccz .LBB127_2542
.LBB127_2538:
	s_and_b32 s7, s6, 0x7fffffff
	s_delay_alu instid0(SALU_CYCLE_1)
	s_cmp_gt_u32 s7, 0x477fffff
	s_cbranch_scc1 .LBB127_2543
.LBB127_2539:
	s_cmp_lt_u32 s7, 0x38800000
	s_cbranch_scc1 .LBB127_2544
; %bb.2540:
	s_bfe_u32 s8, s6, 0x10015
	s_delay_alu instid0(SALU_CYCLE_1) | instskip(NEXT) | instid1(SALU_CYCLE_1)
	s_add_i32 s8, s6, s8
	s_add_i32 s8, s8, 0x80fffff
	s_delay_alu instid0(SALU_CYCLE_1)
	s_lshr_b32 s9, s8, 21
	s_mov_b32 s8, 0
	s_branch .LBB127_2545
.LBB127_2541:
	s_and_not1_b32 vcc_lo, exec_lo, s7
	s_cbranch_vccnz .LBB127_2538
.LBB127_2542:
	s_mov_b32 s6, s26
	s_delay_alu instid0(SALU_CYCLE_1) | instskip(NEXT) | instid1(SALU_CYCLE_1)
	s_and_b32 s7, s6, 0x7fffffff
	s_cmp_gt_u32 s7, 0x477fffff
	s_cbranch_scc0 .LBB127_2539
.LBB127_2543:
	s_mov_b32 s8, -1
                                        ; implicit-def: $vgpr0
	s_branch .LBB127_2548
.LBB127_2544:
	s_mov_b32 s8, -1
                                        ; implicit-def: $sgpr9
.LBB127_2545:
	v_mov_b32_e32 v0, s9
	s_and_not1_b32 vcc_lo, exec_lo, s8
	s_cbranch_vccnz .LBB127_2547
; %bb.2546:
	v_add_f32_e64 v0, 0x43000000, |s6|
.LBB127_2547:
	s_mov_b32 s8, 0
.LBB127_2548:
	s_delay_alu instid0(SALU_CYCLE_1)
	s_and_not1_b32 vcc_lo, exec_lo, s8
	s_cbranch_vccnz .LBB127_2550
; %bb.2549:
	s_cmp_gt_u32 s7, 0x7f800000
	s_movk_i32 s7, 0x7f
	s_delay_alu instid0(SALU_CYCLE_1) | instskip(NEXT) | instid1(SALU_CYCLE_1)
	s_cselect_b32 s7, s7, 0x7c
	v_mov_b32_e32 v0, s7
.LBB127_2550:
	s_lshr_b32 s6, s6, 24
	s_delay_alu instid0(SALU_CYCLE_1)
	s_and_b32 s6, s6, 0x80
	s_delay_alu instid0(VALU_DEP_1) | instid1(SALU_CYCLE_1)
	v_or_b32_e32 v0, s6, v0
	s_mov_b32 s6, 0
	global_store_b8 v[10:11], v0, off
.LBB127_2551:
	s_and_not1_b32 vcc_lo, exec_lo, s6
	s_mov_b32 s6, 0
	s_cbranch_vccnz .LBB127_2568
; %bb.2552:
	v_cmp_lt_i16_e32 vcc_lo, 14, v13
	s_mov_b32 s6, -1
	s_cbranch_vccz .LBB127_2566
; %bb.2553:
	v_cmp_eq_u16_e32 vcc_lo, 15, v13
	s_mov_b32 s4, -1
	s_cbranch_vccz .LBB127_2565
; %bb.2554:
	v_and_b32_e64 v0, 0xff, s25
	s_delay_alu instid0(VALU_DEP_1)
	v_cmp_gt_i16_e32 vcc_lo, 0x80, v0
	s_cbranch_vccnz .LBB127_2557
; %bb.2555:
	v_cmp_eq_u16_e32 vcc_lo, 0x80, v0
	s_cbranch_vccz .LBB127_2558
; %bb.2556:
	s_mov_b32 s6, 0
	s_mov_b32 s4, 0x7f800001
	s_branch .LBB127_2559
.LBB127_2557:
	s_mov_b32 s7, -1
	s_mov_b32 s6, 0
                                        ; implicit-def: $sgpr4
	s_branch .LBB127_2560
.LBB127_2558:
                                        ; implicit-def: $sgpr4
.LBB127_2559:
	s_mov_b32 s7, 0
.LBB127_2560:
	s_delay_alu instid0(SALU_CYCLE_1)
	s_and_b32 vcc_lo, exec_lo, s7
	s_cbranch_vccz .LBB127_2562
; %bb.2561:
	v_cmp_ne_u16_e64 s6, 0, v0
	s_mov_b32 s4, 0
.LBB127_2562:
	s_delay_alu instid0(VALU_DEP_1)
	s_and_not1_b32 vcc_lo, exec_lo, s6
	s_cbranch_vccnz .LBB127_2564
; %bb.2563:
	s_mov_b32 s4, s26
.LBB127_2564:
	s_delay_alu instid0(SALU_CYCLE_1) | instskip(NEXT) | instid1(SALU_CYCLE_1)
	s_bfe_u32 s6, s4, 0x10010
	s_add_i32 s6, s4, s6
	v_cmp_o_f32_e64 s4, s4, s4
	s_addk_i32 s6, 0x7fff
	s_delay_alu instid0(SALU_CYCLE_1) | instskip(NEXT) | instid1(VALU_DEP_1)
	s_lshr_b32 s6, s6, 16
	s_and_b32 s4, s4, exec_lo
	s_cselect_b32 s4, s6, 0x7fc0
	s_delay_alu instid0(SALU_CYCLE_1)
	v_mov_b32_e32 v0, s4
	s_mov_b32 s4, 0
	global_store_b16 v[10:11], v0, off
.LBB127_2565:
	s_mov_b32 s6, 0
.LBB127_2566:
	s_delay_alu instid0(SALU_CYCLE_1)
	s_and_b32 vcc_lo, exec_lo, s6
	s_mov_b32 s6, 0
	s_cbranch_vccz .LBB127_2568
; %bb.2567:
	v_cmp_ne_u16_e32 vcc_lo, 11, v13
	s_and_not1_b32 s4, s4, exec_lo
	s_mov_b32 s6, -1
	s_and_b32 s7, vcc_lo, exec_lo
	s_delay_alu instid0(SALU_CYCLE_1)
	s_or_b32 s4, s4, s7
.LBB127_2568:
	s_and_b32 s17, s5, exec_lo
	s_and_not1_b32 s5, s18, exec_lo
	s_and_b32 s4, s4, exec_lo
	s_and_b32 s16, s6, exec_lo
	s_or_b32 s38, s5, s4
.LBB127_2569:
	s_or_b32 exec_lo, exec_lo, s30
	s_waitcnt lgkmcnt(0)
	s_and_not1_b32 s4, s18, exec_lo
	s_and_b32 s5, s38, exec_lo
	s_and_b32 s17, s17, exec_lo
	;; [unrolled: 1-line block ×3, first 2 shown]
	s_or_b32 s18, s4, s5
.LBB127_2570:
	s_or_b32 exec_lo, exec_lo, s19
	s_waitcnt lgkmcnt(0)
	s_and_not1_b32 s4, s36, exec_lo
	s_and_b32 s5, s18, exec_lo
	s_and_b32 s17, s17, exec_lo
	;; [unrolled: 1-line block ×3, first 2 shown]
	s_or_b32 s36, s4, s5
.LBB127_2571:
	s_or_b32 exec_lo, exec_lo, s37
	s_waitcnt lgkmcnt(0)
	s_and_not1_b32 s4, s34, exec_lo
	s_and_b32 s5, s36, exec_lo
	s_and_b32 s17, s17, exec_lo
	;; [unrolled: 1-line block ×3, first 2 shown]
	s_or_b32 s34, s4, s5
	s_or_b32 exec_lo, exec_lo, s35
	s_mov_b32 s6, 0
	s_and_saveexec_b32 s4, s34
	s_cbranch_execz .LBB127_328
.LBB127_2572:
	s_cbranch_execnz .LBB127_2574
; %bb.2573:
	s_mov_b32 s6, exec_lo
	s_and_not1_b32 s36, s36, exec_lo
	s_or_b32 exec_lo, exec_lo, s4
	s_and_saveexec_b32 s4, s36
	s_cbranch_execnz .LBB127_329
	s_branch .LBB127_337
.LBB127_2574:
	s_trap 2
	s_sendmsg_rtn_b32 s0, sendmsg(MSG_RTN_GET_DOORBELL)
	s_mov_b32 ttmp2, m0
	s_waitcnt lgkmcnt(0)
	s_and_b32 s0, s0, 0x3ff
	s_delay_alu instid0(SALU_CYCLE_1) | instskip(NEXT) | instid1(SALU_CYCLE_1)
	s_bitset1_b32 s0, 10
	s_mov_b32 m0, s0
	s_sendmsg sendmsg(MSG_INTERRUPT)
	s_mov_b32 m0, ttmp2
.LBB127_2575:                           ; =>This Inner Loop Header: Depth=1
	s_sethalt 5
	s_branch .LBB127_2575
	.section	.rodata,"a",@progbits
	.p2align	6, 0x0
	.amdhsa_kernel _ZN2at6native32elementwise_kernel_manual_unrollILi128ELi4EZNS0_15gpu_kernel_implINS0_11FillFunctorIN3c1015Float8_e5m2fnuzEEEEEvRNS_18TensorIteratorBaseERKT_EUlibE0_EEviT1_
		.amdhsa_group_segment_fixed_size 0
		.amdhsa_private_segment_fixed_size 0
		.amdhsa_kernarg_size 288
		.amdhsa_user_sgpr_count 15
		.amdhsa_user_sgpr_dispatch_ptr 0
		.amdhsa_user_sgpr_queue_ptr 0
		.amdhsa_user_sgpr_kernarg_segment_ptr 1
		.amdhsa_user_sgpr_dispatch_id 0
		.amdhsa_user_sgpr_private_segment_size 0
		.amdhsa_wavefront_size32 1
		.amdhsa_uses_dynamic_stack 0
		.amdhsa_enable_private_segment 0
		.amdhsa_system_sgpr_workgroup_id_x 1
		.amdhsa_system_sgpr_workgroup_id_y 0
		.amdhsa_system_sgpr_workgroup_id_z 0
		.amdhsa_system_sgpr_workgroup_info 0
		.amdhsa_system_vgpr_workitem_id 0
		.amdhsa_next_free_vgpr 21
		.amdhsa_next_free_sgpr 60
		.amdhsa_reserve_vcc 1
		.amdhsa_float_round_mode_32 0
		.amdhsa_float_round_mode_16_64 0
		.amdhsa_float_denorm_mode_32 3
		.amdhsa_float_denorm_mode_16_64 3
		.amdhsa_dx10_clamp 1
		.amdhsa_ieee_mode 1
		.amdhsa_fp16_overflow 0
		.amdhsa_workgroup_processor_mode 1
		.amdhsa_memory_ordered 1
		.amdhsa_forward_progress 0
		.amdhsa_shared_vgpr_count 0
		.amdhsa_exception_fp_ieee_invalid_op 0
		.amdhsa_exception_fp_denorm_src 0
		.amdhsa_exception_fp_ieee_div_zero 0
		.amdhsa_exception_fp_ieee_overflow 0
		.amdhsa_exception_fp_ieee_underflow 0
		.amdhsa_exception_fp_ieee_inexact 0
		.amdhsa_exception_int_div_zero 0
	.end_amdhsa_kernel
	.section	.text._ZN2at6native32elementwise_kernel_manual_unrollILi128ELi4EZNS0_15gpu_kernel_implINS0_11FillFunctorIN3c1015Float8_e5m2fnuzEEEEEvRNS_18TensorIteratorBaseERKT_EUlibE0_EEviT1_,"axG",@progbits,_ZN2at6native32elementwise_kernel_manual_unrollILi128ELi4EZNS0_15gpu_kernel_implINS0_11FillFunctorIN3c1015Float8_e5m2fnuzEEEEEvRNS_18TensorIteratorBaseERKT_EUlibE0_EEviT1_,comdat
.Lfunc_end127:
	.size	_ZN2at6native32elementwise_kernel_manual_unrollILi128ELi4EZNS0_15gpu_kernel_implINS0_11FillFunctorIN3c1015Float8_e5m2fnuzEEEEEvRNS_18TensorIteratorBaseERKT_EUlibE0_EEviT1_, .Lfunc_end127-_ZN2at6native32elementwise_kernel_manual_unrollILi128ELi4EZNS0_15gpu_kernel_implINS0_11FillFunctorIN3c1015Float8_e5m2fnuzEEEEEvRNS_18TensorIteratorBaseERKT_EUlibE0_EEviT1_
                                        ; -- End function
	.section	.AMDGPU.csdata,"",@progbits
; Kernel info:
; codeLenInByte = 48900
; NumSgprs: 62
; NumVgprs: 21
; ScratchSize: 0
; MemoryBound: 0
; FloatMode: 240
; IeeeMode: 1
; LDSByteSize: 0 bytes/workgroup (compile time only)
; SGPRBlocks: 7
; VGPRBlocks: 2
; NumSGPRsForWavesPerEU: 62
; NumVGPRsForWavesPerEU: 21
; Occupancy: 16
; WaveLimiterHint : 1
; COMPUTE_PGM_RSRC2:SCRATCH_EN: 0
; COMPUTE_PGM_RSRC2:USER_SGPR: 15
; COMPUTE_PGM_RSRC2:TRAP_HANDLER: 0
; COMPUTE_PGM_RSRC2:TGID_X_EN: 1
; COMPUTE_PGM_RSRC2:TGID_Y_EN: 0
; COMPUTE_PGM_RSRC2:TGID_Z_EN: 0
; COMPUTE_PGM_RSRC2:TIDIG_COMP_CNT: 0
	.section	.text._ZN2at6native29vectorized_elementwise_kernelILi16ENS0_11FillFunctorIN3c1013Float8_e4m3fnEEESt5arrayIPcLm1EEEEviT0_T1_,"axG",@progbits,_ZN2at6native29vectorized_elementwise_kernelILi16ENS0_11FillFunctorIN3c1013Float8_e4m3fnEEESt5arrayIPcLm1EEEEviT0_T1_,comdat
	.protected	_ZN2at6native29vectorized_elementwise_kernelILi16ENS0_11FillFunctorIN3c1013Float8_e4m3fnEEESt5arrayIPcLm1EEEEviT0_T1_ ; -- Begin function _ZN2at6native29vectorized_elementwise_kernelILi16ENS0_11FillFunctorIN3c1013Float8_e4m3fnEEESt5arrayIPcLm1EEEEviT0_T1_
	.globl	_ZN2at6native29vectorized_elementwise_kernelILi16ENS0_11FillFunctorIN3c1013Float8_e4m3fnEEESt5arrayIPcLm1EEEEviT0_T1_
	.p2align	8
	.type	_ZN2at6native29vectorized_elementwise_kernelILi16ENS0_11FillFunctorIN3c1013Float8_e4m3fnEEESt5arrayIPcLm1EEEEviT0_T1_,@function
_ZN2at6native29vectorized_elementwise_kernelILi16ENS0_11FillFunctorIN3c1013Float8_e4m3fnEEESt5arrayIPcLm1EEEEviT0_T1_: ; @_ZN2at6native29vectorized_elementwise_kernelILi16ENS0_11FillFunctorIN3c1013Float8_e4m3fnEEESt5arrayIPcLm1EEEEviT0_T1_
; %bb.0:
	s_load_b128 s[0:3], s[0:1], 0x0
	s_lshl_b32 s4, s15, 12
	s_waitcnt lgkmcnt(0)
	s_sub_i32 s0, s0, s4
	s_delay_alu instid0(SALU_CYCLE_1)
	s_cmpk_gt_i32 s0, 0xfff
	s_cbranch_scc0 .LBB128_4
; %bb.1:
	v_lshlrev_b16 v1, 8, s1
	v_and_b32_e64 v2, 0xff, s1
	v_dual_mov_b32 v8, s1 :: v_dual_lshlrev_b32 v7, 4, v0
	s_ashr_i32 s5, s4, 31
	s_add_u32 s8, s2, s4
	s_delay_alu instid0(VALU_DEP_2) | instskip(SKIP_1) | instid1(VALU_DEP_1)
	v_or_b32_e32 v6, v2, v1
	s_addc_u32 s9, s3, s5
	v_and_b32_e32 v1, 0xffff, v6
	v_lshlrev_b32_e32 v2, 16, v6
	s_delay_alu instid0(VALU_DEP_1) | instskip(SKIP_1) | instid1(VALU_DEP_1)
	v_or_b32_e32 v3, v1, v2
	v_add_co_u32 v1, s5, s8, v7
	v_add_co_ci_u32_e64 v2, null, s9, 0, s5
	s_delay_alu instid0(VALU_DEP_3) | instskip(SKIP_1) | instid1(VALU_DEP_4)
	v_mov_b32_e32 v5, v3
	v_mov_b32_e32 v4, v3
	v_add_co_u32 v1, vcc_lo, v1, 15
	s_delay_alu instid0(VALU_DEP_4)
	v_add_co_ci_u32_e32 v2, vcc_lo, 0, v2, vcc_lo
	s_mov_b32 s5, -1
	s_clause 0x2
	global_store_b8 v7, v8, s[8:9] offset:14
	global_store_b16 v7, v6, s[8:9] offset:12
	global_store_b96 v7, v[3:5], s[8:9]
	s_cbranch_execz .LBB128_5
; %bb.2:
	s_and_saveexec_b32 s0, s5
	s_cbranch_execz .LBB128_24
.LBB128_3:
	v_mov_b32_e32 v0, s1
	global_store_b8 v[1:2], v0, off
	s_nop 0
	s_sendmsg sendmsg(MSG_DEALLOC_VGPRS)
	s_endpgm
.LBB128_4:
	s_mov_b32 s5, 0
                                        ; implicit-def: $vgpr1_vgpr2
.LBB128_5:
	s_mov_b32 s6, exec_lo
	v_cmpx_gt_i32_e64 s0, v0
	s_cbranch_execz .LBB128_25
; %bb.6:
	v_or_b32_e32 v1, 0x100, v0
	v_or_b32_e32 v2, s4, v0
	s_delay_alu instid0(VALU_DEP_2) | instskip(SKIP_2) | instid1(SALU_CYCLE_1)
	v_dual_mov_b32 v3, s1 :: v_dual_mov_b32 v0, v1
	global_store_b8 v2, v3, s[2:3]
	s_or_b32 exec_lo, exec_lo, s6
	s_mov_b32 s6, exec_lo
	v_cmpx_gt_i32_e64 s0, v0
	s_cbranch_execnz .LBB128_26
.LBB128_7:
	s_or_b32 exec_lo, exec_lo, s6
	s_delay_alu instid0(SALU_CYCLE_1)
	s_mov_b32 s6, exec_lo
	v_cmpx_gt_i32_e64 s0, v0
	s_cbranch_execz .LBB128_27
.LBB128_8:
	v_dual_mov_b32 v2, s1 :: v_dual_add_nc_u32 v1, s4, v0
	v_add_nc_u32_e32 v0, 0x100, v0
	global_store_b8 v1, v2, s[2:3]
	s_or_b32 exec_lo, exec_lo, s6
	s_delay_alu instid0(SALU_CYCLE_1)
	s_mov_b32 s6, exec_lo
	v_cmpx_gt_i32_e64 s0, v0
	s_cbranch_execnz .LBB128_28
.LBB128_9:
	s_or_b32 exec_lo, exec_lo, s6
	s_delay_alu instid0(SALU_CYCLE_1)
	s_mov_b32 s6, exec_lo
	v_cmpx_gt_i32_e64 s0, v0
	s_cbranch_execz .LBB128_29
.LBB128_10:
	v_dual_mov_b32 v2, s1 :: v_dual_add_nc_u32 v1, s4, v0
	v_add_nc_u32_e32 v0, 0x100, v0
	global_store_b8 v1, v2, s[2:3]
	s_or_b32 exec_lo, exec_lo, s6
	s_delay_alu instid0(SALU_CYCLE_1)
	s_mov_b32 s6, exec_lo
	v_cmpx_gt_i32_e64 s0, v0
	s_cbranch_execnz .LBB128_30
.LBB128_11:
	s_or_b32 exec_lo, exec_lo, s6
	s_delay_alu instid0(SALU_CYCLE_1)
	s_mov_b32 s6, exec_lo
	v_cmpx_gt_i32_e64 s0, v0
	s_cbranch_execz .LBB128_31
.LBB128_12:
	v_dual_mov_b32 v2, s1 :: v_dual_add_nc_u32 v1, s4, v0
	v_add_nc_u32_e32 v0, 0x100, v0
	global_store_b8 v1, v2, s[2:3]
	s_or_b32 exec_lo, exec_lo, s6
	s_delay_alu instid0(SALU_CYCLE_1)
	s_mov_b32 s6, exec_lo
	v_cmpx_gt_i32_e64 s0, v0
	s_cbranch_execnz .LBB128_32
.LBB128_13:
	s_or_b32 exec_lo, exec_lo, s6
	s_delay_alu instid0(SALU_CYCLE_1)
	s_mov_b32 s6, exec_lo
	v_cmpx_gt_i32_e64 s0, v0
	s_cbranch_execz .LBB128_33
.LBB128_14:
	v_dual_mov_b32 v2, s1 :: v_dual_add_nc_u32 v1, s4, v0
	v_add_nc_u32_e32 v0, 0x100, v0
	global_store_b8 v1, v2, s[2:3]
	s_or_b32 exec_lo, exec_lo, s6
	s_delay_alu instid0(SALU_CYCLE_1)
	s_mov_b32 s6, exec_lo
	v_cmpx_gt_i32_e64 s0, v0
	s_cbranch_execnz .LBB128_34
.LBB128_15:
	s_or_b32 exec_lo, exec_lo, s6
	s_delay_alu instid0(SALU_CYCLE_1)
	s_mov_b32 s6, exec_lo
	v_cmpx_gt_i32_e64 s0, v0
	s_cbranch_execz .LBB128_35
.LBB128_16:
	v_dual_mov_b32 v2, s1 :: v_dual_add_nc_u32 v1, s4, v0
	v_add_nc_u32_e32 v0, 0x100, v0
	global_store_b8 v1, v2, s[2:3]
	s_or_b32 exec_lo, exec_lo, s6
	s_delay_alu instid0(SALU_CYCLE_1)
	s_mov_b32 s6, exec_lo
	v_cmpx_gt_i32_e64 s0, v0
	s_cbranch_execnz .LBB128_36
.LBB128_17:
	s_or_b32 exec_lo, exec_lo, s6
	s_delay_alu instid0(SALU_CYCLE_1)
	s_mov_b32 s6, exec_lo
	v_cmpx_gt_i32_e64 s0, v0
	s_cbranch_execz .LBB128_37
.LBB128_18:
	v_dual_mov_b32 v2, s1 :: v_dual_add_nc_u32 v1, s4, v0
	v_add_nc_u32_e32 v0, 0x100, v0
	global_store_b8 v1, v2, s[2:3]
	s_or_b32 exec_lo, exec_lo, s6
	s_delay_alu instid0(SALU_CYCLE_1)
	s_mov_b32 s6, exec_lo
	v_cmpx_gt_i32_e64 s0, v0
	s_cbranch_execnz .LBB128_38
.LBB128_19:
	s_or_b32 exec_lo, exec_lo, s6
	s_delay_alu instid0(SALU_CYCLE_1)
	s_mov_b32 s6, exec_lo
	v_cmpx_gt_i32_e64 s0, v0
	s_cbranch_execz .LBB128_21
.LBB128_20:
	v_dual_mov_b32 v2, s1 :: v_dual_add_nc_u32 v1, s4, v0
	v_add_nc_u32_e32 v0, 0x100, v0
	global_store_b8 v1, v2, s[2:3]
.LBB128_21:
	s_or_b32 exec_lo, exec_lo, s6
	v_cmp_gt_i32_e32 vcc_lo, s0, v0
                                        ; implicit-def: $vgpr1_vgpr2
	s_and_saveexec_b32 s0, vcc_lo
; %bb.22:
	v_add_nc_u32_e32 v0, s4, v0
	s_or_b32 s5, s5, exec_lo
	s_delay_alu instid0(VALU_DEP_1) | instskip(NEXT) | instid1(VALU_DEP_1)
	v_add_co_u32 v1, s2, s2, v0
	v_add_co_ci_u32_e64 v2, null, s3, 0, s2
; %bb.23:
	s_or_b32 exec_lo, exec_lo, s0
	s_and_saveexec_b32 s0, s5
	s_cbranch_execnz .LBB128_3
.LBB128_24:
	s_nop 0
	s_sendmsg sendmsg(MSG_DEALLOC_VGPRS)
	s_endpgm
.LBB128_25:
	s_or_b32 exec_lo, exec_lo, s6
	s_delay_alu instid0(SALU_CYCLE_1)
	s_mov_b32 s6, exec_lo
	v_cmpx_gt_i32_e64 s0, v0
	s_cbranch_execz .LBB128_7
.LBB128_26:
	v_dual_mov_b32 v2, s1 :: v_dual_add_nc_u32 v1, s4, v0
	v_add_nc_u32_e32 v0, 0x100, v0
	global_store_b8 v1, v2, s[2:3]
	s_or_b32 exec_lo, exec_lo, s6
	s_delay_alu instid0(SALU_CYCLE_1)
	s_mov_b32 s6, exec_lo
	v_cmpx_gt_i32_e64 s0, v0
	s_cbranch_execnz .LBB128_8
.LBB128_27:
	s_or_b32 exec_lo, exec_lo, s6
	s_delay_alu instid0(SALU_CYCLE_1)
	s_mov_b32 s6, exec_lo
	v_cmpx_gt_i32_e64 s0, v0
	s_cbranch_execz .LBB128_9
.LBB128_28:
	v_dual_mov_b32 v2, s1 :: v_dual_add_nc_u32 v1, s4, v0
	v_add_nc_u32_e32 v0, 0x100, v0
	global_store_b8 v1, v2, s[2:3]
	s_or_b32 exec_lo, exec_lo, s6
	s_delay_alu instid0(SALU_CYCLE_1)
	s_mov_b32 s6, exec_lo
	v_cmpx_gt_i32_e64 s0, v0
	s_cbranch_execnz .LBB128_10
.LBB128_29:
	s_or_b32 exec_lo, exec_lo, s6
	s_delay_alu instid0(SALU_CYCLE_1)
	s_mov_b32 s6, exec_lo
	v_cmpx_gt_i32_e64 s0, v0
	s_cbranch_execz .LBB128_11
.LBB128_30:
	v_dual_mov_b32 v2, s1 :: v_dual_add_nc_u32 v1, s4, v0
	v_add_nc_u32_e32 v0, 0x100, v0
	global_store_b8 v1, v2, s[2:3]
	s_or_b32 exec_lo, exec_lo, s6
	s_delay_alu instid0(SALU_CYCLE_1)
	s_mov_b32 s6, exec_lo
	v_cmpx_gt_i32_e64 s0, v0
	s_cbranch_execnz .LBB128_12
.LBB128_31:
	s_or_b32 exec_lo, exec_lo, s6
	s_delay_alu instid0(SALU_CYCLE_1)
	s_mov_b32 s6, exec_lo
	v_cmpx_gt_i32_e64 s0, v0
	s_cbranch_execz .LBB128_13
.LBB128_32:
	v_dual_mov_b32 v2, s1 :: v_dual_add_nc_u32 v1, s4, v0
	v_add_nc_u32_e32 v0, 0x100, v0
	global_store_b8 v1, v2, s[2:3]
	s_or_b32 exec_lo, exec_lo, s6
	s_delay_alu instid0(SALU_CYCLE_1)
	s_mov_b32 s6, exec_lo
	v_cmpx_gt_i32_e64 s0, v0
	s_cbranch_execnz .LBB128_14
.LBB128_33:
	s_or_b32 exec_lo, exec_lo, s6
	s_delay_alu instid0(SALU_CYCLE_1)
	s_mov_b32 s6, exec_lo
	v_cmpx_gt_i32_e64 s0, v0
	s_cbranch_execz .LBB128_15
.LBB128_34:
	v_dual_mov_b32 v2, s1 :: v_dual_add_nc_u32 v1, s4, v0
	v_add_nc_u32_e32 v0, 0x100, v0
	global_store_b8 v1, v2, s[2:3]
	s_or_b32 exec_lo, exec_lo, s6
	s_delay_alu instid0(SALU_CYCLE_1)
	s_mov_b32 s6, exec_lo
	v_cmpx_gt_i32_e64 s0, v0
	s_cbranch_execnz .LBB128_16
.LBB128_35:
	s_or_b32 exec_lo, exec_lo, s6
	s_delay_alu instid0(SALU_CYCLE_1)
	s_mov_b32 s6, exec_lo
	v_cmpx_gt_i32_e64 s0, v0
	s_cbranch_execz .LBB128_17
.LBB128_36:
	v_dual_mov_b32 v2, s1 :: v_dual_add_nc_u32 v1, s4, v0
	v_add_nc_u32_e32 v0, 0x100, v0
	global_store_b8 v1, v2, s[2:3]
	s_or_b32 exec_lo, exec_lo, s6
	s_delay_alu instid0(SALU_CYCLE_1)
	s_mov_b32 s6, exec_lo
	v_cmpx_gt_i32_e64 s0, v0
	s_cbranch_execnz .LBB128_18
.LBB128_37:
	s_or_b32 exec_lo, exec_lo, s6
	s_delay_alu instid0(SALU_CYCLE_1)
	s_mov_b32 s6, exec_lo
	v_cmpx_gt_i32_e64 s0, v0
	s_cbranch_execz .LBB128_19
.LBB128_38:
	v_dual_mov_b32 v2, s1 :: v_dual_add_nc_u32 v1, s4, v0
	v_add_nc_u32_e32 v0, 0x100, v0
	global_store_b8 v1, v2, s[2:3]
	s_or_b32 exec_lo, exec_lo, s6
	s_delay_alu instid0(SALU_CYCLE_1)
	s_mov_b32 s6, exec_lo
	v_cmpx_gt_i32_e64 s0, v0
	s_cbranch_execz .LBB128_21
	s_branch .LBB128_20
	.section	.rodata,"a",@progbits
	.p2align	6, 0x0
	.amdhsa_kernel _ZN2at6native29vectorized_elementwise_kernelILi16ENS0_11FillFunctorIN3c1013Float8_e4m3fnEEESt5arrayIPcLm1EEEEviT0_T1_
		.amdhsa_group_segment_fixed_size 0
		.amdhsa_private_segment_fixed_size 0
		.amdhsa_kernarg_size 16
		.amdhsa_user_sgpr_count 15
		.amdhsa_user_sgpr_dispatch_ptr 0
		.amdhsa_user_sgpr_queue_ptr 0
		.amdhsa_user_sgpr_kernarg_segment_ptr 1
		.amdhsa_user_sgpr_dispatch_id 0
		.amdhsa_user_sgpr_private_segment_size 0
		.amdhsa_wavefront_size32 1
		.amdhsa_uses_dynamic_stack 0
		.amdhsa_enable_private_segment 0
		.amdhsa_system_sgpr_workgroup_id_x 1
		.amdhsa_system_sgpr_workgroup_id_y 0
		.amdhsa_system_sgpr_workgroup_id_z 0
		.amdhsa_system_sgpr_workgroup_info 0
		.amdhsa_system_vgpr_workitem_id 0
		.amdhsa_next_free_vgpr 9
		.amdhsa_next_free_sgpr 16
		.amdhsa_reserve_vcc 1
		.amdhsa_float_round_mode_32 0
		.amdhsa_float_round_mode_16_64 0
		.amdhsa_float_denorm_mode_32 3
		.amdhsa_float_denorm_mode_16_64 3
		.amdhsa_dx10_clamp 1
		.amdhsa_ieee_mode 1
		.amdhsa_fp16_overflow 0
		.amdhsa_workgroup_processor_mode 1
		.amdhsa_memory_ordered 1
		.amdhsa_forward_progress 0
		.amdhsa_shared_vgpr_count 0
		.amdhsa_exception_fp_ieee_invalid_op 0
		.amdhsa_exception_fp_denorm_src 0
		.amdhsa_exception_fp_ieee_div_zero 0
		.amdhsa_exception_fp_ieee_overflow 0
		.amdhsa_exception_fp_ieee_underflow 0
		.amdhsa_exception_fp_ieee_inexact 0
		.amdhsa_exception_int_div_zero 0
	.end_amdhsa_kernel
	.section	.text._ZN2at6native29vectorized_elementwise_kernelILi16ENS0_11FillFunctorIN3c1013Float8_e4m3fnEEESt5arrayIPcLm1EEEEviT0_T1_,"axG",@progbits,_ZN2at6native29vectorized_elementwise_kernelILi16ENS0_11FillFunctorIN3c1013Float8_e4m3fnEEESt5arrayIPcLm1EEEEviT0_T1_,comdat
.Lfunc_end128:
	.size	_ZN2at6native29vectorized_elementwise_kernelILi16ENS0_11FillFunctorIN3c1013Float8_e4m3fnEEESt5arrayIPcLm1EEEEviT0_T1_, .Lfunc_end128-_ZN2at6native29vectorized_elementwise_kernelILi16ENS0_11FillFunctorIN3c1013Float8_e4m3fnEEESt5arrayIPcLm1EEEEviT0_T1_
                                        ; -- End function
	.section	.AMDGPU.csdata,"",@progbits
; Kernel info:
; codeLenInByte = 1336
; NumSgprs: 18
; NumVgprs: 9
; ScratchSize: 0
; MemoryBound: 0
; FloatMode: 240
; IeeeMode: 1
; LDSByteSize: 0 bytes/workgroup (compile time only)
; SGPRBlocks: 2
; VGPRBlocks: 1
; NumSGPRsForWavesPerEU: 18
; NumVGPRsForWavesPerEU: 9
; Occupancy: 16
; WaveLimiterHint : 0
; COMPUTE_PGM_RSRC2:SCRATCH_EN: 0
; COMPUTE_PGM_RSRC2:USER_SGPR: 15
; COMPUTE_PGM_RSRC2:TRAP_HANDLER: 0
; COMPUTE_PGM_RSRC2:TGID_X_EN: 1
; COMPUTE_PGM_RSRC2:TGID_Y_EN: 0
; COMPUTE_PGM_RSRC2:TGID_Z_EN: 0
; COMPUTE_PGM_RSRC2:TIDIG_COMP_CNT: 0
	.section	.text._ZN2at6native29vectorized_elementwise_kernelILi8ENS0_11FillFunctorIN3c1013Float8_e4m3fnEEESt5arrayIPcLm1EEEEviT0_T1_,"axG",@progbits,_ZN2at6native29vectorized_elementwise_kernelILi8ENS0_11FillFunctorIN3c1013Float8_e4m3fnEEESt5arrayIPcLm1EEEEviT0_T1_,comdat
	.protected	_ZN2at6native29vectorized_elementwise_kernelILi8ENS0_11FillFunctorIN3c1013Float8_e4m3fnEEESt5arrayIPcLm1EEEEviT0_T1_ ; -- Begin function _ZN2at6native29vectorized_elementwise_kernelILi8ENS0_11FillFunctorIN3c1013Float8_e4m3fnEEESt5arrayIPcLm1EEEEviT0_T1_
	.globl	_ZN2at6native29vectorized_elementwise_kernelILi8ENS0_11FillFunctorIN3c1013Float8_e4m3fnEEESt5arrayIPcLm1EEEEviT0_T1_
	.p2align	8
	.type	_ZN2at6native29vectorized_elementwise_kernelILi8ENS0_11FillFunctorIN3c1013Float8_e4m3fnEEESt5arrayIPcLm1EEEEviT0_T1_,@function
_ZN2at6native29vectorized_elementwise_kernelILi8ENS0_11FillFunctorIN3c1013Float8_e4m3fnEEESt5arrayIPcLm1EEEEviT0_T1_: ; @_ZN2at6native29vectorized_elementwise_kernelILi8ENS0_11FillFunctorIN3c1013Float8_e4m3fnEEESt5arrayIPcLm1EEEEviT0_T1_
; %bb.0:
	s_load_b128 s[0:3], s[0:1], 0x0
	s_lshl_b32 s4, s15, 12
	s_mov_b32 s5, -1
	s_waitcnt lgkmcnt(0)
	s_sub_i32 s0, s0, s4
	s_delay_alu instid0(SALU_CYCLE_1)
	s_cmpk_gt_i32 s0, 0xfff
	s_cbranch_scc0 .LBB129_2
; %bb.1:
	s_ashr_i32 s5, s4, 31
	s_add_u32 s6, s2, s4
	s_addc_u32 s7, s3, s5
	s_and_b32 s5, s1, 0xff
	s_delay_alu instid0(SALU_CYCLE_1)
	s_mul_i32 s8, s5, 0x1010101
	s_mov_b32 s5, 0
	s_mov_b32 s9, s8
	v_mov_b32_e32 v1, s8
	v_dual_mov_b32 v2, s9 :: v_dual_lshlrev_b32 v3, 3, v0
	s_clause 0x1
	global_store_b64 v3, v[1:2], s[6:7]
	global_store_b64 v3, v[1:2], s[6:7] offset:2048
.LBB129_2:
	s_and_not1_b32 vcc_lo, exec_lo, s5
	s_cbranch_vccnz .LBB129_20
; %bb.3:
	s_mov_b32 s5, exec_lo
	v_cmpx_gt_i32_e64 s0, v0
	s_cbranch_execnz .LBB129_21
; %bb.4:
	s_or_b32 exec_lo, exec_lo, s5
	s_delay_alu instid0(SALU_CYCLE_1)
	s_mov_b32 s5, exec_lo
	v_cmpx_gt_i32_e64 s0, v0
	s_cbranch_execnz .LBB129_22
.LBB129_5:
	s_or_b32 exec_lo, exec_lo, s5
	s_delay_alu instid0(SALU_CYCLE_1)
	s_mov_b32 s5, exec_lo
	v_cmpx_gt_i32_e64 s0, v0
	s_cbranch_execnz .LBB129_23
.LBB129_6:
	s_or_b32 exec_lo, exec_lo, s5
	s_delay_alu instid0(SALU_CYCLE_1)
	s_mov_b32 s5, exec_lo
	v_cmpx_gt_i32_e64 s0, v0
	s_cbranch_execnz .LBB129_24
.LBB129_7:
	s_or_b32 exec_lo, exec_lo, s5
	s_delay_alu instid0(SALU_CYCLE_1)
	s_mov_b32 s5, exec_lo
	v_cmpx_gt_i32_e64 s0, v0
	s_cbranch_execnz .LBB129_25
.LBB129_8:
	s_or_b32 exec_lo, exec_lo, s5
	s_delay_alu instid0(SALU_CYCLE_1)
	s_mov_b32 s5, exec_lo
	v_cmpx_gt_i32_e64 s0, v0
	s_cbranch_execnz .LBB129_26
.LBB129_9:
	s_or_b32 exec_lo, exec_lo, s5
	s_delay_alu instid0(SALU_CYCLE_1)
	s_mov_b32 s5, exec_lo
	v_cmpx_gt_i32_e64 s0, v0
	s_cbranch_execnz .LBB129_27
.LBB129_10:
	s_or_b32 exec_lo, exec_lo, s5
	s_delay_alu instid0(SALU_CYCLE_1)
	s_mov_b32 s5, exec_lo
	v_cmpx_gt_i32_e64 s0, v0
	s_cbranch_execnz .LBB129_28
.LBB129_11:
	s_or_b32 exec_lo, exec_lo, s5
	s_delay_alu instid0(SALU_CYCLE_1)
	s_mov_b32 s5, exec_lo
	v_cmpx_gt_i32_e64 s0, v0
	s_cbranch_execnz .LBB129_29
.LBB129_12:
	s_or_b32 exec_lo, exec_lo, s5
	s_delay_alu instid0(SALU_CYCLE_1)
	s_mov_b32 s5, exec_lo
	v_cmpx_gt_i32_e64 s0, v0
	s_cbranch_execnz .LBB129_30
.LBB129_13:
	s_or_b32 exec_lo, exec_lo, s5
	s_delay_alu instid0(SALU_CYCLE_1)
	s_mov_b32 s5, exec_lo
	v_cmpx_gt_i32_e64 s0, v0
	s_cbranch_execnz .LBB129_31
.LBB129_14:
	s_or_b32 exec_lo, exec_lo, s5
	s_delay_alu instid0(SALU_CYCLE_1)
	s_mov_b32 s5, exec_lo
	v_cmpx_gt_i32_e64 s0, v0
	s_cbranch_execnz .LBB129_32
.LBB129_15:
	s_or_b32 exec_lo, exec_lo, s5
	s_delay_alu instid0(SALU_CYCLE_1)
	s_mov_b32 s5, exec_lo
	v_cmpx_gt_i32_e64 s0, v0
	s_cbranch_execnz .LBB129_33
.LBB129_16:
	s_or_b32 exec_lo, exec_lo, s5
	s_delay_alu instid0(SALU_CYCLE_1)
	s_mov_b32 s5, exec_lo
	v_cmpx_gt_i32_e64 s0, v0
	s_cbranch_execnz .LBB129_34
.LBB129_17:
	s_or_b32 exec_lo, exec_lo, s5
	s_delay_alu instid0(SALU_CYCLE_1)
	s_mov_b32 s5, exec_lo
	v_cmpx_gt_i32_e64 s0, v0
	s_cbranch_execnz .LBB129_35
.LBB129_18:
	s_or_b32 exec_lo, exec_lo, s5
	v_cmp_gt_i32_e32 vcc_lo, s0, v0
	s_and_saveexec_b32 s0, vcc_lo
	s_cbranch_execz .LBB129_20
.LBB129_19:
	v_dual_mov_b32 v1, s1 :: v_dual_add_nc_u32 v0, s4, v0
	global_store_b8 v0, v1, s[2:3]
.LBB129_20:
	s_nop 0
	s_sendmsg sendmsg(MSG_DEALLOC_VGPRS)
	s_endpgm
.LBB129_21:
	v_or_b32_e32 v1, 0x100, v0
	v_or_b32_e32 v2, s4, v0
	s_delay_alu instid0(VALU_DEP_2) | instskip(SKIP_2) | instid1(SALU_CYCLE_1)
	v_dual_mov_b32 v3, s1 :: v_dual_mov_b32 v0, v1
	global_store_b8 v2, v3, s[2:3]
	s_or_b32 exec_lo, exec_lo, s5
	s_mov_b32 s5, exec_lo
	v_cmpx_gt_i32_e64 s0, v0
	s_cbranch_execz .LBB129_5
.LBB129_22:
	v_dual_mov_b32 v2, s1 :: v_dual_add_nc_u32 v1, s4, v0
	v_add_nc_u32_e32 v0, 0x100, v0
	global_store_b8 v1, v2, s[2:3]
	s_or_b32 exec_lo, exec_lo, s5
	s_delay_alu instid0(SALU_CYCLE_1)
	s_mov_b32 s5, exec_lo
	v_cmpx_gt_i32_e64 s0, v0
	s_cbranch_execz .LBB129_6
.LBB129_23:
	v_dual_mov_b32 v2, s1 :: v_dual_add_nc_u32 v1, s4, v0
	v_add_nc_u32_e32 v0, 0x100, v0
	global_store_b8 v1, v2, s[2:3]
	s_or_b32 exec_lo, exec_lo, s5
	s_delay_alu instid0(SALU_CYCLE_1)
	s_mov_b32 s5, exec_lo
	v_cmpx_gt_i32_e64 s0, v0
	s_cbranch_execz .LBB129_7
.LBB129_24:
	v_dual_mov_b32 v2, s1 :: v_dual_add_nc_u32 v1, s4, v0
	v_add_nc_u32_e32 v0, 0x100, v0
	global_store_b8 v1, v2, s[2:3]
	s_or_b32 exec_lo, exec_lo, s5
	s_delay_alu instid0(SALU_CYCLE_1)
	s_mov_b32 s5, exec_lo
	v_cmpx_gt_i32_e64 s0, v0
	s_cbranch_execz .LBB129_8
.LBB129_25:
	v_dual_mov_b32 v2, s1 :: v_dual_add_nc_u32 v1, s4, v0
	v_add_nc_u32_e32 v0, 0x100, v0
	global_store_b8 v1, v2, s[2:3]
	s_or_b32 exec_lo, exec_lo, s5
	s_delay_alu instid0(SALU_CYCLE_1)
	s_mov_b32 s5, exec_lo
	v_cmpx_gt_i32_e64 s0, v0
	s_cbranch_execz .LBB129_9
.LBB129_26:
	v_dual_mov_b32 v2, s1 :: v_dual_add_nc_u32 v1, s4, v0
	v_add_nc_u32_e32 v0, 0x100, v0
	global_store_b8 v1, v2, s[2:3]
	s_or_b32 exec_lo, exec_lo, s5
	s_delay_alu instid0(SALU_CYCLE_1)
	s_mov_b32 s5, exec_lo
	v_cmpx_gt_i32_e64 s0, v0
	s_cbranch_execz .LBB129_10
.LBB129_27:
	v_dual_mov_b32 v2, s1 :: v_dual_add_nc_u32 v1, s4, v0
	v_add_nc_u32_e32 v0, 0x100, v0
	global_store_b8 v1, v2, s[2:3]
	s_or_b32 exec_lo, exec_lo, s5
	s_delay_alu instid0(SALU_CYCLE_1)
	s_mov_b32 s5, exec_lo
	v_cmpx_gt_i32_e64 s0, v0
	s_cbranch_execz .LBB129_11
.LBB129_28:
	v_dual_mov_b32 v2, s1 :: v_dual_add_nc_u32 v1, s4, v0
	v_add_nc_u32_e32 v0, 0x100, v0
	global_store_b8 v1, v2, s[2:3]
	s_or_b32 exec_lo, exec_lo, s5
	s_delay_alu instid0(SALU_CYCLE_1)
	s_mov_b32 s5, exec_lo
	v_cmpx_gt_i32_e64 s0, v0
	s_cbranch_execz .LBB129_12
.LBB129_29:
	v_dual_mov_b32 v2, s1 :: v_dual_add_nc_u32 v1, s4, v0
	v_add_nc_u32_e32 v0, 0x100, v0
	global_store_b8 v1, v2, s[2:3]
	s_or_b32 exec_lo, exec_lo, s5
	s_delay_alu instid0(SALU_CYCLE_1)
	s_mov_b32 s5, exec_lo
	v_cmpx_gt_i32_e64 s0, v0
	s_cbranch_execz .LBB129_13
.LBB129_30:
	v_dual_mov_b32 v2, s1 :: v_dual_add_nc_u32 v1, s4, v0
	v_add_nc_u32_e32 v0, 0x100, v0
	global_store_b8 v1, v2, s[2:3]
	s_or_b32 exec_lo, exec_lo, s5
	s_delay_alu instid0(SALU_CYCLE_1)
	s_mov_b32 s5, exec_lo
	v_cmpx_gt_i32_e64 s0, v0
	s_cbranch_execz .LBB129_14
.LBB129_31:
	v_dual_mov_b32 v2, s1 :: v_dual_add_nc_u32 v1, s4, v0
	v_add_nc_u32_e32 v0, 0x100, v0
	global_store_b8 v1, v2, s[2:3]
	s_or_b32 exec_lo, exec_lo, s5
	s_delay_alu instid0(SALU_CYCLE_1)
	s_mov_b32 s5, exec_lo
	v_cmpx_gt_i32_e64 s0, v0
	s_cbranch_execz .LBB129_15
.LBB129_32:
	v_dual_mov_b32 v2, s1 :: v_dual_add_nc_u32 v1, s4, v0
	v_add_nc_u32_e32 v0, 0x100, v0
	global_store_b8 v1, v2, s[2:3]
	s_or_b32 exec_lo, exec_lo, s5
	s_delay_alu instid0(SALU_CYCLE_1)
	s_mov_b32 s5, exec_lo
	v_cmpx_gt_i32_e64 s0, v0
	s_cbranch_execz .LBB129_16
.LBB129_33:
	v_dual_mov_b32 v2, s1 :: v_dual_add_nc_u32 v1, s4, v0
	v_add_nc_u32_e32 v0, 0x100, v0
	global_store_b8 v1, v2, s[2:3]
	s_or_b32 exec_lo, exec_lo, s5
	s_delay_alu instid0(SALU_CYCLE_1)
	s_mov_b32 s5, exec_lo
	v_cmpx_gt_i32_e64 s0, v0
	s_cbranch_execz .LBB129_17
.LBB129_34:
	v_dual_mov_b32 v2, s1 :: v_dual_add_nc_u32 v1, s4, v0
	v_add_nc_u32_e32 v0, 0x100, v0
	global_store_b8 v1, v2, s[2:3]
	s_or_b32 exec_lo, exec_lo, s5
	s_delay_alu instid0(SALU_CYCLE_1)
	s_mov_b32 s5, exec_lo
	v_cmpx_gt_i32_e64 s0, v0
	s_cbranch_execz .LBB129_18
.LBB129_35:
	v_dual_mov_b32 v2, s1 :: v_dual_add_nc_u32 v1, s4, v0
	v_add_nc_u32_e32 v0, 0x100, v0
	global_store_b8 v1, v2, s[2:3]
	s_or_b32 exec_lo, exec_lo, s5
	v_cmp_gt_i32_e32 vcc_lo, s0, v0
	s_and_saveexec_b32 s0, vcc_lo
	s_cbranch_execnz .LBB129_19
	s_branch .LBB129_20
	.section	.rodata,"a",@progbits
	.p2align	6, 0x0
	.amdhsa_kernel _ZN2at6native29vectorized_elementwise_kernelILi8ENS0_11FillFunctorIN3c1013Float8_e4m3fnEEESt5arrayIPcLm1EEEEviT0_T1_
		.amdhsa_group_segment_fixed_size 0
		.amdhsa_private_segment_fixed_size 0
		.amdhsa_kernarg_size 16
		.amdhsa_user_sgpr_count 15
		.amdhsa_user_sgpr_dispatch_ptr 0
		.amdhsa_user_sgpr_queue_ptr 0
		.amdhsa_user_sgpr_kernarg_segment_ptr 1
		.amdhsa_user_sgpr_dispatch_id 0
		.amdhsa_user_sgpr_private_segment_size 0
		.amdhsa_wavefront_size32 1
		.amdhsa_uses_dynamic_stack 0
		.amdhsa_enable_private_segment 0
		.amdhsa_system_sgpr_workgroup_id_x 1
		.amdhsa_system_sgpr_workgroup_id_y 0
		.amdhsa_system_sgpr_workgroup_id_z 0
		.amdhsa_system_sgpr_workgroup_info 0
		.amdhsa_system_vgpr_workitem_id 0
		.amdhsa_next_free_vgpr 4
		.amdhsa_next_free_sgpr 16
		.amdhsa_reserve_vcc 1
		.amdhsa_float_round_mode_32 0
		.amdhsa_float_round_mode_16_64 0
		.amdhsa_float_denorm_mode_32 3
		.amdhsa_float_denorm_mode_16_64 3
		.amdhsa_dx10_clamp 1
		.amdhsa_ieee_mode 1
		.amdhsa_fp16_overflow 0
		.amdhsa_workgroup_processor_mode 1
		.amdhsa_memory_ordered 1
		.amdhsa_forward_progress 0
		.amdhsa_shared_vgpr_count 0
		.amdhsa_exception_fp_ieee_invalid_op 0
		.amdhsa_exception_fp_denorm_src 0
		.amdhsa_exception_fp_ieee_div_zero 0
		.amdhsa_exception_fp_ieee_overflow 0
		.amdhsa_exception_fp_ieee_underflow 0
		.amdhsa_exception_fp_ieee_inexact 0
		.amdhsa_exception_int_div_zero 0
	.end_amdhsa_kernel
	.section	.text._ZN2at6native29vectorized_elementwise_kernelILi8ENS0_11FillFunctorIN3c1013Float8_e4m3fnEEESt5arrayIPcLm1EEEEviT0_T1_,"axG",@progbits,_ZN2at6native29vectorized_elementwise_kernelILi8ENS0_11FillFunctorIN3c1013Float8_e4m3fnEEESt5arrayIPcLm1EEEEviT0_T1_,comdat
.Lfunc_end129:
	.size	_ZN2at6native29vectorized_elementwise_kernelILi8ENS0_11FillFunctorIN3c1013Float8_e4m3fnEEESt5arrayIPcLm1EEEEviT0_T1_, .Lfunc_end129-_ZN2at6native29vectorized_elementwise_kernelILi8ENS0_11FillFunctorIN3c1013Float8_e4m3fnEEESt5arrayIPcLm1EEEEviT0_T1_
                                        ; -- End function
	.section	.AMDGPU.csdata,"",@progbits
; Kernel info:
; codeLenInByte = 1232
; NumSgprs: 18
; NumVgprs: 4
; ScratchSize: 0
; MemoryBound: 0
; FloatMode: 240
; IeeeMode: 1
; LDSByteSize: 0 bytes/workgroup (compile time only)
; SGPRBlocks: 2
; VGPRBlocks: 0
; NumSGPRsForWavesPerEU: 18
; NumVGPRsForWavesPerEU: 4
; Occupancy: 16
; WaveLimiterHint : 1
; COMPUTE_PGM_RSRC2:SCRATCH_EN: 0
; COMPUTE_PGM_RSRC2:USER_SGPR: 15
; COMPUTE_PGM_RSRC2:TRAP_HANDLER: 0
; COMPUTE_PGM_RSRC2:TGID_X_EN: 1
; COMPUTE_PGM_RSRC2:TGID_Y_EN: 0
; COMPUTE_PGM_RSRC2:TGID_Z_EN: 0
; COMPUTE_PGM_RSRC2:TIDIG_COMP_CNT: 0
	.section	.text._ZN2at6native29vectorized_elementwise_kernelILi4ENS0_11FillFunctorIN3c1013Float8_e4m3fnEEESt5arrayIPcLm1EEEEviT0_T1_,"axG",@progbits,_ZN2at6native29vectorized_elementwise_kernelILi4ENS0_11FillFunctorIN3c1013Float8_e4m3fnEEESt5arrayIPcLm1EEEEviT0_T1_,comdat
	.protected	_ZN2at6native29vectorized_elementwise_kernelILi4ENS0_11FillFunctorIN3c1013Float8_e4m3fnEEESt5arrayIPcLm1EEEEviT0_T1_ ; -- Begin function _ZN2at6native29vectorized_elementwise_kernelILi4ENS0_11FillFunctorIN3c1013Float8_e4m3fnEEESt5arrayIPcLm1EEEEviT0_T1_
	.globl	_ZN2at6native29vectorized_elementwise_kernelILi4ENS0_11FillFunctorIN3c1013Float8_e4m3fnEEESt5arrayIPcLm1EEEEviT0_T1_
	.p2align	8
	.type	_ZN2at6native29vectorized_elementwise_kernelILi4ENS0_11FillFunctorIN3c1013Float8_e4m3fnEEESt5arrayIPcLm1EEEEviT0_T1_,@function
_ZN2at6native29vectorized_elementwise_kernelILi4ENS0_11FillFunctorIN3c1013Float8_e4m3fnEEESt5arrayIPcLm1EEEEviT0_T1_: ; @_ZN2at6native29vectorized_elementwise_kernelILi4ENS0_11FillFunctorIN3c1013Float8_e4m3fnEEESt5arrayIPcLm1EEEEviT0_T1_
; %bb.0:
	s_load_b128 s[0:3], s[0:1], 0x0
	s_lshl_b32 s4, s15, 12
	s_mov_b32 s5, -1
	s_waitcnt lgkmcnt(0)
	s_sub_i32 s0, s0, s4
	s_delay_alu instid0(SALU_CYCLE_1)
	s_cmpk_gt_i32 s0, 0xfff
	s_cbranch_scc0 .LBB130_2
; %bb.1:
	s_ashr_i32 s5, s4, 31
	s_add_u32 s6, s2, s4
	s_addc_u32 s7, s3, s5
	s_and_b32 s5, s1, 0xff
	s_delay_alu instid0(SALU_CYCLE_1) | instskip(NEXT) | instid1(SALU_CYCLE_1)
	s_mul_i32 s5, s5, 0x1010101
	v_dual_mov_b32 v2, s5 :: v_dual_lshlrev_b32 v1, 2, v0
	s_mov_b32 s5, 0
	s_clause 0x3
	global_store_b32 v1, v2, s[6:7]
	global_store_b32 v1, v2, s[6:7] offset:1024
	global_store_b32 v1, v2, s[6:7] offset:2048
	;; [unrolled: 1-line block ×3, first 2 shown]
.LBB130_2:
	s_and_not1_b32 vcc_lo, exec_lo, s5
	s_cbranch_vccnz .LBB130_20
; %bb.3:
	s_mov_b32 s5, exec_lo
	v_cmpx_gt_i32_e64 s0, v0
	s_cbranch_execnz .LBB130_21
; %bb.4:
	s_or_b32 exec_lo, exec_lo, s5
	s_delay_alu instid0(SALU_CYCLE_1)
	s_mov_b32 s5, exec_lo
	v_cmpx_gt_i32_e64 s0, v0
	s_cbranch_execnz .LBB130_22
.LBB130_5:
	s_or_b32 exec_lo, exec_lo, s5
	s_delay_alu instid0(SALU_CYCLE_1)
	s_mov_b32 s5, exec_lo
	v_cmpx_gt_i32_e64 s0, v0
	s_cbranch_execnz .LBB130_23
.LBB130_6:
	s_or_b32 exec_lo, exec_lo, s5
	s_delay_alu instid0(SALU_CYCLE_1)
	s_mov_b32 s5, exec_lo
	v_cmpx_gt_i32_e64 s0, v0
	s_cbranch_execnz .LBB130_24
.LBB130_7:
	s_or_b32 exec_lo, exec_lo, s5
	s_delay_alu instid0(SALU_CYCLE_1)
	s_mov_b32 s5, exec_lo
	v_cmpx_gt_i32_e64 s0, v0
	s_cbranch_execnz .LBB130_25
.LBB130_8:
	s_or_b32 exec_lo, exec_lo, s5
	s_delay_alu instid0(SALU_CYCLE_1)
	s_mov_b32 s5, exec_lo
	v_cmpx_gt_i32_e64 s0, v0
	s_cbranch_execnz .LBB130_26
.LBB130_9:
	s_or_b32 exec_lo, exec_lo, s5
	s_delay_alu instid0(SALU_CYCLE_1)
	s_mov_b32 s5, exec_lo
	v_cmpx_gt_i32_e64 s0, v0
	s_cbranch_execnz .LBB130_27
.LBB130_10:
	s_or_b32 exec_lo, exec_lo, s5
	s_delay_alu instid0(SALU_CYCLE_1)
	s_mov_b32 s5, exec_lo
	v_cmpx_gt_i32_e64 s0, v0
	s_cbranch_execnz .LBB130_28
.LBB130_11:
	s_or_b32 exec_lo, exec_lo, s5
	s_delay_alu instid0(SALU_CYCLE_1)
	s_mov_b32 s5, exec_lo
	v_cmpx_gt_i32_e64 s0, v0
	s_cbranch_execnz .LBB130_29
.LBB130_12:
	s_or_b32 exec_lo, exec_lo, s5
	s_delay_alu instid0(SALU_CYCLE_1)
	s_mov_b32 s5, exec_lo
	v_cmpx_gt_i32_e64 s0, v0
	s_cbranch_execnz .LBB130_30
.LBB130_13:
	s_or_b32 exec_lo, exec_lo, s5
	s_delay_alu instid0(SALU_CYCLE_1)
	s_mov_b32 s5, exec_lo
	v_cmpx_gt_i32_e64 s0, v0
	s_cbranch_execnz .LBB130_31
.LBB130_14:
	s_or_b32 exec_lo, exec_lo, s5
	s_delay_alu instid0(SALU_CYCLE_1)
	s_mov_b32 s5, exec_lo
	v_cmpx_gt_i32_e64 s0, v0
	s_cbranch_execnz .LBB130_32
.LBB130_15:
	s_or_b32 exec_lo, exec_lo, s5
	s_delay_alu instid0(SALU_CYCLE_1)
	s_mov_b32 s5, exec_lo
	v_cmpx_gt_i32_e64 s0, v0
	s_cbranch_execnz .LBB130_33
.LBB130_16:
	s_or_b32 exec_lo, exec_lo, s5
	s_delay_alu instid0(SALU_CYCLE_1)
	s_mov_b32 s5, exec_lo
	v_cmpx_gt_i32_e64 s0, v0
	s_cbranch_execnz .LBB130_34
.LBB130_17:
	s_or_b32 exec_lo, exec_lo, s5
	s_delay_alu instid0(SALU_CYCLE_1)
	s_mov_b32 s5, exec_lo
	v_cmpx_gt_i32_e64 s0, v0
	s_cbranch_execnz .LBB130_35
.LBB130_18:
	s_or_b32 exec_lo, exec_lo, s5
	v_cmp_gt_i32_e32 vcc_lo, s0, v0
	s_and_saveexec_b32 s0, vcc_lo
	s_cbranch_execz .LBB130_20
.LBB130_19:
	v_dual_mov_b32 v1, s1 :: v_dual_add_nc_u32 v0, s4, v0
	global_store_b8 v0, v1, s[2:3]
.LBB130_20:
	s_nop 0
	s_sendmsg sendmsg(MSG_DEALLOC_VGPRS)
	s_endpgm
.LBB130_21:
	v_or_b32_e32 v1, 0x100, v0
	v_or_b32_e32 v2, s4, v0
	s_delay_alu instid0(VALU_DEP_2) | instskip(SKIP_2) | instid1(SALU_CYCLE_1)
	v_dual_mov_b32 v3, s1 :: v_dual_mov_b32 v0, v1
	global_store_b8 v2, v3, s[2:3]
	s_or_b32 exec_lo, exec_lo, s5
	s_mov_b32 s5, exec_lo
	v_cmpx_gt_i32_e64 s0, v0
	s_cbranch_execz .LBB130_5
.LBB130_22:
	v_dual_mov_b32 v2, s1 :: v_dual_add_nc_u32 v1, s4, v0
	v_add_nc_u32_e32 v0, 0x100, v0
	global_store_b8 v1, v2, s[2:3]
	s_or_b32 exec_lo, exec_lo, s5
	s_delay_alu instid0(SALU_CYCLE_1)
	s_mov_b32 s5, exec_lo
	v_cmpx_gt_i32_e64 s0, v0
	s_cbranch_execz .LBB130_6
.LBB130_23:
	v_dual_mov_b32 v2, s1 :: v_dual_add_nc_u32 v1, s4, v0
	v_add_nc_u32_e32 v0, 0x100, v0
	global_store_b8 v1, v2, s[2:3]
	s_or_b32 exec_lo, exec_lo, s5
	s_delay_alu instid0(SALU_CYCLE_1)
	s_mov_b32 s5, exec_lo
	v_cmpx_gt_i32_e64 s0, v0
	s_cbranch_execz .LBB130_7
.LBB130_24:
	v_dual_mov_b32 v2, s1 :: v_dual_add_nc_u32 v1, s4, v0
	v_add_nc_u32_e32 v0, 0x100, v0
	global_store_b8 v1, v2, s[2:3]
	s_or_b32 exec_lo, exec_lo, s5
	s_delay_alu instid0(SALU_CYCLE_1)
	s_mov_b32 s5, exec_lo
	v_cmpx_gt_i32_e64 s0, v0
	s_cbranch_execz .LBB130_8
.LBB130_25:
	v_dual_mov_b32 v2, s1 :: v_dual_add_nc_u32 v1, s4, v0
	v_add_nc_u32_e32 v0, 0x100, v0
	global_store_b8 v1, v2, s[2:3]
	s_or_b32 exec_lo, exec_lo, s5
	s_delay_alu instid0(SALU_CYCLE_1)
	s_mov_b32 s5, exec_lo
	v_cmpx_gt_i32_e64 s0, v0
	s_cbranch_execz .LBB130_9
.LBB130_26:
	v_dual_mov_b32 v2, s1 :: v_dual_add_nc_u32 v1, s4, v0
	v_add_nc_u32_e32 v0, 0x100, v0
	global_store_b8 v1, v2, s[2:3]
	s_or_b32 exec_lo, exec_lo, s5
	s_delay_alu instid0(SALU_CYCLE_1)
	s_mov_b32 s5, exec_lo
	v_cmpx_gt_i32_e64 s0, v0
	s_cbranch_execz .LBB130_10
.LBB130_27:
	v_dual_mov_b32 v2, s1 :: v_dual_add_nc_u32 v1, s4, v0
	v_add_nc_u32_e32 v0, 0x100, v0
	global_store_b8 v1, v2, s[2:3]
	s_or_b32 exec_lo, exec_lo, s5
	s_delay_alu instid0(SALU_CYCLE_1)
	s_mov_b32 s5, exec_lo
	v_cmpx_gt_i32_e64 s0, v0
	s_cbranch_execz .LBB130_11
.LBB130_28:
	v_dual_mov_b32 v2, s1 :: v_dual_add_nc_u32 v1, s4, v0
	v_add_nc_u32_e32 v0, 0x100, v0
	global_store_b8 v1, v2, s[2:3]
	s_or_b32 exec_lo, exec_lo, s5
	s_delay_alu instid0(SALU_CYCLE_1)
	s_mov_b32 s5, exec_lo
	v_cmpx_gt_i32_e64 s0, v0
	s_cbranch_execz .LBB130_12
.LBB130_29:
	v_dual_mov_b32 v2, s1 :: v_dual_add_nc_u32 v1, s4, v0
	v_add_nc_u32_e32 v0, 0x100, v0
	global_store_b8 v1, v2, s[2:3]
	s_or_b32 exec_lo, exec_lo, s5
	s_delay_alu instid0(SALU_CYCLE_1)
	s_mov_b32 s5, exec_lo
	v_cmpx_gt_i32_e64 s0, v0
	s_cbranch_execz .LBB130_13
.LBB130_30:
	v_dual_mov_b32 v2, s1 :: v_dual_add_nc_u32 v1, s4, v0
	v_add_nc_u32_e32 v0, 0x100, v0
	global_store_b8 v1, v2, s[2:3]
	s_or_b32 exec_lo, exec_lo, s5
	s_delay_alu instid0(SALU_CYCLE_1)
	s_mov_b32 s5, exec_lo
	v_cmpx_gt_i32_e64 s0, v0
	s_cbranch_execz .LBB130_14
.LBB130_31:
	v_dual_mov_b32 v2, s1 :: v_dual_add_nc_u32 v1, s4, v0
	v_add_nc_u32_e32 v0, 0x100, v0
	global_store_b8 v1, v2, s[2:3]
	s_or_b32 exec_lo, exec_lo, s5
	s_delay_alu instid0(SALU_CYCLE_1)
	s_mov_b32 s5, exec_lo
	v_cmpx_gt_i32_e64 s0, v0
	s_cbranch_execz .LBB130_15
.LBB130_32:
	v_dual_mov_b32 v2, s1 :: v_dual_add_nc_u32 v1, s4, v0
	v_add_nc_u32_e32 v0, 0x100, v0
	global_store_b8 v1, v2, s[2:3]
	s_or_b32 exec_lo, exec_lo, s5
	s_delay_alu instid0(SALU_CYCLE_1)
	s_mov_b32 s5, exec_lo
	v_cmpx_gt_i32_e64 s0, v0
	s_cbranch_execz .LBB130_16
.LBB130_33:
	v_dual_mov_b32 v2, s1 :: v_dual_add_nc_u32 v1, s4, v0
	v_add_nc_u32_e32 v0, 0x100, v0
	global_store_b8 v1, v2, s[2:3]
	s_or_b32 exec_lo, exec_lo, s5
	s_delay_alu instid0(SALU_CYCLE_1)
	s_mov_b32 s5, exec_lo
	v_cmpx_gt_i32_e64 s0, v0
	s_cbranch_execz .LBB130_17
.LBB130_34:
	v_dual_mov_b32 v2, s1 :: v_dual_add_nc_u32 v1, s4, v0
	v_add_nc_u32_e32 v0, 0x100, v0
	global_store_b8 v1, v2, s[2:3]
	s_or_b32 exec_lo, exec_lo, s5
	s_delay_alu instid0(SALU_CYCLE_1)
	s_mov_b32 s5, exec_lo
	v_cmpx_gt_i32_e64 s0, v0
	s_cbranch_execz .LBB130_18
.LBB130_35:
	v_dual_mov_b32 v2, s1 :: v_dual_add_nc_u32 v1, s4, v0
	v_add_nc_u32_e32 v0, 0x100, v0
	global_store_b8 v1, v2, s[2:3]
	s_or_b32 exec_lo, exec_lo, s5
	v_cmp_gt_i32_e32 vcc_lo, s0, v0
	s_and_saveexec_b32 s0, vcc_lo
	s_cbranch_execnz .LBB130_19
	s_branch .LBB130_20
	.section	.rodata,"a",@progbits
	.p2align	6, 0x0
	.amdhsa_kernel _ZN2at6native29vectorized_elementwise_kernelILi4ENS0_11FillFunctorIN3c1013Float8_e4m3fnEEESt5arrayIPcLm1EEEEviT0_T1_
		.amdhsa_group_segment_fixed_size 0
		.amdhsa_private_segment_fixed_size 0
		.amdhsa_kernarg_size 16
		.amdhsa_user_sgpr_count 15
		.amdhsa_user_sgpr_dispatch_ptr 0
		.amdhsa_user_sgpr_queue_ptr 0
		.amdhsa_user_sgpr_kernarg_segment_ptr 1
		.amdhsa_user_sgpr_dispatch_id 0
		.amdhsa_user_sgpr_private_segment_size 0
		.amdhsa_wavefront_size32 1
		.amdhsa_uses_dynamic_stack 0
		.amdhsa_enable_private_segment 0
		.amdhsa_system_sgpr_workgroup_id_x 1
		.amdhsa_system_sgpr_workgroup_id_y 0
		.amdhsa_system_sgpr_workgroup_id_z 0
		.amdhsa_system_sgpr_workgroup_info 0
		.amdhsa_system_vgpr_workitem_id 0
		.amdhsa_next_free_vgpr 4
		.amdhsa_next_free_sgpr 16
		.amdhsa_reserve_vcc 1
		.amdhsa_float_round_mode_32 0
		.amdhsa_float_round_mode_16_64 0
		.amdhsa_float_denorm_mode_32 3
		.amdhsa_float_denorm_mode_16_64 3
		.amdhsa_dx10_clamp 1
		.amdhsa_ieee_mode 1
		.amdhsa_fp16_overflow 0
		.amdhsa_workgroup_processor_mode 1
		.amdhsa_memory_ordered 1
		.amdhsa_forward_progress 0
		.amdhsa_shared_vgpr_count 0
		.amdhsa_exception_fp_ieee_invalid_op 0
		.amdhsa_exception_fp_denorm_src 0
		.amdhsa_exception_fp_ieee_div_zero 0
		.amdhsa_exception_fp_ieee_overflow 0
		.amdhsa_exception_fp_ieee_underflow 0
		.amdhsa_exception_fp_ieee_inexact 0
		.amdhsa_exception_int_div_zero 0
	.end_amdhsa_kernel
	.section	.text._ZN2at6native29vectorized_elementwise_kernelILi4ENS0_11FillFunctorIN3c1013Float8_e4m3fnEEESt5arrayIPcLm1EEEEviT0_T1_,"axG",@progbits,_ZN2at6native29vectorized_elementwise_kernelILi4ENS0_11FillFunctorIN3c1013Float8_e4m3fnEEESt5arrayIPcLm1EEEEviT0_T1_,comdat
.Lfunc_end130:
	.size	_ZN2at6native29vectorized_elementwise_kernelILi4ENS0_11FillFunctorIN3c1013Float8_e4m3fnEEESt5arrayIPcLm1EEEEviT0_T1_, .Lfunc_end130-_ZN2at6native29vectorized_elementwise_kernelILi4ENS0_11FillFunctorIN3c1013Float8_e4m3fnEEESt5arrayIPcLm1EEEEviT0_T1_
                                        ; -- End function
	.section	.AMDGPU.csdata,"",@progbits
; Kernel info:
; codeLenInByte = 1240
; NumSgprs: 18
; NumVgprs: 4
; ScratchSize: 0
; MemoryBound: 0
; FloatMode: 240
; IeeeMode: 1
; LDSByteSize: 0 bytes/workgroup (compile time only)
; SGPRBlocks: 2
; VGPRBlocks: 0
; NumSGPRsForWavesPerEU: 18
; NumVGPRsForWavesPerEU: 4
; Occupancy: 16
; WaveLimiterHint : 1
; COMPUTE_PGM_RSRC2:SCRATCH_EN: 0
; COMPUTE_PGM_RSRC2:USER_SGPR: 15
; COMPUTE_PGM_RSRC2:TRAP_HANDLER: 0
; COMPUTE_PGM_RSRC2:TGID_X_EN: 1
; COMPUTE_PGM_RSRC2:TGID_Y_EN: 0
; COMPUTE_PGM_RSRC2:TGID_Z_EN: 0
; COMPUTE_PGM_RSRC2:TIDIG_COMP_CNT: 0
	.section	.text._ZN2at6native29vectorized_elementwise_kernelILi2ENS0_11FillFunctorIN3c1013Float8_e4m3fnEEESt5arrayIPcLm1EEEEviT0_T1_,"axG",@progbits,_ZN2at6native29vectorized_elementwise_kernelILi2ENS0_11FillFunctorIN3c1013Float8_e4m3fnEEESt5arrayIPcLm1EEEEviT0_T1_,comdat
	.protected	_ZN2at6native29vectorized_elementwise_kernelILi2ENS0_11FillFunctorIN3c1013Float8_e4m3fnEEESt5arrayIPcLm1EEEEviT0_T1_ ; -- Begin function _ZN2at6native29vectorized_elementwise_kernelILi2ENS0_11FillFunctorIN3c1013Float8_e4m3fnEEESt5arrayIPcLm1EEEEviT0_T1_
	.globl	_ZN2at6native29vectorized_elementwise_kernelILi2ENS0_11FillFunctorIN3c1013Float8_e4m3fnEEESt5arrayIPcLm1EEEEviT0_T1_
	.p2align	8
	.type	_ZN2at6native29vectorized_elementwise_kernelILi2ENS0_11FillFunctorIN3c1013Float8_e4m3fnEEESt5arrayIPcLm1EEEEviT0_T1_,@function
_ZN2at6native29vectorized_elementwise_kernelILi2ENS0_11FillFunctorIN3c1013Float8_e4m3fnEEESt5arrayIPcLm1EEEEviT0_T1_: ; @_ZN2at6native29vectorized_elementwise_kernelILi2ENS0_11FillFunctorIN3c1013Float8_e4m3fnEEESt5arrayIPcLm1EEEEviT0_T1_
; %bb.0:
	s_load_b128 s[0:3], s[0:1], 0x0
	s_lshl_b32 s4, s15, 12
	s_mov_b32 s5, -1
	s_waitcnt lgkmcnt(0)
	s_sub_i32 s0, s0, s4
	s_delay_alu instid0(SALU_CYCLE_1)
	s_cmpk_gt_i32 s0, 0xfff
	s_cbranch_scc0 .LBB131_2
; %bb.1:
	v_and_b32_e64 v1, 0xff, s1
	v_lshlrev_b32_e32 v2, 1, v0
	s_ashr_i32 s5, s4, 31
	s_add_u32 s6, s2, s4
	s_addc_u32 s7, s3, s5
	v_mul_lo_u16 v1, 0x101, v1
	s_mov_b32 s5, 0
	s_clause 0x7
	global_store_b16 v2, v1, s[6:7]
	global_store_b16 v2, v1, s[6:7] offset:512
	global_store_b16 v2, v1, s[6:7] offset:1024
	;; [unrolled: 1-line block ×7, first 2 shown]
.LBB131_2:
	s_and_not1_b32 vcc_lo, exec_lo, s5
	s_cbranch_vccnz .LBB131_20
; %bb.3:
	s_mov_b32 s5, exec_lo
	v_cmpx_gt_i32_e64 s0, v0
	s_cbranch_execnz .LBB131_21
; %bb.4:
	s_or_b32 exec_lo, exec_lo, s5
	s_delay_alu instid0(SALU_CYCLE_1)
	s_mov_b32 s5, exec_lo
	v_cmpx_gt_i32_e64 s0, v0
	s_cbranch_execnz .LBB131_22
.LBB131_5:
	s_or_b32 exec_lo, exec_lo, s5
	s_delay_alu instid0(SALU_CYCLE_1)
	s_mov_b32 s5, exec_lo
	v_cmpx_gt_i32_e64 s0, v0
	s_cbranch_execnz .LBB131_23
.LBB131_6:
	s_or_b32 exec_lo, exec_lo, s5
	s_delay_alu instid0(SALU_CYCLE_1)
	s_mov_b32 s5, exec_lo
	v_cmpx_gt_i32_e64 s0, v0
	s_cbranch_execnz .LBB131_24
.LBB131_7:
	s_or_b32 exec_lo, exec_lo, s5
	s_delay_alu instid0(SALU_CYCLE_1)
	s_mov_b32 s5, exec_lo
	v_cmpx_gt_i32_e64 s0, v0
	s_cbranch_execnz .LBB131_25
.LBB131_8:
	s_or_b32 exec_lo, exec_lo, s5
	s_delay_alu instid0(SALU_CYCLE_1)
	s_mov_b32 s5, exec_lo
	v_cmpx_gt_i32_e64 s0, v0
	s_cbranch_execnz .LBB131_26
.LBB131_9:
	s_or_b32 exec_lo, exec_lo, s5
	s_delay_alu instid0(SALU_CYCLE_1)
	s_mov_b32 s5, exec_lo
	v_cmpx_gt_i32_e64 s0, v0
	s_cbranch_execnz .LBB131_27
.LBB131_10:
	s_or_b32 exec_lo, exec_lo, s5
	s_delay_alu instid0(SALU_CYCLE_1)
	s_mov_b32 s5, exec_lo
	v_cmpx_gt_i32_e64 s0, v0
	s_cbranch_execnz .LBB131_28
.LBB131_11:
	s_or_b32 exec_lo, exec_lo, s5
	s_delay_alu instid0(SALU_CYCLE_1)
	s_mov_b32 s5, exec_lo
	v_cmpx_gt_i32_e64 s0, v0
	s_cbranch_execnz .LBB131_29
.LBB131_12:
	s_or_b32 exec_lo, exec_lo, s5
	s_delay_alu instid0(SALU_CYCLE_1)
	s_mov_b32 s5, exec_lo
	v_cmpx_gt_i32_e64 s0, v0
	s_cbranch_execnz .LBB131_30
.LBB131_13:
	s_or_b32 exec_lo, exec_lo, s5
	s_delay_alu instid0(SALU_CYCLE_1)
	s_mov_b32 s5, exec_lo
	v_cmpx_gt_i32_e64 s0, v0
	s_cbranch_execnz .LBB131_31
.LBB131_14:
	s_or_b32 exec_lo, exec_lo, s5
	s_delay_alu instid0(SALU_CYCLE_1)
	s_mov_b32 s5, exec_lo
	v_cmpx_gt_i32_e64 s0, v0
	s_cbranch_execnz .LBB131_32
.LBB131_15:
	s_or_b32 exec_lo, exec_lo, s5
	s_delay_alu instid0(SALU_CYCLE_1)
	s_mov_b32 s5, exec_lo
	v_cmpx_gt_i32_e64 s0, v0
	s_cbranch_execnz .LBB131_33
.LBB131_16:
	s_or_b32 exec_lo, exec_lo, s5
	s_delay_alu instid0(SALU_CYCLE_1)
	s_mov_b32 s5, exec_lo
	v_cmpx_gt_i32_e64 s0, v0
	s_cbranch_execnz .LBB131_34
.LBB131_17:
	s_or_b32 exec_lo, exec_lo, s5
	s_delay_alu instid0(SALU_CYCLE_1)
	s_mov_b32 s5, exec_lo
	v_cmpx_gt_i32_e64 s0, v0
	s_cbranch_execnz .LBB131_35
.LBB131_18:
	s_or_b32 exec_lo, exec_lo, s5
	v_cmp_gt_i32_e32 vcc_lo, s0, v0
	s_and_saveexec_b32 s0, vcc_lo
	s_cbranch_execz .LBB131_20
.LBB131_19:
	v_dual_mov_b32 v1, s1 :: v_dual_add_nc_u32 v0, s4, v0
	global_store_b8 v0, v1, s[2:3]
.LBB131_20:
	s_nop 0
	s_sendmsg sendmsg(MSG_DEALLOC_VGPRS)
	s_endpgm
.LBB131_21:
	v_or_b32_e32 v1, 0x100, v0
	v_or_b32_e32 v2, s4, v0
	s_delay_alu instid0(VALU_DEP_2) | instskip(SKIP_2) | instid1(SALU_CYCLE_1)
	v_dual_mov_b32 v3, s1 :: v_dual_mov_b32 v0, v1
	global_store_b8 v2, v3, s[2:3]
	s_or_b32 exec_lo, exec_lo, s5
	s_mov_b32 s5, exec_lo
	v_cmpx_gt_i32_e64 s0, v0
	s_cbranch_execz .LBB131_5
.LBB131_22:
	v_dual_mov_b32 v2, s1 :: v_dual_add_nc_u32 v1, s4, v0
	v_add_nc_u32_e32 v0, 0x100, v0
	global_store_b8 v1, v2, s[2:3]
	s_or_b32 exec_lo, exec_lo, s5
	s_delay_alu instid0(SALU_CYCLE_1)
	s_mov_b32 s5, exec_lo
	v_cmpx_gt_i32_e64 s0, v0
	s_cbranch_execz .LBB131_6
.LBB131_23:
	v_dual_mov_b32 v2, s1 :: v_dual_add_nc_u32 v1, s4, v0
	v_add_nc_u32_e32 v0, 0x100, v0
	global_store_b8 v1, v2, s[2:3]
	s_or_b32 exec_lo, exec_lo, s5
	s_delay_alu instid0(SALU_CYCLE_1)
	s_mov_b32 s5, exec_lo
	v_cmpx_gt_i32_e64 s0, v0
	s_cbranch_execz .LBB131_7
.LBB131_24:
	v_dual_mov_b32 v2, s1 :: v_dual_add_nc_u32 v1, s4, v0
	v_add_nc_u32_e32 v0, 0x100, v0
	global_store_b8 v1, v2, s[2:3]
	s_or_b32 exec_lo, exec_lo, s5
	s_delay_alu instid0(SALU_CYCLE_1)
	s_mov_b32 s5, exec_lo
	v_cmpx_gt_i32_e64 s0, v0
	s_cbranch_execz .LBB131_8
.LBB131_25:
	v_dual_mov_b32 v2, s1 :: v_dual_add_nc_u32 v1, s4, v0
	v_add_nc_u32_e32 v0, 0x100, v0
	global_store_b8 v1, v2, s[2:3]
	s_or_b32 exec_lo, exec_lo, s5
	s_delay_alu instid0(SALU_CYCLE_1)
	s_mov_b32 s5, exec_lo
	v_cmpx_gt_i32_e64 s0, v0
	s_cbranch_execz .LBB131_9
.LBB131_26:
	v_dual_mov_b32 v2, s1 :: v_dual_add_nc_u32 v1, s4, v0
	v_add_nc_u32_e32 v0, 0x100, v0
	global_store_b8 v1, v2, s[2:3]
	s_or_b32 exec_lo, exec_lo, s5
	s_delay_alu instid0(SALU_CYCLE_1)
	s_mov_b32 s5, exec_lo
	v_cmpx_gt_i32_e64 s0, v0
	s_cbranch_execz .LBB131_10
.LBB131_27:
	v_dual_mov_b32 v2, s1 :: v_dual_add_nc_u32 v1, s4, v0
	v_add_nc_u32_e32 v0, 0x100, v0
	global_store_b8 v1, v2, s[2:3]
	s_or_b32 exec_lo, exec_lo, s5
	s_delay_alu instid0(SALU_CYCLE_1)
	s_mov_b32 s5, exec_lo
	v_cmpx_gt_i32_e64 s0, v0
	s_cbranch_execz .LBB131_11
.LBB131_28:
	v_dual_mov_b32 v2, s1 :: v_dual_add_nc_u32 v1, s4, v0
	v_add_nc_u32_e32 v0, 0x100, v0
	global_store_b8 v1, v2, s[2:3]
	s_or_b32 exec_lo, exec_lo, s5
	s_delay_alu instid0(SALU_CYCLE_1)
	s_mov_b32 s5, exec_lo
	v_cmpx_gt_i32_e64 s0, v0
	s_cbranch_execz .LBB131_12
.LBB131_29:
	v_dual_mov_b32 v2, s1 :: v_dual_add_nc_u32 v1, s4, v0
	v_add_nc_u32_e32 v0, 0x100, v0
	global_store_b8 v1, v2, s[2:3]
	s_or_b32 exec_lo, exec_lo, s5
	s_delay_alu instid0(SALU_CYCLE_1)
	s_mov_b32 s5, exec_lo
	v_cmpx_gt_i32_e64 s0, v0
	s_cbranch_execz .LBB131_13
.LBB131_30:
	v_dual_mov_b32 v2, s1 :: v_dual_add_nc_u32 v1, s4, v0
	v_add_nc_u32_e32 v0, 0x100, v0
	global_store_b8 v1, v2, s[2:3]
	s_or_b32 exec_lo, exec_lo, s5
	s_delay_alu instid0(SALU_CYCLE_1)
	s_mov_b32 s5, exec_lo
	v_cmpx_gt_i32_e64 s0, v0
	s_cbranch_execz .LBB131_14
.LBB131_31:
	v_dual_mov_b32 v2, s1 :: v_dual_add_nc_u32 v1, s4, v0
	v_add_nc_u32_e32 v0, 0x100, v0
	global_store_b8 v1, v2, s[2:3]
	s_or_b32 exec_lo, exec_lo, s5
	s_delay_alu instid0(SALU_CYCLE_1)
	s_mov_b32 s5, exec_lo
	v_cmpx_gt_i32_e64 s0, v0
	s_cbranch_execz .LBB131_15
.LBB131_32:
	v_dual_mov_b32 v2, s1 :: v_dual_add_nc_u32 v1, s4, v0
	v_add_nc_u32_e32 v0, 0x100, v0
	global_store_b8 v1, v2, s[2:3]
	s_or_b32 exec_lo, exec_lo, s5
	s_delay_alu instid0(SALU_CYCLE_1)
	s_mov_b32 s5, exec_lo
	v_cmpx_gt_i32_e64 s0, v0
	s_cbranch_execz .LBB131_16
.LBB131_33:
	v_dual_mov_b32 v2, s1 :: v_dual_add_nc_u32 v1, s4, v0
	v_add_nc_u32_e32 v0, 0x100, v0
	global_store_b8 v1, v2, s[2:3]
	s_or_b32 exec_lo, exec_lo, s5
	s_delay_alu instid0(SALU_CYCLE_1)
	s_mov_b32 s5, exec_lo
	v_cmpx_gt_i32_e64 s0, v0
	s_cbranch_execz .LBB131_17
.LBB131_34:
	v_dual_mov_b32 v2, s1 :: v_dual_add_nc_u32 v1, s4, v0
	v_add_nc_u32_e32 v0, 0x100, v0
	global_store_b8 v1, v2, s[2:3]
	s_or_b32 exec_lo, exec_lo, s5
	s_delay_alu instid0(SALU_CYCLE_1)
	s_mov_b32 s5, exec_lo
	v_cmpx_gt_i32_e64 s0, v0
	s_cbranch_execz .LBB131_18
.LBB131_35:
	v_dual_mov_b32 v2, s1 :: v_dual_add_nc_u32 v1, s4, v0
	v_add_nc_u32_e32 v0, 0x100, v0
	global_store_b8 v1, v2, s[2:3]
	s_or_b32 exec_lo, exec_lo, s5
	v_cmp_gt_i32_e32 vcc_lo, s0, v0
	s_and_saveexec_b32 s0, vcc_lo
	s_cbranch_execnz .LBB131_19
	s_branch .LBB131_20
	.section	.rodata,"a",@progbits
	.p2align	6, 0x0
	.amdhsa_kernel _ZN2at6native29vectorized_elementwise_kernelILi2ENS0_11FillFunctorIN3c1013Float8_e4m3fnEEESt5arrayIPcLm1EEEEviT0_T1_
		.amdhsa_group_segment_fixed_size 0
		.amdhsa_private_segment_fixed_size 0
		.amdhsa_kernarg_size 16
		.amdhsa_user_sgpr_count 15
		.amdhsa_user_sgpr_dispatch_ptr 0
		.amdhsa_user_sgpr_queue_ptr 0
		.amdhsa_user_sgpr_kernarg_segment_ptr 1
		.amdhsa_user_sgpr_dispatch_id 0
		.amdhsa_user_sgpr_private_segment_size 0
		.amdhsa_wavefront_size32 1
		.amdhsa_uses_dynamic_stack 0
		.amdhsa_enable_private_segment 0
		.amdhsa_system_sgpr_workgroup_id_x 1
		.amdhsa_system_sgpr_workgroup_id_y 0
		.amdhsa_system_sgpr_workgroup_id_z 0
		.amdhsa_system_sgpr_workgroup_info 0
		.amdhsa_system_vgpr_workitem_id 0
		.amdhsa_next_free_vgpr 4
		.amdhsa_next_free_sgpr 16
		.amdhsa_reserve_vcc 1
		.amdhsa_float_round_mode_32 0
		.amdhsa_float_round_mode_16_64 0
		.amdhsa_float_denorm_mode_32 3
		.amdhsa_float_denorm_mode_16_64 3
		.amdhsa_dx10_clamp 1
		.amdhsa_ieee_mode 1
		.amdhsa_fp16_overflow 0
		.amdhsa_workgroup_processor_mode 1
		.amdhsa_memory_ordered 1
		.amdhsa_forward_progress 0
		.amdhsa_shared_vgpr_count 0
		.amdhsa_exception_fp_ieee_invalid_op 0
		.amdhsa_exception_fp_denorm_src 0
		.amdhsa_exception_fp_ieee_div_zero 0
		.amdhsa_exception_fp_ieee_overflow 0
		.amdhsa_exception_fp_ieee_underflow 0
		.amdhsa_exception_fp_ieee_inexact 0
		.amdhsa_exception_int_div_zero 0
	.end_amdhsa_kernel
	.section	.text._ZN2at6native29vectorized_elementwise_kernelILi2ENS0_11FillFunctorIN3c1013Float8_e4m3fnEEESt5arrayIPcLm1EEEEviT0_T1_,"axG",@progbits,_ZN2at6native29vectorized_elementwise_kernelILi2ENS0_11FillFunctorIN3c1013Float8_e4m3fnEEESt5arrayIPcLm1EEEEviT0_T1_,comdat
.Lfunc_end131:
	.size	_ZN2at6native29vectorized_elementwise_kernelILi2ENS0_11FillFunctorIN3c1013Float8_e4m3fnEEESt5arrayIPcLm1EEEEviT0_T1_, .Lfunc_end131-_ZN2at6native29vectorized_elementwise_kernelILi2ENS0_11FillFunctorIN3c1013Float8_e4m3fnEEESt5arrayIPcLm1EEEEviT0_T1_
                                        ; -- End function
	.section	.AMDGPU.csdata,"",@progbits
; Kernel info:
; codeLenInByte = 1272
; NumSgprs: 18
; NumVgprs: 4
; ScratchSize: 0
; MemoryBound: 0
; FloatMode: 240
; IeeeMode: 1
; LDSByteSize: 0 bytes/workgroup (compile time only)
; SGPRBlocks: 2
; VGPRBlocks: 0
; NumSGPRsForWavesPerEU: 18
; NumVGPRsForWavesPerEU: 4
; Occupancy: 16
; WaveLimiterHint : 1
; COMPUTE_PGM_RSRC2:SCRATCH_EN: 0
; COMPUTE_PGM_RSRC2:USER_SGPR: 15
; COMPUTE_PGM_RSRC2:TRAP_HANDLER: 0
; COMPUTE_PGM_RSRC2:TGID_X_EN: 1
; COMPUTE_PGM_RSRC2:TGID_Y_EN: 0
; COMPUTE_PGM_RSRC2:TGID_Z_EN: 0
; COMPUTE_PGM_RSRC2:TIDIG_COMP_CNT: 0
	.section	.text._ZN2at6native27unrolled_elementwise_kernelINS0_11FillFunctorIN3c1013Float8_e4m3fnEEESt5arrayIPcLm1EELi4E23TrivialOffsetCalculatorILi0EjES9_ILi1EjENS0_6memory15LoadWithoutCastENSC_16StoreWithoutCastEEEviT_T0_T2_T3_T4_T5_,"axG",@progbits,_ZN2at6native27unrolled_elementwise_kernelINS0_11FillFunctorIN3c1013Float8_e4m3fnEEESt5arrayIPcLm1EELi4E23TrivialOffsetCalculatorILi0EjES9_ILi1EjENS0_6memory15LoadWithoutCastENSC_16StoreWithoutCastEEEviT_T0_T2_T3_T4_T5_,comdat
	.protected	_ZN2at6native27unrolled_elementwise_kernelINS0_11FillFunctorIN3c1013Float8_e4m3fnEEESt5arrayIPcLm1EELi4E23TrivialOffsetCalculatorILi0EjES9_ILi1EjENS0_6memory15LoadWithoutCastENSC_16StoreWithoutCastEEEviT_T0_T2_T3_T4_T5_ ; -- Begin function _ZN2at6native27unrolled_elementwise_kernelINS0_11FillFunctorIN3c1013Float8_e4m3fnEEESt5arrayIPcLm1EELi4E23TrivialOffsetCalculatorILi0EjES9_ILi1EjENS0_6memory15LoadWithoutCastENSC_16StoreWithoutCastEEEviT_T0_T2_T3_T4_T5_
	.globl	_ZN2at6native27unrolled_elementwise_kernelINS0_11FillFunctorIN3c1013Float8_e4m3fnEEESt5arrayIPcLm1EELi4E23TrivialOffsetCalculatorILi0EjES9_ILi1EjENS0_6memory15LoadWithoutCastENSC_16StoreWithoutCastEEEviT_T0_T2_T3_T4_T5_
	.p2align	8
	.type	_ZN2at6native27unrolled_elementwise_kernelINS0_11FillFunctorIN3c1013Float8_e4m3fnEEESt5arrayIPcLm1EELi4E23TrivialOffsetCalculatorILi0EjES9_ILi1EjENS0_6memory15LoadWithoutCastENSC_16StoreWithoutCastEEEviT_T0_T2_T3_T4_T5_,@function
_ZN2at6native27unrolled_elementwise_kernelINS0_11FillFunctorIN3c1013Float8_e4m3fnEEESt5arrayIPcLm1EELi4E23TrivialOffsetCalculatorILi0EjES9_ILi1EjENS0_6memory15LoadWithoutCastENSC_16StoreWithoutCastEEEviT_T0_T2_T3_T4_T5_: ; @_ZN2at6native27unrolled_elementwise_kernelINS0_11FillFunctorIN3c1013Float8_e4m3fnEEESt5arrayIPcLm1EELi4E23TrivialOffsetCalculatorILi0EjES9_ILi1EjENS0_6memory15LoadWithoutCastENSC_16StoreWithoutCastEEEviT_T0_T2_T3_T4_T5_
; %bb.0:
	s_load_b128 s[0:3], s[0:1], 0x0
	s_lshl_b32 s4, s15, 10
	s_mov_b32 s5, exec_lo
	s_waitcnt lgkmcnt(0)
	s_sub_i32 s0, s0, s4
	s_delay_alu instid0(SALU_CYCLE_1)
	v_cmpx_gt_i32_e64 s0, v0
	s_cbranch_execnz .LBB132_5
; %bb.1:
	s_or_b32 exec_lo, exec_lo, s5
	s_delay_alu instid0(SALU_CYCLE_1)
	s_mov_b32 s5, exec_lo
	v_cmpx_gt_i32_e64 s0, v0
	s_cbranch_execnz .LBB132_6
.LBB132_2:
	s_or_b32 exec_lo, exec_lo, s5
	s_delay_alu instid0(SALU_CYCLE_1)
	s_mov_b32 s5, exec_lo
	v_cmpx_gt_i32_e64 s0, v0
	s_cbranch_execnz .LBB132_7
.LBB132_3:
	s_or_b32 exec_lo, exec_lo, s5
	v_cmp_gt_i32_e32 vcc_lo, s0, v0
	s_and_saveexec_b32 s0, vcc_lo
	s_cbranch_execnz .LBB132_8
.LBB132_4:
	s_nop 0
	s_sendmsg sendmsg(MSG_DEALLOC_VGPRS)
	s_endpgm
.LBB132_5:
	v_or_b32_e32 v1, s4, v0
	v_mov_b32_e32 v2, s1
	v_or_b32_e32 v0, 0x100, v0
	global_store_b8 v1, v2, s[2:3]
	s_or_b32 exec_lo, exec_lo, s5
	s_delay_alu instid0(SALU_CYCLE_1)
	s_mov_b32 s5, exec_lo
	v_cmpx_gt_i32_e64 s0, v0
	s_cbranch_execz .LBB132_2
.LBB132_6:
	v_add_nc_u32_e32 v1, 0x100, v0
	v_dual_mov_b32 v3, s1 :: v_dual_add_nc_u32 v2, s4, v0
	s_delay_alu instid0(VALU_DEP_2) | instskip(SKIP_2) | instid1(SALU_CYCLE_1)
	v_mov_b32_e32 v0, v1
	global_store_b8 v2, v3, s[2:3]
	s_or_b32 exec_lo, exec_lo, s5
	s_mov_b32 s5, exec_lo
	v_cmpx_gt_i32_e64 s0, v0
	s_cbranch_execz .LBB132_3
.LBB132_7:
	v_add_nc_u32_e32 v1, 0x100, v0
	v_dual_mov_b32 v3, s1 :: v_dual_add_nc_u32 v2, s4, v0
	s_delay_alu instid0(VALU_DEP_2)
	v_mov_b32_e32 v0, v1
	global_store_b8 v2, v3, s[2:3]
	s_or_b32 exec_lo, exec_lo, s5
	v_cmp_gt_i32_e32 vcc_lo, s0, v0
	s_and_saveexec_b32 s0, vcc_lo
	s_cbranch_execz .LBB132_4
.LBB132_8:
	v_dual_mov_b32 v1, s1 :: v_dual_add_nc_u32 v0, s4, v0
	global_store_b8 v0, v1, s[2:3]
	s_nop 0
	s_sendmsg sendmsg(MSG_DEALLOC_VGPRS)
	s_endpgm
	.section	.rodata,"a",@progbits
	.p2align	6, 0x0
	.amdhsa_kernel _ZN2at6native27unrolled_elementwise_kernelINS0_11FillFunctorIN3c1013Float8_e4m3fnEEESt5arrayIPcLm1EELi4E23TrivialOffsetCalculatorILi0EjES9_ILi1EjENS0_6memory15LoadWithoutCastENSC_16StoreWithoutCastEEEviT_T0_T2_T3_T4_T5_
		.amdhsa_group_segment_fixed_size 0
		.amdhsa_private_segment_fixed_size 0
		.amdhsa_kernarg_size 20
		.amdhsa_user_sgpr_count 15
		.amdhsa_user_sgpr_dispatch_ptr 0
		.amdhsa_user_sgpr_queue_ptr 0
		.amdhsa_user_sgpr_kernarg_segment_ptr 1
		.amdhsa_user_sgpr_dispatch_id 0
		.amdhsa_user_sgpr_private_segment_size 0
		.amdhsa_wavefront_size32 1
		.amdhsa_uses_dynamic_stack 0
		.amdhsa_enable_private_segment 0
		.amdhsa_system_sgpr_workgroup_id_x 1
		.amdhsa_system_sgpr_workgroup_id_y 0
		.amdhsa_system_sgpr_workgroup_id_z 0
		.amdhsa_system_sgpr_workgroup_info 0
		.amdhsa_system_vgpr_workitem_id 0
		.amdhsa_next_free_vgpr 4
		.amdhsa_next_free_sgpr 16
		.amdhsa_reserve_vcc 1
		.amdhsa_float_round_mode_32 0
		.amdhsa_float_round_mode_16_64 0
		.amdhsa_float_denorm_mode_32 3
		.amdhsa_float_denorm_mode_16_64 3
		.amdhsa_dx10_clamp 1
		.amdhsa_ieee_mode 1
		.amdhsa_fp16_overflow 0
		.amdhsa_workgroup_processor_mode 1
		.amdhsa_memory_ordered 1
		.amdhsa_forward_progress 0
		.amdhsa_shared_vgpr_count 0
		.amdhsa_exception_fp_ieee_invalid_op 0
		.amdhsa_exception_fp_denorm_src 0
		.amdhsa_exception_fp_ieee_div_zero 0
		.amdhsa_exception_fp_ieee_overflow 0
		.amdhsa_exception_fp_ieee_underflow 0
		.amdhsa_exception_fp_ieee_inexact 0
		.amdhsa_exception_int_div_zero 0
	.end_amdhsa_kernel
	.section	.text._ZN2at6native27unrolled_elementwise_kernelINS0_11FillFunctorIN3c1013Float8_e4m3fnEEESt5arrayIPcLm1EELi4E23TrivialOffsetCalculatorILi0EjES9_ILi1EjENS0_6memory15LoadWithoutCastENSC_16StoreWithoutCastEEEviT_T0_T2_T3_T4_T5_,"axG",@progbits,_ZN2at6native27unrolled_elementwise_kernelINS0_11FillFunctorIN3c1013Float8_e4m3fnEEESt5arrayIPcLm1EELi4E23TrivialOffsetCalculatorILi0EjES9_ILi1EjENS0_6memory15LoadWithoutCastENSC_16StoreWithoutCastEEEviT_T0_T2_T3_T4_T5_,comdat
.Lfunc_end132:
	.size	_ZN2at6native27unrolled_elementwise_kernelINS0_11FillFunctorIN3c1013Float8_e4m3fnEEESt5arrayIPcLm1EELi4E23TrivialOffsetCalculatorILi0EjES9_ILi1EjENS0_6memory15LoadWithoutCastENSC_16StoreWithoutCastEEEviT_T0_T2_T3_T4_T5_, .Lfunc_end132-_ZN2at6native27unrolled_elementwise_kernelINS0_11FillFunctorIN3c1013Float8_e4m3fnEEESt5arrayIPcLm1EELi4E23TrivialOffsetCalculatorILi0EjES9_ILi1EjENS0_6memory15LoadWithoutCastENSC_16StoreWithoutCastEEEviT_T0_T2_T3_T4_T5_
                                        ; -- End function
	.section	.AMDGPU.csdata,"",@progbits
; Kernel info:
; codeLenInByte = 292
; NumSgprs: 18
; NumVgprs: 4
; ScratchSize: 0
; MemoryBound: 0
; FloatMode: 240
; IeeeMode: 1
; LDSByteSize: 0 bytes/workgroup (compile time only)
; SGPRBlocks: 2
; VGPRBlocks: 0
; NumSGPRsForWavesPerEU: 18
; NumVGPRsForWavesPerEU: 4
; Occupancy: 16
; WaveLimiterHint : 0
; COMPUTE_PGM_RSRC2:SCRATCH_EN: 0
; COMPUTE_PGM_RSRC2:USER_SGPR: 15
; COMPUTE_PGM_RSRC2:TRAP_HANDLER: 0
; COMPUTE_PGM_RSRC2:TGID_X_EN: 1
; COMPUTE_PGM_RSRC2:TGID_Y_EN: 0
; COMPUTE_PGM_RSRC2:TGID_Z_EN: 0
; COMPUTE_PGM_RSRC2:TIDIG_COMP_CNT: 0
	.section	.text._ZN2at6native32elementwise_kernel_manual_unrollILi128ELi8EZNS0_22gpu_kernel_impl_nocastINS0_11FillFunctorIN3c1013Float8_e4m3fnEEEEEvRNS_18TensorIteratorBaseERKT_EUlibE_EEviT1_,"axG",@progbits,_ZN2at6native32elementwise_kernel_manual_unrollILi128ELi8EZNS0_22gpu_kernel_impl_nocastINS0_11FillFunctorIN3c1013Float8_e4m3fnEEEEEvRNS_18TensorIteratorBaseERKT_EUlibE_EEviT1_,comdat
	.protected	_ZN2at6native32elementwise_kernel_manual_unrollILi128ELi8EZNS0_22gpu_kernel_impl_nocastINS0_11FillFunctorIN3c1013Float8_e4m3fnEEEEEvRNS_18TensorIteratorBaseERKT_EUlibE_EEviT1_ ; -- Begin function _ZN2at6native32elementwise_kernel_manual_unrollILi128ELi8EZNS0_22gpu_kernel_impl_nocastINS0_11FillFunctorIN3c1013Float8_e4m3fnEEEEEvRNS_18TensorIteratorBaseERKT_EUlibE_EEviT1_
	.globl	_ZN2at6native32elementwise_kernel_manual_unrollILi128ELi8EZNS0_22gpu_kernel_impl_nocastINS0_11FillFunctorIN3c1013Float8_e4m3fnEEEEEvRNS_18TensorIteratorBaseERKT_EUlibE_EEviT1_
	.p2align	8
	.type	_ZN2at6native32elementwise_kernel_manual_unrollILi128ELi8EZNS0_22gpu_kernel_impl_nocastINS0_11FillFunctorIN3c1013Float8_e4m3fnEEEEEvRNS_18TensorIteratorBaseERKT_EUlibE_EEviT1_,@function
_ZN2at6native32elementwise_kernel_manual_unrollILi128ELi8EZNS0_22gpu_kernel_impl_nocastINS0_11FillFunctorIN3c1013Float8_e4m3fnEEEEEvRNS_18TensorIteratorBaseERKT_EUlibE_EEviT1_: ; @_ZN2at6native32elementwise_kernel_manual_unrollILi128ELi8EZNS0_22gpu_kernel_impl_nocastINS0_11FillFunctorIN3c1013Float8_e4m3fnEEEEEvRNS_18TensorIteratorBaseERKT_EUlibE_EEviT1_
; %bb.0:
	s_clause 0x1
	s_load_b32 s18, s[0:1], 0x8
	s_load_b32 s24, s[0:1], 0x0
	v_lshl_or_b32 v6, s15, 10, v0
	s_or_b32 s0, s0, 8
	s_mov_b32 s2, exec_lo
	s_delay_alu instid0(VALU_DEP_1) | instskip(SKIP_2) | instid1(SALU_CYCLE_1)
	v_or_b32_e32 v8, 0x380, v6
	s_waitcnt lgkmcnt(0)
	s_add_i32 s19, s18, -1
	s_cmp_gt_u32 s19, 1
	s_cselect_b32 s20, -1, 0
	v_cmpx_le_i32_e64 s24, v8
	s_xor_b32 s21, exec_lo, s2
	s_cbranch_execz .LBB133_7
; %bb.1:
	s_clause 0x4
	s_load_b128 s[4:7], s[0:1], 0x4
	s_load_b64 s[10:11], s[0:1], 0x14
	s_load_b64 s[8:9], s[0:1], 0xc4
	;; [unrolled: 1-line block ×3, first 2 shown]
	s_load_b32 s22, s[0:1], 0x110
	s_cmp_lg_u32 s18, 0
	s_mov_b32 s27, exec_lo
	s_cselect_b32 s26, -1, 0
	s_add_u32 s12, s0, 0xc4
	s_addc_u32 s13, s1, 0
	s_min_u32 s25, s19, 15
	s_cmp_gt_u32 s18, 1
	s_cselect_b32 s23, -1, 0
	v_cmpx_gt_i32_e64 s24, v6
	s_cbranch_execz .LBB133_14
; %bb.2:
	s_and_not1_b32 vcc_lo, exec_lo, s20
	s_cbranch_vccnz .LBB133_21
; %bb.3:
	v_mov_b32_e32 v0, 0
	s_and_not1_b32 vcc_lo, exec_lo, s26
	s_cbranch_vccnz .LBB133_125
; %bb.4:
	s_add_i32 s29, s25, 1
	s_cmp_eq_u32 s19, 2
	s_mov_b32 s28, 0
	s_cbranch_scc1 .LBB133_121
; %bb.5:
	v_dual_mov_b32 v0, 0 :: v_dual_mov_b32 v1, v6
	s_and_b32 s28, s29, 28
	s_mov_b32 s30, 0
	s_mov_b64 s[14:15], s[0:1]
	s_mov_b64 s[16:17], s[12:13]
.LBB133_6:                              ; =>This Inner Loop Header: Depth=1
	s_clause 0x1
	s_load_b256 s[36:43], s[14:15], 0x4
	s_load_b128 s[44:47], s[14:15], 0x24
	s_load_b128 s[48:51], s[16:17], 0x0
	s_add_u32 s14, s14, 48
	s_addc_u32 s15, s15, 0
	s_add_i32 s30, s30, 4
	s_add_u32 s16, s16, 16
	s_addc_u32 s17, s17, 0
	s_cmp_lg_u32 s28, s30
	s_waitcnt lgkmcnt(0)
	v_mul_hi_u32 v2, s37, v1
	s_delay_alu instid0(VALU_DEP_1) | instskip(NEXT) | instid1(VALU_DEP_1)
	v_add_nc_u32_e32 v2, v1, v2
	v_lshrrev_b32_e32 v2, s38, v2
	s_delay_alu instid0(VALU_DEP_1) | instskip(SKIP_1) | instid1(VALU_DEP_2)
	v_mul_hi_u32 v3, s40, v2
	v_mul_lo_u32 v7, v2, s36
	v_add_nc_u32_e32 v3, v2, v3
	s_delay_alu instid0(VALU_DEP_2) | instskip(NEXT) | instid1(VALU_DEP_2)
	v_sub_nc_u32_e32 v7, v1, v7
	v_lshrrev_b32_e32 v3, s41, v3
	s_delay_alu instid0(VALU_DEP_2) | instskip(NEXT) | instid1(VALU_DEP_2)
	v_mul_lo_u32 v7, v7, s48
	v_mul_hi_u32 v4, s43, v3
	v_mul_lo_u32 v8, v3, s39
	s_delay_alu instid0(VALU_DEP_2) | instskip(NEXT) | instid1(VALU_DEP_2)
	v_add_nc_u32_e32 v4, v3, v4
	v_sub_nc_u32_e32 v2, v2, v8
	s_delay_alu instid0(VALU_DEP_2) | instskip(NEXT) | instid1(VALU_DEP_2)
	v_lshrrev_b32_e32 v4, s44, v4
	v_mul_lo_u32 v2, v2, s49
	s_delay_alu instid0(VALU_DEP_2) | instskip(NEXT) | instid1(VALU_DEP_2)
	v_mul_hi_u32 v5, s46, v4
	v_add3_u32 v0, v7, v0, v2
	s_delay_alu instid0(VALU_DEP_2) | instskip(NEXT) | instid1(VALU_DEP_1)
	v_add_nc_u32_e32 v5, v4, v5
	v_lshrrev_b32_e32 v1, s47, v5
	v_mul_lo_u32 v5, v4, s42
	s_delay_alu instid0(VALU_DEP_2) | instskip(NEXT) | instid1(VALU_DEP_2)
	v_mul_lo_u32 v9, v1, s45
	v_sub_nc_u32_e32 v3, v3, v5
	s_delay_alu instid0(VALU_DEP_2) | instskip(NEXT) | instid1(VALU_DEP_2)
	v_sub_nc_u32_e32 v4, v4, v9
	v_mul_lo_u32 v3, v3, s50
	s_delay_alu instid0(VALU_DEP_2) | instskip(NEXT) | instid1(VALU_DEP_1)
	v_mul_lo_u32 v4, v4, s51
	v_add3_u32 v0, v3, v0, v4
	s_cbranch_scc1 .LBB133_6
	s_branch .LBB133_122
.LBB133_7:
	s_and_not1_saveexec_b32 s2, s21
	s_cbranch_execz .LBB133_206
.LBB133_8:
	v_cndmask_b32_e64 v7, 0, 1, s20
	s_and_not1_b32 vcc_lo, exec_lo, s20
	s_cbranch_vccnz .LBB133_20
; %bb.9:
	v_mov_b32_e32 v0, 0
	s_cmp_eq_u32 s18, 0
	s_mov_b32 s6, 0
	s_cbranch_scc1 .LBB133_26
; %bb.10:
	s_min_u32 s7, s19, 15
	v_mov_b32_e32 v0, 0
	s_add_i32 s7, s7, 1
	s_cmp_eq_u32 s19, 2
	s_mov_b32 s8, 0
	s_cbranch_scc1 .LBB133_23
; %bb.11:
	v_dual_mov_b32 v0, 0 :: v_dual_mov_b32 v1, v6
	s_add_u32 s2, s0, 0xc4
	s_addc_u32 s3, s1, 0
	s_and_b32 s8, s7, 28
	s_mov_b32 s9, 0
	s_mov_b64 s[4:5], s[0:1]
.LBB133_12:                             ; =>This Inner Loop Header: Depth=1
	s_clause 0x1
	s_load_b256 s[20:27], s[4:5], 0x4
	s_load_b128 s[12:15], s[4:5], 0x24
	s_load_b128 s[28:31], s[2:3], 0x0
	s_add_u32 s4, s4, 48
	s_addc_u32 s5, s5, 0
	s_add_i32 s9, s9, 4
	s_add_u32 s2, s2, 16
	s_addc_u32 s3, s3, 0
	s_cmp_lg_u32 s8, s9
	s_waitcnt lgkmcnt(0)
	v_mul_hi_u32 v2, s21, v1
	s_delay_alu instid0(VALU_DEP_1) | instskip(NEXT) | instid1(VALU_DEP_1)
	v_add_nc_u32_e32 v2, v1, v2
	v_lshrrev_b32_e32 v2, s22, v2
	s_delay_alu instid0(VALU_DEP_1) | instskip(SKIP_1) | instid1(VALU_DEP_2)
	v_mul_hi_u32 v3, s24, v2
	v_mul_lo_u32 v9, v2, s20
	v_add_nc_u32_e32 v3, v2, v3
	s_delay_alu instid0(VALU_DEP_2) | instskip(NEXT) | instid1(VALU_DEP_2)
	v_sub_nc_u32_e32 v9, v1, v9
	v_lshrrev_b32_e32 v3, s25, v3
	s_delay_alu instid0(VALU_DEP_2) | instskip(NEXT) | instid1(VALU_DEP_2)
	v_mul_lo_u32 v9, v9, s28
	v_mul_hi_u32 v4, s27, v3
	v_mul_lo_u32 v10, v3, s23
	s_delay_alu instid0(VALU_DEP_2) | instskip(NEXT) | instid1(VALU_DEP_2)
	v_add_nc_u32_e32 v4, v3, v4
	v_sub_nc_u32_e32 v2, v2, v10
	s_delay_alu instid0(VALU_DEP_2) | instskip(NEXT) | instid1(VALU_DEP_2)
	v_lshrrev_b32_e32 v4, s12, v4
	v_mul_lo_u32 v2, v2, s29
	s_delay_alu instid0(VALU_DEP_2) | instskip(NEXT) | instid1(VALU_DEP_2)
	v_mul_hi_u32 v5, s14, v4
	v_add3_u32 v0, v9, v0, v2
	s_delay_alu instid0(VALU_DEP_2) | instskip(NEXT) | instid1(VALU_DEP_1)
	v_add_nc_u32_e32 v5, v4, v5
	v_lshrrev_b32_e32 v1, s15, v5
	v_mul_lo_u32 v5, v4, s26
	s_delay_alu instid0(VALU_DEP_2) | instskip(NEXT) | instid1(VALU_DEP_2)
	v_mul_lo_u32 v11, v1, s13
	v_sub_nc_u32_e32 v3, v3, v5
	s_delay_alu instid0(VALU_DEP_2) | instskip(NEXT) | instid1(VALU_DEP_2)
	v_sub_nc_u32_e32 v4, v4, v11
	v_mul_lo_u32 v3, v3, s30
	s_delay_alu instid0(VALU_DEP_2) | instskip(NEXT) | instid1(VALU_DEP_1)
	v_mul_lo_u32 v4, v4, s31
	v_add3_u32 v0, v3, v0, v4
	s_cbranch_scc1 .LBB133_12
; %bb.13:
	s_and_b32 s7, s7, 3
	s_delay_alu instid0(SALU_CYCLE_1)
	s_cmp_eq_u32 s7, 0
	s_cbranch_scc0 .LBB133_24
	s_branch .LBB133_26
.LBB133_14:
	s_or_b32 exec_lo, exec_lo, s27
	s_delay_alu instid0(SALU_CYCLE_1)
	s_mov_b32 s27, exec_lo
	v_cmpx_gt_i32_e64 s24, v6
	s_cbranch_execz .LBB133_129
.LBB133_15:
	s_and_not1_b32 vcc_lo, exec_lo, s20
	s_cbranch_vccnz .LBB133_22
; %bb.16:
	v_mov_b32_e32 v0, 0
	s_and_not1_b32 vcc_lo, exec_lo, s26
	s_cbranch_vccnz .LBB133_140
; %bb.17:
	s_add_i32 s29, s25, 1
	s_cmp_eq_u32 s19, 2
	s_mov_b32 s28, 0
	s_cbranch_scc1 .LBB133_136
; %bb.18:
	v_dual_mov_b32 v0, 0 :: v_dual_mov_b32 v1, v6
	s_and_b32 s28, s29, 28
	s_mov_b32 s30, 0
	s_mov_b64 s[14:15], s[0:1]
	s_mov_b64 s[16:17], s[12:13]
.LBB133_19:                             ; =>This Inner Loop Header: Depth=1
	s_clause 0x1
	s_load_b256 s[36:43], s[14:15], 0x4
	s_load_b128 s[44:47], s[14:15], 0x24
	s_load_b128 s[48:51], s[16:17], 0x0
	s_add_u32 s14, s14, 48
	s_addc_u32 s15, s15, 0
	s_add_i32 s30, s30, 4
	s_add_u32 s16, s16, 16
	s_addc_u32 s17, s17, 0
	s_cmp_eq_u32 s28, s30
	s_waitcnt lgkmcnt(0)
	v_mul_hi_u32 v2, s37, v1
	s_delay_alu instid0(VALU_DEP_1) | instskip(NEXT) | instid1(VALU_DEP_1)
	v_add_nc_u32_e32 v2, v1, v2
	v_lshrrev_b32_e32 v2, s38, v2
	s_delay_alu instid0(VALU_DEP_1) | instskip(SKIP_1) | instid1(VALU_DEP_2)
	v_mul_hi_u32 v3, s40, v2
	v_mul_lo_u32 v7, v2, s36
	v_add_nc_u32_e32 v3, v2, v3
	s_delay_alu instid0(VALU_DEP_2) | instskip(NEXT) | instid1(VALU_DEP_2)
	v_sub_nc_u32_e32 v7, v1, v7
	v_lshrrev_b32_e32 v3, s41, v3
	s_delay_alu instid0(VALU_DEP_2) | instskip(NEXT) | instid1(VALU_DEP_2)
	v_mul_lo_u32 v7, v7, s48
	v_mul_hi_u32 v4, s43, v3
	v_mul_lo_u32 v8, v3, s39
	s_delay_alu instid0(VALU_DEP_2) | instskip(NEXT) | instid1(VALU_DEP_2)
	v_add_nc_u32_e32 v4, v3, v4
	v_sub_nc_u32_e32 v2, v2, v8
	s_delay_alu instid0(VALU_DEP_2) | instskip(NEXT) | instid1(VALU_DEP_2)
	v_lshrrev_b32_e32 v4, s44, v4
	v_mul_lo_u32 v2, v2, s49
	s_delay_alu instid0(VALU_DEP_2) | instskip(NEXT) | instid1(VALU_DEP_2)
	v_mul_hi_u32 v5, s46, v4
	v_add3_u32 v0, v7, v0, v2
	s_delay_alu instid0(VALU_DEP_2) | instskip(NEXT) | instid1(VALU_DEP_1)
	v_add_nc_u32_e32 v5, v4, v5
	v_lshrrev_b32_e32 v1, s47, v5
	v_mul_lo_u32 v5, v4, s42
	s_delay_alu instid0(VALU_DEP_2) | instskip(NEXT) | instid1(VALU_DEP_2)
	v_mul_lo_u32 v9, v1, s45
	v_sub_nc_u32_e32 v3, v3, v5
	s_delay_alu instid0(VALU_DEP_2) | instskip(NEXT) | instid1(VALU_DEP_2)
	v_sub_nc_u32_e32 v4, v4, v9
	v_mul_lo_u32 v3, v3, s50
	s_delay_alu instid0(VALU_DEP_2) | instskip(NEXT) | instid1(VALU_DEP_1)
	v_mul_lo_u32 v4, v4, s51
	v_add3_u32 v0, v3, v0, v4
	s_cbranch_scc0 .LBB133_19
	s_branch .LBB133_137
.LBB133_20:
	s_mov_b32 s6, -1
                                        ; implicit-def: $vgpr0
	s_branch .LBB133_26
.LBB133_21:
                                        ; implicit-def: $vgpr0
	s_branch .LBB133_126
.LBB133_22:
                                        ; implicit-def: $vgpr0
	s_branch .LBB133_141
.LBB133_23:
	v_mov_b32_e32 v1, v6
	s_and_b32 s7, s7, 3
	s_delay_alu instid0(SALU_CYCLE_1)
	s_cmp_eq_u32 s7, 0
	s_cbranch_scc1 .LBB133_26
.LBB133_24:
	s_lshl_b32 s2, s8, 2
	s_mul_i32 s4, s8, 12
	s_add_u32 s2, s2, s0
	s_addc_u32 s3, 0, s1
	s_add_u32 s2, s2, 0xc4
	s_addc_u32 s3, s3, 0
	s_add_u32 s4, s0, s4
	s_addc_u32 s5, 0, s1
	.p2align	6
.LBB133_25:                             ; =>This Inner Loop Header: Depth=1
	s_clause 0x1
	s_load_b64 s[8:9], s[4:5], 0x4
	s_load_b32 s10, s[4:5], 0xc
	s_add_u32 s4, s4, 12
	s_addc_u32 s5, s5, 0
	s_waitcnt lgkmcnt(0)
	v_mul_hi_u32 v2, s9, v1
	s_load_b32 s9, s[2:3], 0x0
	s_add_u32 s2, s2, 4
	s_addc_u32 s3, s3, 0
	s_add_i32 s7, s7, -1
	s_delay_alu instid0(SALU_CYCLE_1) | instskip(NEXT) | instid1(VALU_DEP_1)
	s_cmp_lg_u32 s7, 0
	v_add_nc_u32_e32 v2, v1, v2
	s_delay_alu instid0(VALU_DEP_1) | instskip(NEXT) | instid1(VALU_DEP_1)
	v_lshrrev_b32_e32 v4, s10, v2
	v_mul_lo_u32 v2, v4, s8
	s_delay_alu instid0(VALU_DEP_1) | instskip(SKIP_1) | instid1(VALU_DEP_1)
	v_sub_nc_u32_e32 v1, v1, v2
	s_waitcnt lgkmcnt(0)
	v_mad_u64_u32 v[2:3], null, v1, s9, v[0:1]
	s_delay_alu instid0(VALU_DEP_1)
	v_dual_mov_b32 v1, v4 :: v_dual_mov_b32 v0, v2
	s_cbranch_scc1 .LBB133_25
.LBB133_26:
	s_and_not1_b32 vcc_lo, exec_lo, s6
	s_cbranch_vccnz .LBB133_29
; %bb.27:
	s_clause 0x1
	s_load_b128 s[4:7], s[0:1], 0x4
	s_load_b32 s2, s[0:1], 0xc4
	s_cmp_lt_u32 s18, 2
	s_waitcnt lgkmcnt(0)
	v_mul_hi_u32 v0, s5, v6
	s_delay_alu instid0(VALU_DEP_1) | instskip(NEXT) | instid1(VALU_DEP_1)
	v_add_nc_u32_e32 v0, v6, v0
	v_lshrrev_b32_e32 v1, s6, v0
	s_delay_alu instid0(VALU_DEP_1) | instskip(NEXT) | instid1(VALU_DEP_1)
	v_mul_lo_u32 v0, v1, s4
	v_sub_nc_u32_e32 v0, v6, v0
	s_delay_alu instid0(VALU_DEP_1)
	v_mul_lo_u32 v0, v0, s2
	s_cbranch_scc1 .LBB133_29
; %bb.28:
	s_clause 0x1
	s_load_b128 s[4:7], s[0:1], 0x10
	s_load_b32 s2, s[0:1], 0xc8
	s_waitcnt lgkmcnt(0)
	v_mul_hi_u32 v2, s5, v1
	s_delay_alu instid0(VALU_DEP_1) | instskip(NEXT) | instid1(VALU_DEP_1)
	v_add_nc_u32_e32 v2, v1, v2
	v_lshrrev_b32_e32 v2, s6, v2
	s_delay_alu instid0(VALU_DEP_1) | instskip(NEXT) | instid1(VALU_DEP_1)
	v_mul_lo_u32 v2, v2, s4
	v_sub_nc_u32_e32 v3, v1, v2
	s_delay_alu instid0(VALU_DEP_1) | instskip(NEXT) | instid1(VALU_DEP_1)
	v_mad_u64_u32 v[1:2], null, v3, s2, v[0:1]
	v_mov_b32_e32 v0, v1
.LBB133_29:
	v_cmp_ne_u32_e32 vcc_lo, 1, v7
	v_add_nc_u32_e32 v2, 0x80, v6
	s_cbranch_vccnz .LBB133_35
; %bb.30:
	v_mov_b32_e32 v1, 0
	s_cmp_eq_u32 s18, 0
	s_mov_b32 s6, 0
	s_cbranch_scc1 .LBB133_39
; %bb.31:
	s_min_u32 s7, s19, 15
	v_mov_b32_e32 v1, 0
	s_add_i32 s7, s7, 1
	s_cmp_eq_u32 s19, 2
	s_mov_b32 s8, 0
	s_cbranch_scc1 .LBB133_36
; %bb.32:
	v_mov_b32_e32 v1, 0
	v_mov_b32_e32 v3, v2
	s_add_u32 s2, s0, 0xc4
	s_addc_u32 s3, s1, 0
	s_and_b32 s8, s7, 28
	s_mov_b32 s9, 0
	s_mov_b64 s[4:5], s[0:1]
.LBB133_33:                             ; =>This Inner Loop Header: Depth=1
	s_clause 0x1
	s_load_b256 s[20:27], s[4:5], 0x4
	s_load_b128 s[12:15], s[4:5], 0x24
	s_load_b128 s[28:31], s[2:3], 0x0
	s_add_u32 s4, s4, 48
	s_addc_u32 s5, s5, 0
	s_add_i32 s9, s9, 4
	s_add_u32 s2, s2, 16
	s_addc_u32 s3, s3, 0
	s_cmp_lg_u32 s8, s9
	s_waitcnt lgkmcnt(0)
	v_mul_hi_u32 v4, s21, v3
	s_delay_alu instid0(VALU_DEP_1) | instskip(NEXT) | instid1(VALU_DEP_1)
	v_add_nc_u32_e32 v4, v3, v4
	v_lshrrev_b32_e32 v4, s22, v4
	s_delay_alu instid0(VALU_DEP_1) | instskip(SKIP_1) | instid1(VALU_DEP_2)
	v_mul_hi_u32 v5, s24, v4
	v_mul_lo_u32 v11, v4, s20
	v_add_nc_u32_e32 v5, v4, v5
	s_delay_alu instid0(VALU_DEP_2) | instskip(NEXT) | instid1(VALU_DEP_2)
	v_sub_nc_u32_e32 v11, v3, v11
	v_lshrrev_b32_e32 v5, s25, v5
	s_delay_alu instid0(VALU_DEP_2) | instskip(NEXT) | instid1(VALU_DEP_2)
	v_mul_lo_u32 v11, v11, s28
	v_mul_hi_u32 v9, s27, v5
	v_mul_lo_u32 v12, v5, s23
	s_delay_alu instid0(VALU_DEP_2) | instskip(NEXT) | instid1(VALU_DEP_2)
	v_add_nc_u32_e32 v9, v5, v9
	v_sub_nc_u32_e32 v4, v4, v12
	s_delay_alu instid0(VALU_DEP_2) | instskip(NEXT) | instid1(VALU_DEP_2)
	v_lshrrev_b32_e32 v9, s12, v9
	v_mul_lo_u32 v4, v4, s29
	s_delay_alu instid0(VALU_DEP_2) | instskip(NEXT) | instid1(VALU_DEP_2)
	v_mul_hi_u32 v10, s14, v9
	v_add3_u32 v1, v11, v1, v4
	s_delay_alu instid0(VALU_DEP_2) | instskip(NEXT) | instid1(VALU_DEP_1)
	v_add_nc_u32_e32 v10, v9, v10
	v_lshrrev_b32_e32 v3, s15, v10
	v_mul_lo_u32 v10, v9, s26
	s_delay_alu instid0(VALU_DEP_2) | instskip(NEXT) | instid1(VALU_DEP_2)
	v_mul_lo_u32 v13, v3, s13
	v_sub_nc_u32_e32 v5, v5, v10
	s_delay_alu instid0(VALU_DEP_2) | instskip(NEXT) | instid1(VALU_DEP_2)
	v_sub_nc_u32_e32 v9, v9, v13
	v_mul_lo_u32 v5, v5, s30
	s_delay_alu instid0(VALU_DEP_2) | instskip(NEXT) | instid1(VALU_DEP_1)
	v_mul_lo_u32 v9, v9, s31
	v_add3_u32 v1, v5, v1, v9
	s_cbranch_scc1 .LBB133_33
; %bb.34:
	s_and_b32 s7, s7, 3
	s_delay_alu instid0(SALU_CYCLE_1)
	s_cmp_eq_u32 s7, 0
	s_cbranch_scc0 .LBB133_37
	s_branch .LBB133_39
.LBB133_35:
	s_mov_b32 s6, -1
                                        ; implicit-def: $vgpr1
	s_branch .LBB133_39
.LBB133_36:
	v_mov_b32_e32 v3, v2
	s_and_b32 s7, s7, 3
	s_delay_alu instid0(SALU_CYCLE_1)
	s_cmp_eq_u32 s7, 0
	s_cbranch_scc1 .LBB133_39
.LBB133_37:
	s_lshl_b32 s2, s8, 2
	s_mul_i32 s4, s8, 12
	s_add_u32 s2, s2, s0
	s_addc_u32 s3, 0, s1
	s_add_u32 s2, s2, 0xc4
	s_addc_u32 s3, s3, 0
	;; [unrolled: 2-line block ×3, first 2 shown]
	.p2align	6
.LBB133_38:                             ; =>This Inner Loop Header: Depth=1
	s_clause 0x1
	s_load_b64 s[8:9], s[4:5], 0x4
	s_load_b32 s10, s[4:5], 0xc
	s_add_u32 s4, s4, 12
	s_addc_u32 s5, s5, 0
	s_waitcnt lgkmcnt(0)
	v_mul_hi_u32 v4, s9, v3
	s_load_b32 s9, s[2:3], 0x0
	s_add_u32 s2, s2, 4
	s_addc_u32 s3, s3, 0
	s_add_i32 s7, s7, -1
	s_delay_alu instid0(SALU_CYCLE_1) | instskip(NEXT) | instid1(VALU_DEP_1)
	s_cmp_lg_u32 s7, 0
	v_add_nc_u32_e32 v4, v3, v4
	s_delay_alu instid0(VALU_DEP_1) | instskip(NEXT) | instid1(VALU_DEP_1)
	v_lshrrev_b32_e32 v9, s10, v4
	v_mul_lo_u32 v4, v9, s8
	s_delay_alu instid0(VALU_DEP_1) | instskip(SKIP_1) | instid1(VALU_DEP_1)
	v_sub_nc_u32_e32 v3, v3, v4
	s_waitcnt lgkmcnt(0)
	v_mad_u64_u32 v[4:5], null, v3, s9, v[1:2]
	v_mov_b32_e32 v3, v9
	s_delay_alu instid0(VALU_DEP_2)
	v_mov_b32_e32 v1, v4
	s_cbranch_scc1 .LBB133_38
.LBB133_39:
	s_and_not1_b32 vcc_lo, exec_lo, s6
	s_cbranch_vccnz .LBB133_42
; %bb.40:
	s_clause 0x1
	s_load_b128 s[4:7], s[0:1], 0x4
	s_load_b32 s2, s[0:1], 0xc4
	s_cmp_lt_u32 s18, 2
	s_waitcnt lgkmcnt(0)
	v_mul_hi_u32 v1, s5, v2
	s_delay_alu instid0(VALU_DEP_1) | instskip(NEXT) | instid1(VALU_DEP_1)
	v_add_nc_u32_e32 v1, v2, v1
	v_lshrrev_b32_e32 v3, s6, v1
	s_delay_alu instid0(VALU_DEP_1) | instskip(NEXT) | instid1(VALU_DEP_1)
	v_mul_lo_u32 v1, v3, s4
	v_sub_nc_u32_e32 v1, v2, v1
	s_delay_alu instid0(VALU_DEP_1)
	v_mul_lo_u32 v1, v1, s2
	s_cbranch_scc1 .LBB133_42
; %bb.41:
	s_clause 0x1
	s_load_b128 s[4:7], s[0:1], 0x10
	s_load_b32 s2, s[0:1], 0xc8
	s_waitcnt lgkmcnt(0)
	v_mul_hi_u32 v2, s5, v3
	s_delay_alu instid0(VALU_DEP_1) | instskip(NEXT) | instid1(VALU_DEP_1)
	v_add_nc_u32_e32 v2, v3, v2
	v_lshrrev_b32_e32 v2, s6, v2
	s_delay_alu instid0(VALU_DEP_1) | instskip(NEXT) | instid1(VALU_DEP_1)
	v_mul_lo_u32 v2, v2, s4
	v_sub_nc_u32_e32 v4, v3, v2
	s_delay_alu instid0(VALU_DEP_1) | instskip(NEXT) | instid1(VALU_DEP_1)
	v_mad_u64_u32 v[2:3], null, v4, s2, v[1:2]
	v_mov_b32_e32 v1, v2
.LBB133_42:
	v_cmp_ne_u32_e32 vcc_lo, 1, v7
	v_add_nc_u32_e32 v3, 0x100, v6
	s_cbranch_vccnz .LBB133_48
; %bb.43:
	v_mov_b32_e32 v2, 0
	s_cmp_eq_u32 s18, 0
	s_mov_b32 s6, 0
	s_cbranch_scc1 .LBB133_52
; %bb.44:
	s_min_u32 s7, s19, 15
	v_mov_b32_e32 v2, 0
	s_add_i32 s7, s7, 1
	s_cmp_eq_u32 s19, 2
	s_mov_b32 s8, 0
	s_cbranch_scc1 .LBB133_49
; %bb.45:
	v_mov_b32_e32 v2, 0
	v_mov_b32_e32 v4, v3
	s_add_u32 s2, s0, 0xc4
	s_addc_u32 s3, s1, 0
	s_and_b32 s8, s7, 28
	s_mov_b32 s9, 0
	s_mov_b64 s[4:5], s[0:1]
.LBB133_46:                             ; =>This Inner Loop Header: Depth=1
	s_clause 0x1
	s_load_b256 s[20:27], s[4:5], 0x4
	s_load_b128 s[12:15], s[4:5], 0x24
	s_load_b128 s[28:31], s[2:3], 0x0
	s_add_u32 s4, s4, 48
	s_addc_u32 s5, s5, 0
	s_add_i32 s9, s9, 4
	s_add_u32 s2, s2, 16
	s_addc_u32 s3, s3, 0
	s_cmp_lg_u32 s8, s9
	s_waitcnt lgkmcnt(0)
	v_mul_hi_u32 v5, s21, v4
	s_delay_alu instid0(VALU_DEP_1) | instskip(NEXT) | instid1(VALU_DEP_1)
	v_add_nc_u32_e32 v5, v4, v5
	v_lshrrev_b32_e32 v5, s22, v5
	s_delay_alu instid0(VALU_DEP_1) | instskip(SKIP_1) | instid1(VALU_DEP_2)
	v_mul_hi_u32 v9, s24, v5
	v_mul_lo_u32 v12, v5, s20
	v_add_nc_u32_e32 v9, v5, v9
	s_delay_alu instid0(VALU_DEP_2) | instskip(NEXT) | instid1(VALU_DEP_2)
	v_sub_nc_u32_e32 v12, v4, v12
	v_lshrrev_b32_e32 v9, s25, v9
	s_delay_alu instid0(VALU_DEP_2) | instskip(NEXT) | instid1(VALU_DEP_2)
	v_mul_lo_u32 v12, v12, s28
	v_mul_hi_u32 v10, s27, v9
	v_mul_lo_u32 v13, v9, s23
	s_delay_alu instid0(VALU_DEP_2) | instskip(NEXT) | instid1(VALU_DEP_2)
	v_add_nc_u32_e32 v10, v9, v10
	v_sub_nc_u32_e32 v5, v5, v13
	s_delay_alu instid0(VALU_DEP_2) | instskip(NEXT) | instid1(VALU_DEP_2)
	v_lshrrev_b32_e32 v10, s12, v10
	v_mul_lo_u32 v5, v5, s29
	s_delay_alu instid0(VALU_DEP_2) | instskip(NEXT) | instid1(VALU_DEP_2)
	v_mul_hi_u32 v11, s14, v10
	v_add3_u32 v2, v12, v2, v5
	s_delay_alu instid0(VALU_DEP_2) | instskip(NEXT) | instid1(VALU_DEP_1)
	v_add_nc_u32_e32 v11, v10, v11
	v_lshrrev_b32_e32 v4, s15, v11
	v_mul_lo_u32 v11, v10, s26
	s_delay_alu instid0(VALU_DEP_2) | instskip(NEXT) | instid1(VALU_DEP_2)
	v_mul_lo_u32 v14, v4, s13
	v_sub_nc_u32_e32 v9, v9, v11
	s_delay_alu instid0(VALU_DEP_2) | instskip(NEXT) | instid1(VALU_DEP_2)
	v_sub_nc_u32_e32 v10, v10, v14
	v_mul_lo_u32 v9, v9, s30
	s_delay_alu instid0(VALU_DEP_2) | instskip(NEXT) | instid1(VALU_DEP_1)
	v_mul_lo_u32 v10, v10, s31
	v_add3_u32 v2, v9, v2, v10
	s_cbranch_scc1 .LBB133_46
; %bb.47:
	s_and_b32 s7, s7, 3
	s_delay_alu instid0(SALU_CYCLE_1)
	s_cmp_eq_u32 s7, 0
	s_cbranch_scc0 .LBB133_50
	s_branch .LBB133_52
.LBB133_48:
	s_mov_b32 s6, -1
                                        ; implicit-def: $vgpr2
	s_branch .LBB133_52
.LBB133_49:
	v_mov_b32_e32 v4, v3
	s_and_b32 s7, s7, 3
	s_delay_alu instid0(SALU_CYCLE_1)
	s_cmp_eq_u32 s7, 0
	s_cbranch_scc1 .LBB133_52
.LBB133_50:
	s_lshl_b32 s2, s8, 2
	s_mul_i32 s4, s8, 12
	s_add_u32 s2, s2, s0
	s_addc_u32 s3, 0, s1
	s_add_u32 s2, s2, 0xc4
	s_addc_u32 s3, s3, 0
	;; [unrolled: 2-line block ×3, first 2 shown]
	.p2align	6
.LBB133_51:                             ; =>This Inner Loop Header: Depth=1
	s_clause 0x1
	s_load_b64 s[8:9], s[4:5], 0x4
	s_load_b32 s10, s[4:5], 0xc
	s_add_u32 s4, s4, 12
	s_addc_u32 s5, s5, 0
	s_waitcnt lgkmcnt(0)
	v_mul_hi_u32 v5, s9, v4
	s_load_b32 s9, s[2:3], 0x0
	s_add_u32 s2, s2, 4
	s_addc_u32 s3, s3, 0
	s_add_i32 s7, s7, -1
	s_delay_alu instid0(SALU_CYCLE_1) | instskip(NEXT) | instid1(VALU_DEP_1)
	s_cmp_lg_u32 s7, 0
	v_add_nc_u32_e32 v5, v4, v5
	s_delay_alu instid0(VALU_DEP_1) | instskip(NEXT) | instid1(VALU_DEP_1)
	v_lshrrev_b32_e32 v5, s10, v5
	v_mul_lo_u32 v9, v5, s8
	s_delay_alu instid0(VALU_DEP_1) | instskip(SKIP_1) | instid1(VALU_DEP_1)
	v_sub_nc_u32_e32 v4, v4, v9
	s_waitcnt lgkmcnt(0)
	v_mad_u64_u32 v[9:10], null, v4, s9, v[2:3]
	v_mov_b32_e32 v4, v5
	s_delay_alu instid0(VALU_DEP_2)
	v_mov_b32_e32 v2, v9
	s_cbranch_scc1 .LBB133_51
.LBB133_52:
	s_and_not1_b32 vcc_lo, exec_lo, s6
	s_cbranch_vccnz .LBB133_55
; %bb.53:
	s_clause 0x1
	s_load_b128 s[4:7], s[0:1], 0x4
	s_load_b32 s2, s[0:1], 0xc4
	s_cmp_lt_u32 s18, 2
	s_waitcnt lgkmcnt(0)
	v_mul_hi_u32 v2, s5, v3
	s_delay_alu instid0(VALU_DEP_1) | instskip(NEXT) | instid1(VALU_DEP_1)
	v_add_nc_u32_e32 v2, v3, v2
	v_lshrrev_b32_e32 v4, s6, v2
	s_delay_alu instid0(VALU_DEP_1) | instskip(NEXT) | instid1(VALU_DEP_1)
	v_mul_lo_u32 v2, v4, s4
	v_sub_nc_u32_e32 v2, v3, v2
	s_delay_alu instid0(VALU_DEP_1)
	v_mul_lo_u32 v2, v2, s2
	s_cbranch_scc1 .LBB133_55
; %bb.54:
	s_clause 0x1
	s_load_b128 s[4:7], s[0:1], 0x10
	s_load_b32 s2, s[0:1], 0xc8
	s_waitcnt lgkmcnt(0)
	v_mul_hi_u32 v3, s5, v4
	s_delay_alu instid0(VALU_DEP_1) | instskip(NEXT) | instid1(VALU_DEP_1)
	v_add_nc_u32_e32 v3, v4, v3
	v_lshrrev_b32_e32 v3, s6, v3
	s_delay_alu instid0(VALU_DEP_1) | instskip(NEXT) | instid1(VALU_DEP_1)
	v_mul_lo_u32 v3, v3, s4
	v_sub_nc_u32_e32 v5, v4, v3
	s_delay_alu instid0(VALU_DEP_1) | instskip(NEXT) | instid1(VALU_DEP_1)
	v_mad_u64_u32 v[3:4], null, v5, s2, v[2:3]
	v_mov_b32_e32 v2, v3
.LBB133_55:
	v_cmp_ne_u32_e32 vcc_lo, 1, v7
	v_add_nc_u32_e32 v4, 0x180, v6
	s_cbranch_vccnz .LBB133_61
; %bb.56:
	v_mov_b32_e32 v3, 0
	s_cmp_eq_u32 s18, 0
	s_mov_b32 s6, 0
	s_cbranch_scc1 .LBB133_65
; %bb.57:
	s_min_u32 s7, s19, 15
	v_mov_b32_e32 v3, 0
	s_add_i32 s7, s7, 1
	s_cmp_eq_u32 s19, 2
	s_mov_b32 s8, 0
	s_cbranch_scc1 .LBB133_62
; %bb.58:
	v_mov_b32_e32 v3, 0
	v_mov_b32_e32 v5, v4
	s_add_u32 s2, s0, 0xc4
	s_addc_u32 s3, s1, 0
	s_and_b32 s8, s7, 28
	s_mov_b32 s9, 0
	s_mov_b64 s[4:5], s[0:1]
.LBB133_59:                             ; =>This Inner Loop Header: Depth=1
	s_clause 0x1
	s_load_b256 s[20:27], s[4:5], 0x4
	s_load_b128 s[12:15], s[4:5], 0x24
	s_load_b128 s[28:31], s[2:3], 0x0
	s_add_u32 s4, s4, 48
	s_addc_u32 s5, s5, 0
	s_add_i32 s9, s9, 4
	s_add_u32 s2, s2, 16
	s_addc_u32 s3, s3, 0
	s_cmp_lg_u32 s8, s9
	s_waitcnt lgkmcnt(0)
	v_mul_hi_u32 v9, s21, v5
	s_delay_alu instid0(VALU_DEP_1) | instskip(NEXT) | instid1(VALU_DEP_1)
	v_add_nc_u32_e32 v9, v5, v9
	v_lshrrev_b32_e32 v9, s22, v9
	s_delay_alu instid0(VALU_DEP_1) | instskip(SKIP_1) | instid1(VALU_DEP_2)
	v_mul_hi_u32 v10, s24, v9
	v_mul_lo_u32 v13, v9, s20
	v_add_nc_u32_e32 v10, v9, v10
	s_delay_alu instid0(VALU_DEP_2) | instskip(NEXT) | instid1(VALU_DEP_2)
	v_sub_nc_u32_e32 v13, v5, v13
	v_lshrrev_b32_e32 v10, s25, v10
	s_delay_alu instid0(VALU_DEP_2) | instskip(NEXT) | instid1(VALU_DEP_2)
	v_mul_lo_u32 v13, v13, s28
	v_mul_hi_u32 v11, s27, v10
	v_mul_lo_u32 v14, v10, s23
	s_delay_alu instid0(VALU_DEP_2) | instskip(NEXT) | instid1(VALU_DEP_2)
	v_add_nc_u32_e32 v11, v10, v11
	v_sub_nc_u32_e32 v9, v9, v14
	s_delay_alu instid0(VALU_DEP_2) | instskip(NEXT) | instid1(VALU_DEP_2)
	v_lshrrev_b32_e32 v11, s12, v11
	v_mul_lo_u32 v9, v9, s29
	s_delay_alu instid0(VALU_DEP_2) | instskip(NEXT) | instid1(VALU_DEP_2)
	v_mul_hi_u32 v12, s14, v11
	v_add3_u32 v3, v13, v3, v9
	s_delay_alu instid0(VALU_DEP_2) | instskip(NEXT) | instid1(VALU_DEP_1)
	v_add_nc_u32_e32 v12, v11, v12
	v_lshrrev_b32_e32 v5, s15, v12
	v_mul_lo_u32 v12, v11, s26
	s_delay_alu instid0(VALU_DEP_2) | instskip(NEXT) | instid1(VALU_DEP_2)
	v_mul_lo_u32 v15, v5, s13
	v_sub_nc_u32_e32 v10, v10, v12
	s_delay_alu instid0(VALU_DEP_2) | instskip(NEXT) | instid1(VALU_DEP_2)
	v_sub_nc_u32_e32 v11, v11, v15
	v_mul_lo_u32 v10, v10, s30
	s_delay_alu instid0(VALU_DEP_2) | instskip(NEXT) | instid1(VALU_DEP_1)
	v_mul_lo_u32 v11, v11, s31
	v_add3_u32 v3, v10, v3, v11
	s_cbranch_scc1 .LBB133_59
; %bb.60:
	s_and_b32 s7, s7, 3
	s_delay_alu instid0(SALU_CYCLE_1)
	s_cmp_eq_u32 s7, 0
	s_cbranch_scc0 .LBB133_63
	s_branch .LBB133_65
.LBB133_61:
	s_mov_b32 s6, -1
                                        ; implicit-def: $vgpr3
	s_branch .LBB133_65
.LBB133_62:
	v_mov_b32_e32 v5, v4
	s_and_b32 s7, s7, 3
	s_delay_alu instid0(SALU_CYCLE_1)
	s_cmp_eq_u32 s7, 0
	s_cbranch_scc1 .LBB133_65
.LBB133_63:
	s_lshl_b32 s2, s8, 2
	s_mul_i32 s4, s8, 12
	s_add_u32 s2, s2, s0
	s_addc_u32 s3, 0, s1
	s_add_u32 s2, s2, 0xc4
	s_addc_u32 s3, s3, 0
	;; [unrolled: 2-line block ×3, first 2 shown]
	.p2align	6
.LBB133_64:                             ; =>This Inner Loop Header: Depth=1
	s_clause 0x1
	s_load_b64 s[8:9], s[4:5], 0x4
	s_load_b32 s10, s[4:5], 0xc
	s_add_u32 s4, s4, 12
	s_addc_u32 s5, s5, 0
	s_waitcnt lgkmcnt(0)
	v_mul_hi_u32 v9, s9, v5
	s_load_b32 s9, s[2:3], 0x0
	s_add_u32 s2, s2, 4
	s_addc_u32 s3, s3, 0
	s_add_i32 s7, s7, -1
	s_delay_alu instid0(SALU_CYCLE_1) | instskip(NEXT) | instid1(VALU_DEP_1)
	s_cmp_lg_u32 s7, 0
	v_add_nc_u32_e32 v9, v5, v9
	s_delay_alu instid0(VALU_DEP_1) | instskip(NEXT) | instid1(VALU_DEP_1)
	v_lshrrev_b32_e32 v11, s10, v9
	v_mul_lo_u32 v9, v11, s8
	s_delay_alu instid0(VALU_DEP_1) | instskip(SKIP_1) | instid1(VALU_DEP_1)
	v_sub_nc_u32_e32 v5, v5, v9
	s_waitcnt lgkmcnt(0)
	v_mad_u64_u32 v[9:10], null, v5, s9, v[3:4]
	v_mov_b32_e32 v5, v11
	s_delay_alu instid0(VALU_DEP_2)
	v_mov_b32_e32 v3, v9
	s_cbranch_scc1 .LBB133_64
.LBB133_65:
	s_and_not1_b32 vcc_lo, exec_lo, s6
	s_cbranch_vccnz .LBB133_68
; %bb.66:
	s_clause 0x1
	s_load_b128 s[4:7], s[0:1], 0x4
	s_load_b32 s2, s[0:1], 0xc4
	s_cmp_lt_u32 s18, 2
	s_waitcnt lgkmcnt(0)
	v_mul_hi_u32 v3, s5, v4
	s_delay_alu instid0(VALU_DEP_1) | instskip(NEXT) | instid1(VALU_DEP_1)
	v_add_nc_u32_e32 v3, v4, v3
	v_lshrrev_b32_e32 v5, s6, v3
	s_delay_alu instid0(VALU_DEP_1) | instskip(NEXT) | instid1(VALU_DEP_1)
	v_mul_lo_u32 v3, v5, s4
	v_sub_nc_u32_e32 v3, v4, v3
	s_delay_alu instid0(VALU_DEP_1)
	v_mul_lo_u32 v3, v3, s2
	s_cbranch_scc1 .LBB133_68
; %bb.67:
	s_clause 0x1
	s_load_b128 s[4:7], s[0:1], 0x10
	s_load_b32 s2, s[0:1], 0xc8
	s_waitcnt lgkmcnt(0)
	v_mul_hi_u32 v4, s5, v5
	s_delay_alu instid0(VALU_DEP_1) | instskip(NEXT) | instid1(VALU_DEP_1)
	v_add_nc_u32_e32 v4, v5, v4
	v_lshrrev_b32_e32 v4, s6, v4
	s_delay_alu instid0(VALU_DEP_1) | instskip(NEXT) | instid1(VALU_DEP_1)
	v_mul_lo_u32 v4, v4, s4
	v_sub_nc_u32_e32 v9, v5, v4
	s_delay_alu instid0(VALU_DEP_1) | instskip(NEXT) | instid1(VALU_DEP_1)
	v_mad_u64_u32 v[4:5], null, v9, s2, v[3:4]
	v_mov_b32_e32 v3, v4
.LBB133_68:
	v_cmp_ne_u32_e32 vcc_lo, 1, v7
	v_add_nc_u32_e32 v5, 0x200, v6
	s_cbranch_vccnz .LBB133_74
; %bb.69:
	v_mov_b32_e32 v4, 0
	s_cmp_eq_u32 s18, 0
	s_mov_b32 s6, 0
	s_cbranch_scc1 .LBB133_78
; %bb.70:
	s_min_u32 s7, s19, 15
	v_mov_b32_e32 v4, 0
	s_add_i32 s7, s7, 1
	s_cmp_eq_u32 s19, 2
	s_mov_b32 s8, 0
	s_cbranch_scc1 .LBB133_75
; %bb.71:
	v_dual_mov_b32 v4, 0 :: v_dual_mov_b32 v9, v5
	s_add_u32 s2, s0, 0xc4
	s_addc_u32 s3, s1, 0
	s_and_b32 s8, s7, 28
	s_mov_b32 s9, 0
	s_mov_b64 s[4:5], s[0:1]
.LBB133_72:                             ; =>This Inner Loop Header: Depth=1
	s_clause 0x1
	s_load_b256 s[20:27], s[4:5], 0x4
	s_load_b128 s[12:15], s[4:5], 0x24
	s_load_b128 s[28:31], s[2:3], 0x0
	s_add_u32 s4, s4, 48
	s_addc_u32 s5, s5, 0
	s_add_i32 s9, s9, 4
	s_add_u32 s2, s2, 16
	s_addc_u32 s3, s3, 0
	s_cmp_lg_u32 s8, s9
	s_waitcnt lgkmcnt(0)
	v_mul_hi_u32 v10, s21, v9
	s_delay_alu instid0(VALU_DEP_1) | instskip(NEXT) | instid1(VALU_DEP_1)
	v_add_nc_u32_e32 v10, v9, v10
	v_lshrrev_b32_e32 v10, s22, v10
	s_delay_alu instid0(VALU_DEP_1) | instskip(SKIP_1) | instid1(VALU_DEP_2)
	v_mul_hi_u32 v11, s24, v10
	v_mul_lo_u32 v14, v10, s20
	v_add_nc_u32_e32 v11, v10, v11
	s_delay_alu instid0(VALU_DEP_2) | instskip(NEXT) | instid1(VALU_DEP_2)
	v_sub_nc_u32_e32 v14, v9, v14
	v_lshrrev_b32_e32 v11, s25, v11
	s_delay_alu instid0(VALU_DEP_2) | instskip(NEXT) | instid1(VALU_DEP_2)
	v_mul_lo_u32 v14, v14, s28
	v_mul_hi_u32 v12, s27, v11
	v_mul_lo_u32 v15, v11, s23
	s_delay_alu instid0(VALU_DEP_2) | instskip(NEXT) | instid1(VALU_DEP_2)
	v_add_nc_u32_e32 v12, v11, v12
	v_sub_nc_u32_e32 v10, v10, v15
	s_delay_alu instid0(VALU_DEP_2) | instskip(NEXT) | instid1(VALU_DEP_2)
	v_lshrrev_b32_e32 v12, s12, v12
	v_mul_lo_u32 v10, v10, s29
	s_delay_alu instid0(VALU_DEP_2) | instskip(NEXT) | instid1(VALU_DEP_2)
	v_mul_hi_u32 v13, s14, v12
	v_add3_u32 v4, v14, v4, v10
	s_delay_alu instid0(VALU_DEP_2) | instskip(NEXT) | instid1(VALU_DEP_1)
	v_add_nc_u32_e32 v13, v12, v13
	v_lshrrev_b32_e32 v9, s15, v13
	v_mul_lo_u32 v13, v12, s26
	s_delay_alu instid0(VALU_DEP_2) | instskip(NEXT) | instid1(VALU_DEP_2)
	v_mul_lo_u32 v16, v9, s13
	v_sub_nc_u32_e32 v11, v11, v13
	s_delay_alu instid0(VALU_DEP_2) | instskip(NEXT) | instid1(VALU_DEP_2)
	v_sub_nc_u32_e32 v12, v12, v16
	v_mul_lo_u32 v11, v11, s30
	s_delay_alu instid0(VALU_DEP_2) | instskip(NEXT) | instid1(VALU_DEP_1)
	v_mul_lo_u32 v12, v12, s31
	v_add3_u32 v4, v11, v4, v12
	s_cbranch_scc1 .LBB133_72
; %bb.73:
	s_and_b32 s7, s7, 3
	s_delay_alu instid0(SALU_CYCLE_1)
	s_cmp_eq_u32 s7, 0
	s_cbranch_scc0 .LBB133_76
	s_branch .LBB133_78
.LBB133_74:
	s_mov_b32 s6, -1
                                        ; implicit-def: $vgpr4
	s_branch .LBB133_78
.LBB133_75:
	v_mov_b32_e32 v9, v5
	s_and_b32 s7, s7, 3
	s_delay_alu instid0(SALU_CYCLE_1)
	s_cmp_eq_u32 s7, 0
	s_cbranch_scc1 .LBB133_78
.LBB133_76:
	s_lshl_b32 s2, s8, 2
	s_mul_i32 s4, s8, 12
	s_add_u32 s2, s2, s0
	s_addc_u32 s3, 0, s1
	s_add_u32 s2, s2, 0xc4
	s_addc_u32 s3, s3, 0
	s_add_u32 s4, s0, s4
	s_addc_u32 s5, 0, s1
	.p2align	6
.LBB133_77:                             ; =>This Inner Loop Header: Depth=1
	s_clause 0x1
	s_load_b64 s[8:9], s[4:5], 0x4
	s_load_b32 s10, s[4:5], 0xc
	s_add_u32 s4, s4, 12
	s_addc_u32 s5, s5, 0
	s_waitcnt lgkmcnt(0)
	v_mul_hi_u32 v10, s9, v9
	s_load_b32 s9, s[2:3], 0x0
	s_add_u32 s2, s2, 4
	s_addc_u32 s3, s3, 0
	s_add_i32 s7, s7, -1
	s_delay_alu instid0(SALU_CYCLE_1) | instskip(NEXT) | instid1(VALU_DEP_1)
	s_cmp_lg_u32 s7, 0
	v_add_nc_u32_e32 v10, v9, v10
	s_delay_alu instid0(VALU_DEP_1) | instskip(NEXT) | instid1(VALU_DEP_1)
	v_lshrrev_b32_e32 v12, s10, v10
	v_mul_lo_u32 v10, v12, s8
	s_delay_alu instid0(VALU_DEP_1) | instskip(SKIP_1) | instid1(VALU_DEP_1)
	v_sub_nc_u32_e32 v9, v9, v10
	s_waitcnt lgkmcnt(0)
	v_mad_u64_u32 v[10:11], null, v9, s9, v[4:5]
	s_delay_alu instid0(VALU_DEP_1)
	v_dual_mov_b32 v9, v12 :: v_dual_mov_b32 v4, v10
	s_cbranch_scc1 .LBB133_77
.LBB133_78:
	s_and_not1_b32 vcc_lo, exec_lo, s6
	s_cbranch_vccnz .LBB133_81
; %bb.79:
	s_clause 0x1
	s_load_b128 s[4:7], s[0:1], 0x4
	s_load_b32 s2, s[0:1], 0xc4
	s_cmp_lt_u32 s18, 2
	s_waitcnt lgkmcnt(0)
	v_mul_hi_u32 v4, s5, v5
	s_delay_alu instid0(VALU_DEP_1) | instskip(NEXT) | instid1(VALU_DEP_1)
	v_add_nc_u32_e32 v4, v5, v4
	v_lshrrev_b32_e32 v9, s6, v4
	s_delay_alu instid0(VALU_DEP_1) | instskip(NEXT) | instid1(VALU_DEP_1)
	v_mul_lo_u32 v4, v9, s4
	v_sub_nc_u32_e32 v4, v5, v4
	s_delay_alu instid0(VALU_DEP_1)
	v_mul_lo_u32 v4, v4, s2
	s_cbranch_scc1 .LBB133_81
; %bb.80:
	s_clause 0x1
	s_load_b128 s[4:7], s[0:1], 0x10
	s_load_b32 s2, s[0:1], 0xc8
	s_waitcnt lgkmcnt(0)
	v_mul_hi_u32 v5, s5, v9
	s_delay_alu instid0(VALU_DEP_1) | instskip(NEXT) | instid1(VALU_DEP_1)
	v_add_nc_u32_e32 v5, v9, v5
	v_lshrrev_b32_e32 v5, s6, v5
	s_delay_alu instid0(VALU_DEP_1) | instskip(NEXT) | instid1(VALU_DEP_1)
	v_mul_lo_u32 v5, v5, s4
	v_sub_nc_u32_e32 v5, v9, v5
	s_delay_alu instid0(VALU_DEP_1) | instskip(NEXT) | instid1(VALU_DEP_1)
	v_mad_u64_u32 v[9:10], null, v5, s2, v[4:5]
	v_mov_b32_e32 v4, v9
.LBB133_81:
	v_cmp_ne_u32_e32 vcc_lo, 1, v7
	v_add_nc_u32_e32 v9, 0x280, v6
	s_cbranch_vccnz .LBB133_87
; %bb.82:
	v_mov_b32_e32 v5, 0
	s_cmp_eq_u32 s18, 0
	s_mov_b32 s6, 0
	s_cbranch_scc1 .LBB133_91
; %bb.83:
	s_min_u32 s7, s19, 15
	v_mov_b32_e32 v5, 0
	s_add_i32 s7, s7, 1
	s_cmp_eq_u32 s19, 2
	s_mov_b32 s8, 0
	s_cbranch_scc1 .LBB133_88
; %bb.84:
	v_dual_mov_b32 v5, 0 :: v_dual_mov_b32 v10, v9
	s_add_u32 s2, s0, 0xc4
	s_addc_u32 s3, s1, 0
	s_and_b32 s8, s7, 28
	s_mov_b32 s9, 0
	s_mov_b64 s[4:5], s[0:1]
.LBB133_85:                             ; =>This Inner Loop Header: Depth=1
	s_clause 0x1
	s_load_b256 s[20:27], s[4:5], 0x4
	s_load_b128 s[12:15], s[4:5], 0x24
	s_load_b128 s[28:31], s[2:3], 0x0
	s_add_u32 s4, s4, 48
	s_addc_u32 s5, s5, 0
	s_add_i32 s9, s9, 4
	s_add_u32 s2, s2, 16
	s_addc_u32 s3, s3, 0
	s_cmp_lg_u32 s8, s9
	s_waitcnt lgkmcnt(0)
	v_mul_hi_u32 v11, s21, v10
	s_delay_alu instid0(VALU_DEP_1) | instskip(NEXT) | instid1(VALU_DEP_1)
	v_add_nc_u32_e32 v11, v10, v11
	v_lshrrev_b32_e32 v11, s22, v11
	s_delay_alu instid0(VALU_DEP_1) | instskip(SKIP_1) | instid1(VALU_DEP_2)
	v_mul_hi_u32 v12, s24, v11
	v_mul_lo_u32 v15, v11, s20
	v_add_nc_u32_e32 v12, v11, v12
	s_delay_alu instid0(VALU_DEP_2) | instskip(NEXT) | instid1(VALU_DEP_2)
	v_sub_nc_u32_e32 v15, v10, v15
	v_lshrrev_b32_e32 v12, s25, v12
	s_delay_alu instid0(VALU_DEP_2) | instskip(NEXT) | instid1(VALU_DEP_2)
	v_mul_lo_u32 v15, v15, s28
	v_mul_hi_u32 v13, s27, v12
	v_mul_lo_u32 v16, v12, s23
	s_delay_alu instid0(VALU_DEP_2) | instskip(NEXT) | instid1(VALU_DEP_2)
	v_add_nc_u32_e32 v13, v12, v13
	v_sub_nc_u32_e32 v11, v11, v16
	s_delay_alu instid0(VALU_DEP_2) | instskip(NEXT) | instid1(VALU_DEP_2)
	v_lshrrev_b32_e32 v13, s12, v13
	v_mul_lo_u32 v11, v11, s29
	s_delay_alu instid0(VALU_DEP_2) | instskip(NEXT) | instid1(VALU_DEP_2)
	v_mul_hi_u32 v14, s14, v13
	v_add3_u32 v5, v15, v5, v11
	s_delay_alu instid0(VALU_DEP_2) | instskip(NEXT) | instid1(VALU_DEP_1)
	v_add_nc_u32_e32 v14, v13, v14
	v_lshrrev_b32_e32 v10, s15, v14
	v_mul_lo_u32 v14, v13, s26
	s_delay_alu instid0(VALU_DEP_2) | instskip(NEXT) | instid1(VALU_DEP_2)
	v_mul_lo_u32 v17, v10, s13
	v_sub_nc_u32_e32 v12, v12, v14
	s_delay_alu instid0(VALU_DEP_2) | instskip(NEXT) | instid1(VALU_DEP_2)
	v_sub_nc_u32_e32 v13, v13, v17
	v_mul_lo_u32 v12, v12, s30
	s_delay_alu instid0(VALU_DEP_2) | instskip(NEXT) | instid1(VALU_DEP_1)
	v_mul_lo_u32 v13, v13, s31
	v_add3_u32 v5, v12, v5, v13
	s_cbranch_scc1 .LBB133_85
; %bb.86:
	s_and_b32 s7, s7, 3
	s_delay_alu instid0(SALU_CYCLE_1)
	s_cmp_eq_u32 s7, 0
	s_cbranch_scc0 .LBB133_89
	s_branch .LBB133_91
.LBB133_87:
	s_mov_b32 s6, -1
                                        ; implicit-def: $vgpr5
	s_branch .LBB133_91
.LBB133_88:
	v_mov_b32_e32 v10, v9
	s_and_b32 s7, s7, 3
	s_delay_alu instid0(SALU_CYCLE_1)
	s_cmp_eq_u32 s7, 0
	s_cbranch_scc1 .LBB133_91
.LBB133_89:
	s_lshl_b32 s2, s8, 2
	s_mul_i32 s4, s8, 12
	s_add_u32 s2, s2, s0
	s_addc_u32 s3, 0, s1
	s_add_u32 s2, s2, 0xc4
	s_addc_u32 s3, s3, 0
	;; [unrolled: 2-line block ×3, first 2 shown]
	.p2align	6
.LBB133_90:                             ; =>This Inner Loop Header: Depth=1
	s_clause 0x1
	s_load_b64 s[8:9], s[4:5], 0x4
	s_load_b32 s10, s[4:5], 0xc
	s_add_u32 s4, s4, 12
	s_addc_u32 s5, s5, 0
	s_waitcnt lgkmcnt(0)
	v_mul_hi_u32 v11, s9, v10
	s_load_b32 s9, s[2:3], 0x0
	s_add_u32 s2, s2, 4
	s_addc_u32 s3, s3, 0
	s_add_i32 s7, s7, -1
	s_delay_alu instid0(SALU_CYCLE_1) | instskip(NEXT) | instid1(VALU_DEP_1)
	s_cmp_lg_u32 s7, 0
	v_add_nc_u32_e32 v11, v10, v11
	s_delay_alu instid0(VALU_DEP_1) | instskip(NEXT) | instid1(VALU_DEP_1)
	v_lshrrev_b32_e32 v13, s10, v11
	v_mul_lo_u32 v11, v13, s8
	s_delay_alu instid0(VALU_DEP_1) | instskip(SKIP_1) | instid1(VALU_DEP_1)
	v_sub_nc_u32_e32 v10, v10, v11
	s_waitcnt lgkmcnt(0)
	v_mad_u64_u32 v[11:12], null, v10, s9, v[5:6]
	s_delay_alu instid0(VALU_DEP_1)
	v_dual_mov_b32 v10, v13 :: v_dual_mov_b32 v5, v11
	s_cbranch_scc1 .LBB133_90
.LBB133_91:
	s_and_not1_b32 vcc_lo, exec_lo, s6
	s_cbranch_vccnz .LBB133_94
; %bb.92:
	s_clause 0x1
	s_load_b128 s[4:7], s[0:1], 0x4
	s_load_b32 s2, s[0:1], 0xc4
	s_cmp_lt_u32 s18, 2
	s_waitcnt lgkmcnt(0)
	v_mul_hi_u32 v5, s5, v9
	s_delay_alu instid0(VALU_DEP_1) | instskip(NEXT) | instid1(VALU_DEP_1)
	v_add_nc_u32_e32 v5, v9, v5
	v_lshrrev_b32_e32 v10, s6, v5
	s_delay_alu instid0(VALU_DEP_1) | instskip(NEXT) | instid1(VALU_DEP_1)
	v_mul_lo_u32 v5, v10, s4
	v_sub_nc_u32_e32 v5, v9, v5
	s_delay_alu instid0(VALU_DEP_1)
	v_mul_lo_u32 v5, v5, s2
	s_cbranch_scc1 .LBB133_94
; %bb.93:
	s_clause 0x1
	s_load_b128 s[4:7], s[0:1], 0x10
	s_load_b32 s2, s[0:1], 0xc8
	s_waitcnt lgkmcnt(0)
	v_mul_hi_u32 v9, s5, v10
	s_delay_alu instid0(VALU_DEP_1) | instskip(NEXT) | instid1(VALU_DEP_1)
	v_add_nc_u32_e32 v9, v10, v9
	v_lshrrev_b32_e32 v9, s6, v9
	s_delay_alu instid0(VALU_DEP_1) | instskip(NEXT) | instid1(VALU_DEP_1)
	v_mul_lo_u32 v9, v9, s4
	v_sub_nc_u32_e32 v11, v10, v9
	s_delay_alu instid0(VALU_DEP_1) | instskip(NEXT) | instid1(VALU_DEP_1)
	v_mad_u64_u32 v[9:10], null, v11, s2, v[5:6]
	v_mov_b32_e32 v5, v9
.LBB133_94:
	v_cmp_ne_u32_e32 vcc_lo, 1, v7
	v_add_nc_u32_e32 v9, 0x300, v6
	s_cbranch_vccnz .LBB133_100
; %bb.95:
	v_mov_b32_e32 v6, 0
	s_cmp_eq_u32 s18, 0
	s_mov_b32 s6, 0
	s_cbranch_scc1 .LBB133_104
; %bb.96:
	s_min_u32 s7, s19, 15
	v_mov_b32_e32 v6, 0
	s_add_i32 s7, s7, 1
	s_cmp_eq_u32 s19, 2
	s_mov_b32 s8, 0
	s_cbranch_scc1 .LBB133_101
; %bb.97:
	v_mov_b32_e32 v6, 0
	v_mov_b32_e32 v10, v9
	s_add_u32 s2, s0, 0xc4
	s_addc_u32 s3, s1, 0
	s_and_b32 s8, s7, 28
	s_mov_b32 s9, 0
	s_mov_b64 s[4:5], s[0:1]
.LBB133_98:                             ; =>This Inner Loop Header: Depth=1
	s_clause 0x1
	s_load_b256 s[20:27], s[4:5], 0x4
	s_load_b128 s[12:15], s[4:5], 0x24
	s_load_b128 s[28:31], s[2:3], 0x0
	s_add_u32 s4, s4, 48
	s_addc_u32 s5, s5, 0
	s_add_i32 s9, s9, 4
	s_add_u32 s2, s2, 16
	s_addc_u32 s3, s3, 0
	s_cmp_lg_u32 s8, s9
	s_waitcnt lgkmcnt(0)
	v_mul_hi_u32 v11, s21, v10
	s_delay_alu instid0(VALU_DEP_1) | instskip(NEXT) | instid1(VALU_DEP_1)
	v_add_nc_u32_e32 v11, v10, v11
	v_lshrrev_b32_e32 v11, s22, v11
	s_delay_alu instid0(VALU_DEP_1) | instskip(SKIP_1) | instid1(VALU_DEP_2)
	v_mul_hi_u32 v12, s24, v11
	v_mul_lo_u32 v15, v11, s20
	v_add_nc_u32_e32 v12, v11, v12
	s_delay_alu instid0(VALU_DEP_2) | instskip(NEXT) | instid1(VALU_DEP_2)
	v_sub_nc_u32_e32 v15, v10, v15
	v_lshrrev_b32_e32 v12, s25, v12
	s_delay_alu instid0(VALU_DEP_2) | instskip(NEXT) | instid1(VALU_DEP_2)
	v_mul_lo_u32 v15, v15, s28
	v_mul_hi_u32 v13, s27, v12
	v_mul_lo_u32 v16, v12, s23
	s_delay_alu instid0(VALU_DEP_2) | instskip(NEXT) | instid1(VALU_DEP_2)
	v_add_nc_u32_e32 v13, v12, v13
	v_sub_nc_u32_e32 v11, v11, v16
	s_delay_alu instid0(VALU_DEP_2) | instskip(NEXT) | instid1(VALU_DEP_2)
	v_lshrrev_b32_e32 v13, s12, v13
	v_mul_lo_u32 v11, v11, s29
	s_delay_alu instid0(VALU_DEP_2) | instskip(NEXT) | instid1(VALU_DEP_2)
	v_mul_hi_u32 v14, s14, v13
	v_add3_u32 v6, v15, v6, v11
	s_delay_alu instid0(VALU_DEP_2) | instskip(NEXT) | instid1(VALU_DEP_1)
	v_add_nc_u32_e32 v14, v13, v14
	v_lshrrev_b32_e32 v10, s15, v14
	v_mul_lo_u32 v14, v13, s26
	s_delay_alu instid0(VALU_DEP_2) | instskip(NEXT) | instid1(VALU_DEP_2)
	v_mul_lo_u32 v17, v10, s13
	v_sub_nc_u32_e32 v12, v12, v14
	s_delay_alu instid0(VALU_DEP_2) | instskip(NEXT) | instid1(VALU_DEP_2)
	v_sub_nc_u32_e32 v13, v13, v17
	v_mul_lo_u32 v12, v12, s30
	s_delay_alu instid0(VALU_DEP_2) | instskip(NEXT) | instid1(VALU_DEP_1)
	v_mul_lo_u32 v13, v13, s31
	v_add3_u32 v6, v12, v6, v13
	s_cbranch_scc1 .LBB133_98
; %bb.99:
	s_and_b32 s7, s7, 3
	s_delay_alu instid0(SALU_CYCLE_1)
	s_cmp_eq_u32 s7, 0
	s_cbranch_scc0 .LBB133_102
	s_branch .LBB133_104
.LBB133_100:
	s_mov_b32 s6, -1
                                        ; implicit-def: $vgpr6
	s_branch .LBB133_104
.LBB133_101:
	v_mov_b32_e32 v10, v9
	s_and_b32 s7, s7, 3
	s_delay_alu instid0(SALU_CYCLE_1)
	s_cmp_eq_u32 s7, 0
	s_cbranch_scc1 .LBB133_104
.LBB133_102:
	s_lshl_b32 s2, s8, 2
	s_mul_i32 s4, s8, 12
	s_add_u32 s2, s2, s0
	s_addc_u32 s3, 0, s1
	s_add_u32 s2, s2, 0xc4
	s_addc_u32 s3, s3, 0
	;; [unrolled: 2-line block ×3, first 2 shown]
	.p2align	6
.LBB133_103:                            ; =>This Inner Loop Header: Depth=1
	s_clause 0x1
	s_load_b64 s[8:9], s[4:5], 0x4
	s_load_b32 s10, s[4:5], 0xc
	s_add_u32 s4, s4, 12
	s_addc_u32 s5, s5, 0
	s_waitcnt lgkmcnt(0)
	v_mul_hi_u32 v11, s9, v10
	s_load_b32 s9, s[2:3], 0x0
	s_add_u32 s2, s2, 4
	s_addc_u32 s3, s3, 0
	s_add_i32 s7, s7, -1
	s_delay_alu instid0(SALU_CYCLE_1) | instskip(NEXT) | instid1(VALU_DEP_1)
	s_cmp_lg_u32 s7, 0
	v_add_nc_u32_e32 v11, v10, v11
	s_delay_alu instid0(VALU_DEP_1) | instskip(NEXT) | instid1(VALU_DEP_1)
	v_lshrrev_b32_e32 v13, s10, v11
	v_mul_lo_u32 v11, v13, s8
	s_delay_alu instid0(VALU_DEP_1) | instskip(SKIP_1) | instid1(VALU_DEP_1)
	v_sub_nc_u32_e32 v10, v10, v11
	s_waitcnt lgkmcnt(0)
	v_mad_u64_u32 v[11:12], null, v10, s9, v[6:7]
	v_mov_b32_e32 v10, v13
	s_delay_alu instid0(VALU_DEP_2)
	v_mov_b32_e32 v6, v11
	s_cbranch_scc1 .LBB133_103
.LBB133_104:
	s_and_not1_b32 vcc_lo, exec_lo, s6
	s_cbranch_vccnz .LBB133_107
; %bb.105:
	s_clause 0x1
	s_load_b128 s[4:7], s[0:1], 0x4
	s_load_b32 s2, s[0:1], 0xc4
	s_cmp_lt_u32 s18, 2
	s_waitcnt lgkmcnt(0)
	v_mul_hi_u32 v6, s5, v9
	s_delay_alu instid0(VALU_DEP_1) | instskip(NEXT) | instid1(VALU_DEP_1)
	v_add_nc_u32_e32 v6, v9, v6
	v_lshrrev_b32_e32 v10, s6, v6
	s_delay_alu instid0(VALU_DEP_1) | instskip(NEXT) | instid1(VALU_DEP_1)
	v_mul_lo_u32 v6, v10, s4
	v_sub_nc_u32_e32 v6, v9, v6
	s_delay_alu instid0(VALU_DEP_1)
	v_mul_lo_u32 v6, v6, s2
	s_cbranch_scc1 .LBB133_107
; %bb.106:
	s_clause 0x1
	s_load_b128 s[4:7], s[0:1], 0x10
	s_load_b32 s2, s[0:1], 0xc8
	s_waitcnt lgkmcnt(0)
	v_mul_hi_u32 v9, s5, v10
	s_delay_alu instid0(VALU_DEP_1) | instskip(NEXT) | instid1(VALU_DEP_1)
	v_add_nc_u32_e32 v9, v10, v9
	v_lshrrev_b32_e32 v9, s6, v9
	s_delay_alu instid0(VALU_DEP_1) | instskip(NEXT) | instid1(VALU_DEP_1)
	v_mul_lo_u32 v9, v9, s4
	v_sub_nc_u32_e32 v11, v10, v9
	s_delay_alu instid0(VALU_DEP_1) | instskip(NEXT) | instid1(VALU_DEP_1)
	v_mad_u64_u32 v[9:10], null, v11, s2, v[6:7]
	v_mov_b32_e32 v6, v9
.LBB133_107:
	v_cmp_ne_u32_e32 vcc_lo, 1, v7
	s_cbranch_vccnz .LBB133_113
; %bb.108:
	v_mov_b32_e32 v7, 0
	s_cmp_eq_u32 s18, 0
	s_mov_b32 s6, 0
	s_cbranch_scc1 .LBB133_117
; %bb.109:
	s_min_u32 s7, s19, 15
	v_mov_b32_e32 v7, 0
	s_add_i32 s7, s7, 1
	s_cmp_eq_u32 s19, 2
	s_mov_b32 s8, 0
	s_cbranch_scc1 .LBB133_114
; %bb.110:
	v_mov_b32_e32 v7, 0
	v_mov_b32_e32 v9, v8
	s_add_u32 s2, s0, 0xc4
	s_addc_u32 s3, s1, 0
	s_and_b32 s8, s7, 28
	s_mov_b32 s9, 0
	s_mov_b64 s[4:5], s[0:1]
.LBB133_111:                            ; =>This Inner Loop Header: Depth=1
	s_clause 0x1
	s_load_b256 s[20:27], s[4:5], 0x4
	s_load_b128 s[12:15], s[4:5], 0x24
	s_load_b128 s[28:31], s[2:3], 0x0
	s_add_u32 s4, s4, 48
	s_addc_u32 s5, s5, 0
	s_add_i32 s9, s9, 4
	s_add_u32 s2, s2, 16
	s_addc_u32 s3, s3, 0
	s_cmp_lg_u32 s8, s9
	s_waitcnt lgkmcnt(0)
	v_mul_hi_u32 v10, s21, v9
	s_delay_alu instid0(VALU_DEP_1) | instskip(NEXT) | instid1(VALU_DEP_1)
	v_add_nc_u32_e32 v10, v9, v10
	v_lshrrev_b32_e32 v10, s22, v10
	s_delay_alu instid0(VALU_DEP_1) | instskip(SKIP_1) | instid1(VALU_DEP_2)
	v_mul_hi_u32 v11, s24, v10
	v_mul_lo_u32 v14, v10, s20
	v_add_nc_u32_e32 v11, v10, v11
	s_delay_alu instid0(VALU_DEP_2) | instskip(NEXT) | instid1(VALU_DEP_2)
	v_sub_nc_u32_e32 v14, v9, v14
	v_lshrrev_b32_e32 v11, s25, v11
	s_delay_alu instid0(VALU_DEP_2) | instskip(NEXT) | instid1(VALU_DEP_2)
	v_mul_lo_u32 v14, v14, s28
	v_mul_hi_u32 v12, s27, v11
	v_mul_lo_u32 v15, v11, s23
	s_delay_alu instid0(VALU_DEP_2) | instskip(NEXT) | instid1(VALU_DEP_2)
	v_add_nc_u32_e32 v12, v11, v12
	v_sub_nc_u32_e32 v10, v10, v15
	s_delay_alu instid0(VALU_DEP_2) | instskip(NEXT) | instid1(VALU_DEP_2)
	v_lshrrev_b32_e32 v12, s12, v12
	v_mul_lo_u32 v10, v10, s29
	s_delay_alu instid0(VALU_DEP_2) | instskip(NEXT) | instid1(VALU_DEP_2)
	v_mul_hi_u32 v13, s14, v12
	v_add3_u32 v7, v14, v7, v10
	s_delay_alu instid0(VALU_DEP_2) | instskip(NEXT) | instid1(VALU_DEP_1)
	v_add_nc_u32_e32 v13, v12, v13
	v_lshrrev_b32_e32 v9, s15, v13
	v_mul_lo_u32 v13, v12, s26
	s_delay_alu instid0(VALU_DEP_2) | instskip(NEXT) | instid1(VALU_DEP_2)
	v_mul_lo_u32 v16, v9, s13
	v_sub_nc_u32_e32 v11, v11, v13
	s_delay_alu instid0(VALU_DEP_2) | instskip(NEXT) | instid1(VALU_DEP_2)
	v_sub_nc_u32_e32 v12, v12, v16
	v_mul_lo_u32 v11, v11, s30
	s_delay_alu instid0(VALU_DEP_2) | instskip(NEXT) | instid1(VALU_DEP_1)
	v_mul_lo_u32 v12, v12, s31
	v_add3_u32 v7, v11, v7, v12
	s_cbranch_scc1 .LBB133_111
; %bb.112:
	s_and_b32 s7, s7, 3
	s_delay_alu instid0(SALU_CYCLE_1)
	s_cmp_eq_u32 s7, 0
	s_cbranch_scc0 .LBB133_115
	s_branch .LBB133_117
.LBB133_113:
	s_mov_b32 s6, -1
                                        ; implicit-def: $vgpr7
	s_branch .LBB133_117
.LBB133_114:
	v_mov_b32_e32 v9, v8
	s_and_b32 s7, s7, 3
	s_delay_alu instid0(SALU_CYCLE_1)
	s_cmp_eq_u32 s7, 0
	s_cbranch_scc1 .LBB133_117
.LBB133_115:
	s_lshl_b32 s2, s8, 2
	s_mul_i32 s4, s8, 12
	s_add_u32 s2, s2, s0
	s_addc_u32 s3, 0, s1
	s_add_u32 s2, s2, 0xc4
	s_addc_u32 s3, s3, 0
	;; [unrolled: 2-line block ×3, first 2 shown]
	.p2align	6
.LBB133_116:                            ; =>This Inner Loop Header: Depth=1
	s_clause 0x1
	s_load_b64 s[8:9], s[4:5], 0x4
	s_load_b32 s10, s[4:5], 0xc
	s_add_u32 s4, s4, 12
	s_addc_u32 s5, s5, 0
	s_waitcnt lgkmcnt(0)
	v_mul_hi_u32 v10, s9, v9
	s_load_b32 s9, s[2:3], 0x0
	s_add_u32 s2, s2, 4
	s_addc_u32 s3, s3, 0
	s_add_i32 s7, s7, -1
	s_delay_alu instid0(SALU_CYCLE_1) | instskip(NEXT) | instid1(VALU_DEP_1)
	s_cmp_lg_u32 s7, 0
	v_add_nc_u32_e32 v10, v9, v10
	s_delay_alu instid0(VALU_DEP_1) | instskip(NEXT) | instid1(VALU_DEP_1)
	v_lshrrev_b32_e32 v12, s10, v10
	v_mul_lo_u32 v10, v12, s8
	s_delay_alu instid0(VALU_DEP_1) | instskip(SKIP_1) | instid1(VALU_DEP_1)
	v_sub_nc_u32_e32 v9, v9, v10
	s_waitcnt lgkmcnt(0)
	v_mad_u64_u32 v[10:11], null, v9, s9, v[7:8]
	v_mov_b32_e32 v9, v12
	s_delay_alu instid0(VALU_DEP_2)
	v_mov_b32_e32 v7, v10
	s_cbranch_scc1 .LBB133_116
.LBB133_117:
	s_and_not1_b32 vcc_lo, exec_lo, s6
	s_cbranch_vccnz .LBB133_120
; %bb.118:
	s_clause 0x1
	s_load_b128 s[4:7], s[0:1], 0x4
	s_load_b32 s2, s[0:1], 0xc4
	s_cmp_lt_u32 s18, 2
	s_waitcnt lgkmcnt(0)
	v_mul_hi_u32 v7, s5, v8
	s_delay_alu instid0(VALU_DEP_1) | instskip(NEXT) | instid1(VALU_DEP_1)
	v_add_nc_u32_e32 v7, v8, v7
	v_lshrrev_b32_e32 v9, s6, v7
	s_delay_alu instid0(VALU_DEP_1) | instskip(NEXT) | instid1(VALU_DEP_1)
	v_mul_lo_u32 v7, v9, s4
	v_sub_nc_u32_e32 v7, v8, v7
	s_delay_alu instid0(VALU_DEP_1)
	v_mul_lo_u32 v7, v7, s2
	s_cbranch_scc1 .LBB133_120
; %bb.119:
	s_clause 0x1
	s_load_b128 s[4:7], s[0:1], 0x10
	s_load_b32 s2, s[0:1], 0xc8
	s_waitcnt lgkmcnt(0)
	v_mul_hi_u32 v8, s5, v9
	s_delay_alu instid0(VALU_DEP_1) | instskip(NEXT) | instid1(VALU_DEP_1)
	v_add_nc_u32_e32 v8, v9, v8
	v_lshrrev_b32_e32 v8, s6, v8
	s_delay_alu instid0(VALU_DEP_1) | instskip(NEXT) | instid1(VALU_DEP_1)
	v_mul_lo_u32 v8, v8, s4
	v_sub_nc_u32_e32 v10, v9, v8
	s_delay_alu instid0(VALU_DEP_1) | instskip(NEXT) | instid1(VALU_DEP_1)
	v_mad_u64_u32 v[8:9], null, v10, s2, v[7:8]
	v_mov_b32_e32 v7, v8
.LBB133_120:
	s_clause 0x1
	s_load_b32 s2, s[0:1], 0x110
	s_load_b64 s[0:1], s[0:1], 0x108
	s_waitcnt lgkmcnt(0)
	v_mov_b32_e32 v8, s2
	s_clause 0x7
	global_store_b8 v0, v8, s[0:1]
	global_store_b8 v1, v8, s[0:1]
	;; [unrolled: 1-line block ×8, first 2 shown]
	s_nop 0
	s_sendmsg sendmsg(MSG_DEALLOC_VGPRS)
	s_endpgm
.LBB133_121:
	v_mov_b32_e32 v1, v6
.LBB133_122:
	s_and_b32 s29, s29, 3
	s_delay_alu instid0(SALU_CYCLE_1)
	s_cmp_eq_u32 s29, 0
	s_cbranch_scc1 .LBB133_125
; %bb.123:
	s_lshl_b32 s14, s28, 2
	s_mul_i32 s16, s28, 12
	s_add_u32 s14, s14, s0
	s_addc_u32 s15, s1, 0
	s_add_u32 s14, s14, 0xc4
	s_addc_u32 s15, s15, 0
	;; [unrolled: 2-line block ×3, first 2 shown]
	.p2align	6
.LBB133_124:                            ; =>This Inner Loop Header: Depth=1
	s_clause 0x1
	s_load_b64 s[30:31], s[16:17], 0x4
	s_load_b32 s28, s[16:17], 0xc
	s_add_u32 s16, s16, 12
	s_addc_u32 s17, s17, 0
	s_waitcnt lgkmcnt(0)
	v_mul_hi_u32 v2, s31, v1
	s_load_b32 s31, s[14:15], 0x0
	s_add_u32 s14, s14, 4
	s_addc_u32 s15, s15, 0
	s_add_i32 s29, s29, -1
	s_delay_alu instid0(SALU_CYCLE_1) | instskip(NEXT) | instid1(VALU_DEP_1)
	s_cmp_lg_u32 s29, 0
	v_add_nc_u32_e32 v2, v1, v2
	s_delay_alu instid0(VALU_DEP_1) | instskip(NEXT) | instid1(VALU_DEP_1)
	v_lshrrev_b32_e32 v4, s28, v2
	v_mul_lo_u32 v2, v4, s30
	s_delay_alu instid0(VALU_DEP_1) | instskip(SKIP_1) | instid1(VALU_DEP_1)
	v_sub_nc_u32_e32 v1, v1, v2
	s_waitcnt lgkmcnt(0)
	v_mad_u64_u32 v[2:3], null, v1, s31, v[0:1]
	s_delay_alu instid0(VALU_DEP_1)
	v_dual_mov_b32 v1, v4 :: v_dual_mov_b32 v0, v2
	s_cbranch_scc1 .LBB133_124
.LBB133_125:
	s_cbranch_execnz .LBB133_128
.LBB133_126:
	s_waitcnt lgkmcnt(0)
	v_mul_hi_u32 v0, s5, v6
	s_and_not1_b32 vcc_lo, exec_lo, s23
	s_delay_alu instid0(VALU_DEP_1) | instskip(NEXT) | instid1(VALU_DEP_1)
	v_add_nc_u32_e32 v0, v6, v0
	v_lshrrev_b32_e32 v1, s6, v0
	s_delay_alu instid0(VALU_DEP_1) | instskip(NEXT) | instid1(VALU_DEP_1)
	v_mul_lo_u32 v0, v1, s4
	v_sub_nc_u32_e32 v0, v6, v0
	s_delay_alu instid0(VALU_DEP_1)
	v_mul_lo_u32 v0, v0, s8
	s_cbranch_vccnz .LBB133_128
; %bb.127:
	v_mul_hi_u32 v2, s10, v1
	s_delay_alu instid0(VALU_DEP_1) | instskip(NEXT) | instid1(VALU_DEP_1)
	v_add_nc_u32_e32 v2, v1, v2
	v_lshrrev_b32_e32 v2, s11, v2
	s_delay_alu instid0(VALU_DEP_1) | instskip(NEXT) | instid1(VALU_DEP_1)
	v_mul_lo_u32 v2, v2, s7
	v_sub_nc_u32_e32 v3, v1, v2
	s_delay_alu instid0(VALU_DEP_1) | instskip(NEXT) | instid1(VALU_DEP_1)
	v_mad_u64_u32 v[1:2], null, v3, s9, v[0:1]
	v_mov_b32_e32 v0, v1
.LBB133_128:
	s_waitcnt lgkmcnt(0)
	v_dual_mov_b32 v1, s22 :: v_dual_add_nc_u32 v6, 0x80, v6
	global_store_b8 v0, v1, s[2:3]
	s_or_b32 exec_lo, exec_lo, s27
	s_delay_alu instid0(SALU_CYCLE_1)
	s_mov_b32 s27, exec_lo
	v_cmpx_gt_i32_e64 s24, v6
	s_cbranch_execnz .LBB133_15
.LBB133_129:
	s_or_b32 exec_lo, exec_lo, s27
	s_delay_alu instid0(SALU_CYCLE_1)
	s_mov_b32 s27, exec_lo
	v_cmpx_gt_i32_e64 s24, v6
	s_cbranch_execz .LBB133_144
.LBB133_130:
	s_and_not1_b32 vcc_lo, exec_lo, s20
	s_cbranch_vccnz .LBB133_135
; %bb.131:
	v_mov_b32_e32 v0, 0
	s_and_not1_b32 vcc_lo, exec_lo, s26
	s_cbranch_vccnz .LBB133_155
; %bb.132:
	s_add_i32 s29, s25, 1
	s_cmp_eq_u32 s19, 2
	s_mov_b32 s28, 0
	s_cbranch_scc1 .LBB133_151
; %bb.133:
	v_dual_mov_b32 v0, 0 :: v_dual_mov_b32 v1, v6
	s_and_b32 s28, s29, 28
	s_mov_b32 s30, 0
	s_mov_b64 s[14:15], s[0:1]
	s_mov_b64 s[16:17], s[12:13]
.LBB133_134:                            ; =>This Inner Loop Header: Depth=1
	s_clause 0x1
	s_load_b256 s[36:43], s[14:15], 0x4
	s_load_b128 s[44:47], s[14:15], 0x24
	s_load_b128 s[48:51], s[16:17], 0x0
	s_add_u32 s14, s14, 48
	s_addc_u32 s15, s15, 0
	s_add_i32 s30, s30, 4
	s_add_u32 s16, s16, 16
	s_addc_u32 s17, s17, 0
	s_cmp_eq_u32 s28, s30
	s_waitcnt lgkmcnt(0)
	v_mul_hi_u32 v2, s37, v1
	s_delay_alu instid0(VALU_DEP_1) | instskip(NEXT) | instid1(VALU_DEP_1)
	v_add_nc_u32_e32 v2, v1, v2
	v_lshrrev_b32_e32 v2, s38, v2
	s_delay_alu instid0(VALU_DEP_1) | instskip(SKIP_1) | instid1(VALU_DEP_2)
	v_mul_hi_u32 v3, s40, v2
	v_mul_lo_u32 v7, v2, s36
	v_add_nc_u32_e32 v3, v2, v3
	s_delay_alu instid0(VALU_DEP_2) | instskip(NEXT) | instid1(VALU_DEP_2)
	v_sub_nc_u32_e32 v7, v1, v7
	v_lshrrev_b32_e32 v3, s41, v3
	s_delay_alu instid0(VALU_DEP_2) | instskip(NEXT) | instid1(VALU_DEP_2)
	v_mul_lo_u32 v7, v7, s48
	v_mul_hi_u32 v4, s43, v3
	v_mul_lo_u32 v8, v3, s39
	s_delay_alu instid0(VALU_DEP_2) | instskip(NEXT) | instid1(VALU_DEP_2)
	v_add_nc_u32_e32 v4, v3, v4
	v_sub_nc_u32_e32 v2, v2, v8
	s_delay_alu instid0(VALU_DEP_2) | instskip(NEXT) | instid1(VALU_DEP_2)
	v_lshrrev_b32_e32 v4, s44, v4
	v_mul_lo_u32 v2, v2, s49
	s_delay_alu instid0(VALU_DEP_2) | instskip(NEXT) | instid1(VALU_DEP_2)
	v_mul_hi_u32 v5, s46, v4
	v_add3_u32 v0, v7, v0, v2
	s_delay_alu instid0(VALU_DEP_2) | instskip(NEXT) | instid1(VALU_DEP_1)
	v_add_nc_u32_e32 v5, v4, v5
	v_lshrrev_b32_e32 v1, s47, v5
	v_mul_lo_u32 v5, v4, s42
	s_delay_alu instid0(VALU_DEP_2) | instskip(NEXT) | instid1(VALU_DEP_2)
	v_mul_lo_u32 v9, v1, s45
	v_sub_nc_u32_e32 v3, v3, v5
	s_delay_alu instid0(VALU_DEP_2) | instskip(NEXT) | instid1(VALU_DEP_2)
	v_sub_nc_u32_e32 v4, v4, v9
	v_mul_lo_u32 v3, v3, s50
	s_delay_alu instid0(VALU_DEP_2) | instskip(NEXT) | instid1(VALU_DEP_1)
	v_mul_lo_u32 v4, v4, s51
	v_add3_u32 v0, v3, v0, v4
	s_cbranch_scc0 .LBB133_134
	s_branch .LBB133_152
.LBB133_135:
                                        ; implicit-def: $vgpr0
	s_branch .LBB133_156
.LBB133_136:
	v_mov_b32_e32 v1, v6
.LBB133_137:
	s_and_b32 s29, s29, 3
	s_delay_alu instid0(SALU_CYCLE_1)
	s_cmp_eq_u32 s29, 0
	s_cbranch_scc1 .LBB133_140
; %bb.138:
	s_lshl_b32 s14, s28, 2
	s_mul_i32 s16, s28, 12
	s_add_u32 s14, s14, s0
	s_addc_u32 s15, s1, 0
	s_add_u32 s14, s14, 0xc4
	s_addc_u32 s15, s15, 0
	;; [unrolled: 2-line block ×3, first 2 shown]
	.p2align	6
.LBB133_139:                            ; =>This Inner Loop Header: Depth=1
	s_clause 0x1
	s_load_b64 s[30:31], s[16:17], 0x4
	s_load_b32 s28, s[16:17], 0xc
	s_add_u32 s16, s16, 12
	s_addc_u32 s17, s17, 0
	s_waitcnt lgkmcnt(0)
	v_mul_hi_u32 v2, s31, v1
	s_load_b32 s31, s[14:15], 0x0
	s_add_u32 s14, s14, 4
	s_addc_u32 s15, s15, 0
	s_add_i32 s29, s29, -1
	s_delay_alu instid0(SALU_CYCLE_1) | instskip(NEXT) | instid1(VALU_DEP_1)
	s_cmp_lg_u32 s29, 0
	v_add_nc_u32_e32 v2, v1, v2
	s_delay_alu instid0(VALU_DEP_1) | instskip(NEXT) | instid1(VALU_DEP_1)
	v_lshrrev_b32_e32 v4, s28, v2
	v_mul_lo_u32 v2, v4, s30
	s_delay_alu instid0(VALU_DEP_1) | instskip(SKIP_1) | instid1(VALU_DEP_1)
	v_sub_nc_u32_e32 v1, v1, v2
	s_waitcnt lgkmcnt(0)
	v_mad_u64_u32 v[2:3], null, v1, s31, v[0:1]
	s_delay_alu instid0(VALU_DEP_1)
	v_dual_mov_b32 v1, v4 :: v_dual_mov_b32 v0, v2
	s_cbranch_scc1 .LBB133_139
.LBB133_140:
	s_cbranch_execnz .LBB133_143
.LBB133_141:
	s_waitcnt lgkmcnt(0)
	v_mul_hi_u32 v0, s5, v6
	s_and_not1_b32 vcc_lo, exec_lo, s23
	s_delay_alu instid0(VALU_DEP_1) | instskip(NEXT) | instid1(VALU_DEP_1)
	v_add_nc_u32_e32 v0, v6, v0
	v_lshrrev_b32_e32 v1, s6, v0
	s_delay_alu instid0(VALU_DEP_1) | instskip(NEXT) | instid1(VALU_DEP_1)
	v_mul_lo_u32 v0, v1, s4
	v_sub_nc_u32_e32 v0, v6, v0
	s_delay_alu instid0(VALU_DEP_1)
	v_mul_lo_u32 v0, v0, s8
	s_cbranch_vccnz .LBB133_143
; %bb.142:
	v_mul_hi_u32 v2, s10, v1
	s_delay_alu instid0(VALU_DEP_1) | instskip(NEXT) | instid1(VALU_DEP_1)
	v_add_nc_u32_e32 v2, v1, v2
	v_lshrrev_b32_e32 v2, s11, v2
	s_delay_alu instid0(VALU_DEP_1) | instskip(NEXT) | instid1(VALU_DEP_1)
	v_mul_lo_u32 v2, v2, s7
	v_sub_nc_u32_e32 v3, v1, v2
	s_delay_alu instid0(VALU_DEP_1) | instskip(NEXT) | instid1(VALU_DEP_1)
	v_mad_u64_u32 v[1:2], null, v3, s9, v[0:1]
	v_mov_b32_e32 v0, v1
.LBB133_143:
	s_waitcnt lgkmcnt(0)
	v_dual_mov_b32 v1, s22 :: v_dual_add_nc_u32 v6, 0x80, v6
	global_store_b8 v0, v1, s[2:3]
	s_or_b32 exec_lo, exec_lo, s27
	s_delay_alu instid0(SALU_CYCLE_1)
	s_mov_b32 s27, exec_lo
	v_cmpx_gt_i32_e64 s24, v6
	s_cbranch_execnz .LBB133_130
.LBB133_144:
	s_or_b32 exec_lo, exec_lo, s27
	s_delay_alu instid0(SALU_CYCLE_1)
	s_mov_b32 s27, exec_lo
	v_cmpx_gt_i32_e64 s24, v6
	s_cbranch_execz .LBB133_159
.LBB133_145:
	s_and_not1_b32 vcc_lo, exec_lo, s20
	s_cbranch_vccnz .LBB133_150
; %bb.146:
	v_mov_b32_e32 v0, 0
	s_and_not1_b32 vcc_lo, exec_lo, s26
	s_cbranch_vccnz .LBB133_170
; %bb.147:
	s_add_i32 s29, s25, 1
	s_cmp_eq_u32 s19, 2
	s_mov_b32 s28, 0
	s_cbranch_scc1 .LBB133_166
; %bb.148:
	v_dual_mov_b32 v0, 0 :: v_dual_mov_b32 v1, v6
	s_and_b32 s28, s29, 28
	s_mov_b32 s30, 0
	s_mov_b64 s[14:15], s[0:1]
	s_mov_b64 s[16:17], s[12:13]
.LBB133_149:                            ; =>This Inner Loop Header: Depth=1
	s_clause 0x1
	s_load_b256 s[36:43], s[14:15], 0x4
	s_load_b128 s[44:47], s[14:15], 0x24
	s_load_b128 s[48:51], s[16:17], 0x0
	s_add_u32 s14, s14, 48
	s_addc_u32 s15, s15, 0
	s_add_i32 s30, s30, 4
	s_add_u32 s16, s16, 16
	s_addc_u32 s17, s17, 0
	s_cmp_eq_u32 s28, s30
	s_waitcnt lgkmcnt(0)
	v_mul_hi_u32 v2, s37, v1
	s_delay_alu instid0(VALU_DEP_1) | instskip(NEXT) | instid1(VALU_DEP_1)
	v_add_nc_u32_e32 v2, v1, v2
	v_lshrrev_b32_e32 v2, s38, v2
	s_delay_alu instid0(VALU_DEP_1) | instskip(SKIP_1) | instid1(VALU_DEP_2)
	v_mul_hi_u32 v3, s40, v2
	v_mul_lo_u32 v7, v2, s36
	v_add_nc_u32_e32 v3, v2, v3
	s_delay_alu instid0(VALU_DEP_2) | instskip(NEXT) | instid1(VALU_DEP_2)
	v_sub_nc_u32_e32 v7, v1, v7
	v_lshrrev_b32_e32 v3, s41, v3
	s_delay_alu instid0(VALU_DEP_2) | instskip(NEXT) | instid1(VALU_DEP_2)
	v_mul_lo_u32 v7, v7, s48
	v_mul_hi_u32 v4, s43, v3
	v_mul_lo_u32 v8, v3, s39
	s_delay_alu instid0(VALU_DEP_2) | instskip(NEXT) | instid1(VALU_DEP_2)
	v_add_nc_u32_e32 v4, v3, v4
	v_sub_nc_u32_e32 v2, v2, v8
	s_delay_alu instid0(VALU_DEP_2) | instskip(NEXT) | instid1(VALU_DEP_2)
	v_lshrrev_b32_e32 v4, s44, v4
	v_mul_lo_u32 v2, v2, s49
	s_delay_alu instid0(VALU_DEP_2) | instskip(NEXT) | instid1(VALU_DEP_2)
	v_mul_hi_u32 v5, s46, v4
	v_add3_u32 v0, v7, v0, v2
	s_delay_alu instid0(VALU_DEP_2) | instskip(NEXT) | instid1(VALU_DEP_1)
	v_add_nc_u32_e32 v5, v4, v5
	v_lshrrev_b32_e32 v1, s47, v5
	v_mul_lo_u32 v5, v4, s42
	s_delay_alu instid0(VALU_DEP_2) | instskip(NEXT) | instid1(VALU_DEP_2)
	v_mul_lo_u32 v9, v1, s45
	v_sub_nc_u32_e32 v3, v3, v5
	s_delay_alu instid0(VALU_DEP_2) | instskip(NEXT) | instid1(VALU_DEP_2)
	v_sub_nc_u32_e32 v4, v4, v9
	v_mul_lo_u32 v3, v3, s50
	s_delay_alu instid0(VALU_DEP_2) | instskip(NEXT) | instid1(VALU_DEP_1)
	v_mul_lo_u32 v4, v4, s51
	v_add3_u32 v0, v3, v0, v4
	s_cbranch_scc0 .LBB133_149
	s_branch .LBB133_167
.LBB133_150:
                                        ; implicit-def: $vgpr0
	s_branch .LBB133_171
.LBB133_151:
	v_mov_b32_e32 v1, v6
.LBB133_152:
	s_and_b32 s29, s29, 3
	s_delay_alu instid0(SALU_CYCLE_1)
	s_cmp_eq_u32 s29, 0
	s_cbranch_scc1 .LBB133_155
; %bb.153:
	s_lshl_b32 s14, s28, 2
	s_mul_i32 s16, s28, 12
	s_add_u32 s14, s14, s0
	s_addc_u32 s15, s1, 0
	s_add_u32 s14, s14, 0xc4
	s_addc_u32 s15, s15, 0
	;; [unrolled: 2-line block ×3, first 2 shown]
	.p2align	6
.LBB133_154:                            ; =>This Inner Loop Header: Depth=1
	s_clause 0x1
	s_load_b64 s[30:31], s[16:17], 0x4
	s_load_b32 s28, s[16:17], 0xc
	s_add_u32 s16, s16, 12
	s_addc_u32 s17, s17, 0
	s_waitcnt lgkmcnt(0)
	v_mul_hi_u32 v2, s31, v1
	s_load_b32 s31, s[14:15], 0x0
	s_add_u32 s14, s14, 4
	s_addc_u32 s15, s15, 0
	s_add_i32 s29, s29, -1
	s_delay_alu instid0(SALU_CYCLE_1) | instskip(NEXT) | instid1(VALU_DEP_1)
	s_cmp_lg_u32 s29, 0
	v_add_nc_u32_e32 v2, v1, v2
	s_delay_alu instid0(VALU_DEP_1) | instskip(NEXT) | instid1(VALU_DEP_1)
	v_lshrrev_b32_e32 v4, s28, v2
	v_mul_lo_u32 v2, v4, s30
	s_delay_alu instid0(VALU_DEP_1) | instskip(SKIP_1) | instid1(VALU_DEP_1)
	v_sub_nc_u32_e32 v1, v1, v2
	s_waitcnt lgkmcnt(0)
	v_mad_u64_u32 v[2:3], null, v1, s31, v[0:1]
	s_delay_alu instid0(VALU_DEP_1)
	v_dual_mov_b32 v1, v4 :: v_dual_mov_b32 v0, v2
	s_cbranch_scc1 .LBB133_154
.LBB133_155:
	s_cbranch_execnz .LBB133_158
.LBB133_156:
	s_waitcnt lgkmcnt(0)
	v_mul_hi_u32 v0, s5, v6
	s_and_not1_b32 vcc_lo, exec_lo, s23
	s_delay_alu instid0(VALU_DEP_1) | instskip(NEXT) | instid1(VALU_DEP_1)
	v_add_nc_u32_e32 v0, v6, v0
	v_lshrrev_b32_e32 v1, s6, v0
	s_delay_alu instid0(VALU_DEP_1) | instskip(NEXT) | instid1(VALU_DEP_1)
	v_mul_lo_u32 v0, v1, s4
	v_sub_nc_u32_e32 v0, v6, v0
	s_delay_alu instid0(VALU_DEP_1)
	v_mul_lo_u32 v0, v0, s8
	s_cbranch_vccnz .LBB133_158
; %bb.157:
	v_mul_hi_u32 v2, s10, v1
	s_delay_alu instid0(VALU_DEP_1) | instskip(NEXT) | instid1(VALU_DEP_1)
	v_add_nc_u32_e32 v2, v1, v2
	v_lshrrev_b32_e32 v2, s11, v2
	s_delay_alu instid0(VALU_DEP_1) | instskip(NEXT) | instid1(VALU_DEP_1)
	v_mul_lo_u32 v2, v2, s7
	v_sub_nc_u32_e32 v3, v1, v2
	s_delay_alu instid0(VALU_DEP_1) | instskip(NEXT) | instid1(VALU_DEP_1)
	v_mad_u64_u32 v[1:2], null, v3, s9, v[0:1]
	v_mov_b32_e32 v0, v1
.LBB133_158:
	s_waitcnt lgkmcnt(0)
	v_dual_mov_b32 v1, s22 :: v_dual_add_nc_u32 v6, 0x80, v6
	global_store_b8 v0, v1, s[2:3]
	s_or_b32 exec_lo, exec_lo, s27
	s_delay_alu instid0(SALU_CYCLE_1)
	s_mov_b32 s27, exec_lo
	v_cmpx_gt_i32_e64 s24, v6
	s_cbranch_execnz .LBB133_145
.LBB133_159:
	s_or_b32 exec_lo, exec_lo, s27
	s_delay_alu instid0(SALU_CYCLE_1)
	s_mov_b32 s27, exec_lo
	v_cmpx_gt_i32_e64 s24, v6
	s_cbranch_execz .LBB133_174
.LBB133_160:
	s_and_not1_b32 vcc_lo, exec_lo, s20
	s_cbranch_vccnz .LBB133_165
; %bb.161:
	v_mov_b32_e32 v0, 0
	s_and_not1_b32 vcc_lo, exec_lo, s26
	s_cbranch_vccnz .LBB133_185
; %bb.162:
	s_add_i32 s29, s25, 1
	s_cmp_eq_u32 s19, 2
	s_mov_b32 s28, 0
	s_cbranch_scc1 .LBB133_181
; %bb.163:
	v_dual_mov_b32 v0, 0 :: v_dual_mov_b32 v1, v6
	s_and_b32 s28, s29, 28
	s_mov_b32 s30, 0
	s_mov_b64 s[14:15], s[0:1]
	s_mov_b64 s[16:17], s[12:13]
.LBB133_164:                            ; =>This Inner Loop Header: Depth=1
	s_clause 0x1
	s_load_b256 s[36:43], s[14:15], 0x4
	s_load_b128 s[44:47], s[14:15], 0x24
	s_load_b128 s[48:51], s[16:17], 0x0
	s_add_u32 s14, s14, 48
	s_addc_u32 s15, s15, 0
	s_add_i32 s30, s30, 4
	s_add_u32 s16, s16, 16
	s_addc_u32 s17, s17, 0
	s_cmp_eq_u32 s28, s30
	s_waitcnt lgkmcnt(0)
	v_mul_hi_u32 v2, s37, v1
	s_delay_alu instid0(VALU_DEP_1) | instskip(NEXT) | instid1(VALU_DEP_1)
	v_add_nc_u32_e32 v2, v1, v2
	v_lshrrev_b32_e32 v2, s38, v2
	s_delay_alu instid0(VALU_DEP_1) | instskip(SKIP_1) | instid1(VALU_DEP_2)
	v_mul_hi_u32 v3, s40, v2
	v_mul_lo_u32 v7, v2, s36
	v_add_nc_u32_e32 v3, v2, v3
	s_delay_alu instid0(VALU_DEP_2) | instskip(NEXT) | instid1(VALU_DEP_2)
	v_sub_nc_u32_e32 v7, v1, v7
	v_lshrrev_b32_e32 v3, s41, v3
	s_delay_alu instid0(VALU_DEP_2) | instskip(NEXT) | instid1(VALU_DEP_2)
	v_mul_lo_u32 v7, v7, s48
	v_mul_hi_u32 v4, s43, v3
	v_mul_lo_u32 v8, v3, s39
	s_delay_alu instid0(VALU_DEP_2) | instskip(NEXT) | instid1(VALU_DEP_2)
	v_add_nc_u32_e32 v4, v3, v4
	v_sub_nc_u32_e32 v2, v2, v8
	s_delay_alu instid0(VALU_DEP_2) | instskip(NEXT) | instid1(VALU_DEP_2)
	v_lshrrev_b32_e32 v4, s44, v4
	v_mul_lo_u32 v2, v2, s49
	s_delay_alu instid0(VALU_DEP_2) | instskip(NEXT) | instid1(VALU_DEP_2)
	v_mul_hi_u32 v5, s46, v4
	v_add3_u32 v0, v7, v0, v2
	s_delay_alu instid0(VALU_DEP_2) | instskip(NEXT) | instid1(VALU_DEP_1)
	v_add_nc_u32_e32 v5, v4, v5
	v_lshrrev_b32_e32 v1, s47, v5
	v_mul_lo_u32 v5, v4, s42
	s_delay_alu instid0(VALU_DEP_2) | instskip(NEXT) | instid1(VALU_DEP_2)
	v_mul_lo_u32 v9, v1, s45
	v_sub_nc_u32_e32 v3, v3, v5
	s_delay_alu instid0(VALU_DEP_2) | instskip(NEXT) | instid1(VALU_DEP_2)
	v_sub_nc_u32_e32 v4, v4, v9
	v_mul_lo_u32 v3, v3, s50
	s_delay_alu instid0(VALU_DEP_2) | instskip(NEXT) | instid1(VALU_DEP_1)
	v_mul_lo_u32 v4, v4, s51
	v_add3_u32 v0, v3, v0, v4
	s_cbranch_scc0 .LBB133_164
	s_branch .LBB133_182
.LBB133_165:
                                        ; implicit-def: $vgpr0
	s_branch .LBB133_186
.LBB133_166:
	v_mov_b32_e32 v1, v6
.LBB133_167:
	s_and_b32 s29, s29, 3
	s_delay_alu instid0(SALU_CYCLE_1)
	s_cmp_eq_u32 s29, 0
	s_cbranch_scc1 .LBB133_170
; %bb.168:
	s_lshl_b32 s14, s28, 2
	s_mul_i32 s16, s28, 12
	s_add_u32 s14, s14, s0
	s_addc_u32 s15, s1, 0
	s_add_u32 s14, s14, 0xc4
	s_addc_u32 s15, s15, 0
	;; [unrolled: 2-line block ×3, first 2 shown]
	.p2align	6
.LBB133_169:                            ; =>This Inner Loop Header: Depth=1
	s_clause 0x1
	s_load_b64 s[30:31], s[16:17], 0x4
	s_load_b32 s28, s[16:17], 0xc
	s_add_u32 s16, s16, 12
	s_addc_u32 s17, s17, 0
	s_waitcnt lgkmcnt(0)
	v_mul_hi_u32 v2, s31, v1
	s_load_b32 s31, s[14:15], 0x0
	s_add_u32 s14, s14, 4
	s_addc_u32 s15, s15, 0
	s_add_i32 s29, s29, -1
	s_delay_alu instid0(SALU_CYCLE_1) | instskip(NEXT) | instid1(VALU_DEP_1)
	s_cmp_lg_u32 s29, 0
	v_add_nc_u32_e32 v2, v1, v2
	s_delay_alu instid0(VALU_DEP_1) | instskip(NEXT) | instid1(VALU_DEP_1)
	v_lshrrev_b32_e32 v4, s28, v2
	v_mul_lo_u32 v2, v4, s30
	s_delay_alu instid0(VALU_DEP_1) | instskip(SKIP_1) | instid1(VALU_DEP_1)
	v_sub_nc_u32_e32 v1, v1, v2
	s_waitcnt lgkmcnt(0)
	v_mad_u64_u32 v[2:3], null, v1, s31, v[0:1]
	s_delay_alu instid0(VALU_DEP_1)
	v_dual_mov_b32 v1, v4 :: v_dual_mov_b32 v0, v2
	s_cbranch_scc1 .LBB133_169
.LBB133_170:
	s_cbranch_execnz .LBB133_173
.LBB133_171:
	s_waitcnt lgkmcnt(0)
	v_mul_hi_u32 v0, s5, v6
	s_and_not1_b32 vcc_lo, exec_lo, s23
	s_delay_alu instid0(VALU_DEP_1) | instskip(NEXT) | instid1(VALU_DEP_1)
	v_add_nc_u32_e32 v0, v6, v0
	v_lshrrev_b32_e32 v1, s6, v0
	s_delay_alu instid0(VALU_DEP_1) | instskip(NEXT) | instid1(VALU_DEP_1)
	v_mul_lo_u32 v0, v1, s4
	v_sub_nc_u32_e32 v0, v6, v0
	s_delay_alu instid0(VALU_DEP_1)
	v_mul_lo_u32 v0, v0, s8
	s_cbranch_vccnz .LBB133_173
; %bb.172:
	v_mul_hi_u32 v2, s10, v1
	s_delay_alu instid0(VALU_DEP_1) | instskip(NEXT) | instid1(VALU_DEP_1)
	v_add_nc_u32_e32 v2, v1, v2
	v_lshrrev_b32_e32 v2, s11, v2
	s_delay_alu instid0(VALU_DEP_1) | instskip(NEXT) | instid1(VALU_DEP_1)
	v_mul_lo_u32 v2, v2, s7
	v_sub_nc_u32_e32 v3, v1, v2
	s_delay_alu instid0(VALU_DEP_1) | instskip(NEXT) | instid1(VALU_DEP_1)
	v_mad_u64_u32 v[1:2], null, v3, s9, v[0:1]
	v_mov_b32_e32 v0, v1
.LBB133_173:
	s_waitcnt lgkmcnt(0)
	v_dual_mov_b32 v1, s22 :: v_dual_add_nc_u32 v6, 0x80, v6
	global_store_b8 v0, v1, s[2:3]
	s_or_b32 exec_lo, exec_lo, s27
	s_delay_alu instid0(SALU_CYCLE_1)
	s_mov_b32 s27, exec_lo
	v_cmpx_gt_i32_e64 s24, v6
	s_cbranch_execnz .LBB133_160
.LBB133_174:
	s_or_b32 exec_lo, exec_lo, s27
	s_delay_alu instid0(SALU_CYCLE_1)
	s_mov_b32 s27, exec_lo
	v_cmpx_gt_i32_e64 s24, v6
	s_cbranch_execz .LBB133_189
.LBB133_175:
	s_and_not1_b32 vcc_lo, exec_lo, s20
	s_cbranch_vccnz .LBB133_180
; %bb.176:
	v_mov_b32_e32 v0, 0
	s_and_not1_b32 vcc_lo, exec_lo, s26
	s_cbranch_vccnz .LBB133_200
; %bb.177:
	s_add_i32 s29, s25, 1
	s_cmp_eq_u32 s19, 2
	s_mov_b32 s28, 0
	s_cbranch_scc1 .LBB133_196
; %bb.178:
	v_dual_mov_b32 v0, 0 :: v_dual_mov_b32 v1, v6
	s_and_b32 s28, s29, 28
	s_mov_b32 s30, 0
	s_mov_b64 s[14:15], s[0:1]
	s_mov_b64 s[16:17], s[12:13]
.LBB133_179:                            ; =>This Inner Loop Header: Depth=1
	s_clause 0x1
	s_load_b256 s[36:43], s[14:15], 0x4
	s_load_b128 s[44:47], s[14:15], 0x24
	s_load_b128 s[48:51], s[16:17], 0x0
	s_add_u32 s14, s14, 48
	s_addc_u32 s15, s15, 0
	s_add_i32 s30, s30, 4
	s_add_u32 s16, s16, 16
	s_addc_u32 s17, s17, 0
	s_cmp_eq_u32 s28, s30
	s_waitcnt lgkmcnt(0)
	v_mul_hi_u32 v2, s37, v1
	s_delay_alu instid0(VALU_DEP_1) | instskip(NEXT) | instid1(VALU_DEP_1)
	v_add_nc_u32_e32 v2, v1, v2
	v_lshrrev_b32_e32 v2, s38, v2
	s_delay_alu instid0(VALU_DEP_1) | instskip(SKIP_1) | instid1(VALU_DEP_2)
	v_mul_hi_u32 v3, s40, v2
	v_mul_lo_u32 v7, v2, s36
	v_add_nc_u32_e32 v3, v2, v3
	s_delay_alu instid0(VALU_DEP_2) | instskip(NEXT) | instid1(VALU_DEP_2)
	v_sub_nc_u32_e32 v7, v1, v7
	v_lshrrev_b32_e32 v3, s41, v3
	s_delay_alu instid0(VALU_DEP_2) | instskip(NEXT) | instid1(VALU_DEP_2)
	v_mul_lo_u32 v7, v7, s48
	v_mul_hi_u32 v4, s43, v3
	v_mul_lo_u32 v8, v3, s39
	s_delay_alu instid0(VALU_DEP_2) | instskip(NEXT) | instid1(VALU_DEP_2)
	v_add_nc_u32_e32 v4, v3, v4
	v_sub_nc_u32_e32 v2, v2, v8
	s_delay_alu instid0(VALU_DEP_2) | instskip(NEXT) | instid1(VALU_DEP_2)
	v_lshrrev_b32_e32 v4, s44, v4
	v_mul_lo_u32 v2, v2, s49
	s_delay_alu instid0(VALU_DEP_2) | instskip(NEXT) | instid1(VALU_DEP_2)
	v_mul_hi_u32 v5, s46, v4
	v_add3_u32 v0, v7, v0, v2
	s_delay_alu instid0(VALU_DEP_2) | instskip(NEXT) | instid1(VALU_DEP_1)
	v_add_nc_u32_e32 v5, v4, v5
	v_lshrrev_b32_e32 v1, s47, v5
	v_mul_lo_u32 v5, v4, s42
	s_delay_alu instid0(VALU_DEP_2) | instskip(NEXT) | instid1(VALU_DEP_2)
	v_mul_lo_u32 v9, v1, s45
	v_sub_nc_u32_e32 v3, v3, v5
	s_delay_alu instid0(VALU_DEP_2) | instskip(NEXT) | instid1(VALU_DEP_2)
	v_sub_nc_u32_e32 v4, v4, v9
	v_mul_lo_u32 v3, v3, s50
	s_delay_alu instid0(VALU_DEP_2) | instskip(NEXT) | instid1(VALU_DEP_1)
	v_mul_lo_u32 v4, v4, s51
	v_add3_u32 v0, v3, v0, v4
	s_cbranch_scc0 .LBB133_179
	s_branch .LBB133_197
.LBB133_180:
                                        ; implicit-def: $vgpr0
	s_branch .LBB133_201
.LBB133_181:
	v_mov_b32_e32 v1, v6
.LBB133_182:
	s_and_b32 s29, s29, 3
	s_delay_alu instid0(SALU_CYCLE_1)
	s_cmp_eq_u32 s29, 0
	s_cbranch_scc1 .LBB133_185
; %bb.183:
	s_lshl_b32 s14, s28, 2
	s_mul_i32 s16, s28, 12
	s_add_u32 s14, s14, s0
	s_addc_u32 s15, s1, 0
	s_add_u32 s14, s14, 0xc4
	s_addc_u32 s15, s15, 0
	;; [unrolled: 2-line block ×3, first 2 shown]
	.p2align	6
.LBB133_184:                            ; =>This Inner Loop Header: Depth=1
	s_clause 0x1
	s_load_b64 s[30:31], s[16:17], 0x4
	s_load_b32 s28, s[16:17], 0xc
	s_add_u32 s16, s16, 12
	s_addc_u32 s17, s17, 0
	s_waitcnt lgkmcnt(0)
	v_mul_hi_u32 v2, s31, v1
	s_load_b32 s31, s[14:15], 0x0
	s_add_u32 s14, s14, 4
	s_addc_u32 s15, s15, 0
	s_add_i32 s29, s29, -1
	s_delay_alu instid0(SALU_CYCLE_1) | instskip(NEXT) | instid1(VALU_DEP_1)
	s_cmp_lg_u32 s29, 0
	v_add_nc_u32_e32 v2, v1, v2
	s_delay_alu instid0(VALU_DEP_1) | instskip(NEXT) | instid1(VALU_DEP_1)
	v_lshrrev_b32_e32 v4, s28, v2
	v_mul_lo_u32 v2, v4, s30
	s_delay_alu instid0(VALU_DEP_1) | instskip(SKIP_1) | instid1(VALU_DEP_1)
	v_sub_nc_u32_e32 v1, v1, v2
	s_waitcnt lgkmcnt(0)
	v_mad_u64_u32 v[2:3], null, v1, s31, v[0:1]
	s_delay_alu instid0(VALU_DEP_1)
	v_dual_mov_b32 v1, v4 :: v_dual_mov_b32 v0, v2
	s_cbranch_scc1 .LBB133_184
.LBB133_185:
	s_cbranch_execnz .LBB133_188
.LBB133_186:
	s_waitcnt lgkmcnt(0)
	v_mul_hi_u32 v0, s5, v6
	s_and_not1_b32 vcc_lo, exec_lo, s23
	s_delay_alu instid0(VALU_DEP_1) | instskip(NEXT) | instid1(VALU_DEP_1)
	v_add_nc_u32_e32 v0, v6, v0
	v_lshrrev_b32_e32 v1, s6, v0
	s_delay_alu instid0(VALU_DEP_1) | instskip(NEXT) | instid1(VALU_DEP_1)
	v_mul_lo_u32 v0, v1, s4
	v_sub_nc_u32_e32 v0, v6, v0
	s_delay_alu instid0(VALU_DEP_1)
	v_mul_lo_u32 v0, v0, s8
	s_cbranch_vccnz .LBB133_188
; %bb.187:
	v_mul_hi_u32 v2, s10, v1
	s_delay_alu instid0(VALU_DEP_1) | instskip(NEXT) | instid1(VALU_DEP_1)
	v_add_nc_u32_e32 v2, v1, v2
	v_lshrrev_b32_e32 v2, s11, v2
	s_delay_alu instid0(VALU_DEP_1) | instskip(NEXT) | instid1(VALU_DEP_1)
	v_mul_lo_u32 v2, v2, s7
	v_sub_nc_u32_e32 v3, v1, v2
	s_delay_alu instid0(VALU_DEP_1) | instskip(NEXT) | instid1(VALU_DEP_1)
	v_mad_u64_u32 v[1:2], null, v3, s9, v[0:1]
	v_mov_b32_e32 v0, v1
.LBB133_188:
	s_waitcnt lgkmcnt(0)
	v_dual_mov_b32 v1, s22 :: v_dual_add_nc_u32 v6, 0x80, v6
	global_store_b8 v0, v1, s[2:3]
	s_or_b32 exec_lo, exec_lo, s27
	s_delay_alu instid0(SALU_CYCLE_1)
	s_mov_b32 s27, exec_lo
	v_cmpx_gt_i32_e64 s24, v6
	s_cbranch_execnz .LBB133_175
.LBB133_189:
	s_or_b32 exec_lo, exec_lo, s27
	s_delay_alu instid0(SALU_CYCLE_1)
	s_mov_b32 s27, exec_lo
	v_cmpx_gt_i32_e64 s24, v6
	s_cbranch_execz .LBB133_204
.LBB133_190:
	s_and_not1_b32 vcc_lo, exec_lo, s20
	s_cbranch_vccnz .LBB133_195
; %bb.191:
	v_mov_b32_e32 v0, 0
	s_and_not1_b32 vcc_lo, exec_lo, s26
	s_cbranch_vccnz .LBB133_211
; %bb.192:
	s_add_i32 s29, s25, 1
	s_cmp_eq_u32 s19, 2
	s_mov_b32 s28, 0
	s_cbranch_scc1 .LBB133_207
; %bb.193:
	v_dual_mov_b32 v0, 0 :: v_dual_mov_b32 v1, v6
	s_and_b32 s28, s29, 28
	s_mov_b32 s30, 0
	s_mov_b64 s[14:15], s[0:1]
	s_mov_b64 s[16:17], s[12:13]
.LBB133_194:                            ; =>This Inner Loop Header: Depth=1
	s_clause 0x1
	s_load_b256 s[36:43], s[14:15], 0x4
	s_load_b128 s[44:47], s[14:15], 0x24
	s_load_b128 s[48:51], s[16:17], 0x0
	s_add_u32 s14, s14, 48
	s_addc_u32 s15, s15, 0
	s_add_i32 s30, s30, 4
	s_add_u32 s16, s16, 16
	s_addc_u32 s17, s17, 0
	s_cmp_eq_u32 s28, s30
	s_waitcnt lgkmcnt(0)
	v_mul_hi_u32 v2, s37, v1
	s_delay_alu instid0(VALU_DEP_1) | instskip(NEXT) | instid1(VALU_DEP_1)
	v_add_nc_u32_e32 v2, v1, v2
	v_lshrrev_b32_e32 v2, s38, v2
	s_delay_alu instid0(VALU_DEP_1) | instskip(SKIP_1) | instid1(VALU_DEP_2)
	v_mul_hi_u32 v3, s40, v2
	v_mul_lo_u32 v7, v2, s36
	v_add_nc_u32_e32 v3, v2, v3
	s_delay_alu instid0(VALU_DEP_2) | instskip(NEXT) | instid1(VALU_DEP_2)
	v_sub_nc_u32_e32 v7, v1, v7
	v_lshrrev_b32_e32 v3, s41, v3
	s_delay_alu instid0(VALU_DEP_2) | instskip(NEXT) | instid1(VALU_DEP_2)
	v_mul_lo_u32 v7, v7, s48
	v_mul_hi_u32 v4, s43, v3
	v_mul_lo_u32 v8, v3, s39
	s_delay_alu instid0(VALU_DEP_2) | instskip(NEXT) | instid1(VALU_DEP_2)
	v_add_nc_u32_e32 v4, v3, v4
	v_sub_nc_u32_e32 v2, v2, v8
	s_delay_alu instid0(VALU_DEP_2) | instskip(NEXT) | instid1(VALU_DEP_2)
	v_lshrrev_b32_e32 v4, s44, v4
	v_mul_lo_u32 v2, v2, s49
	s_delay_alu instid0(VALU_DEP_2) | instskip(NEXT) | instid1(VALU_DEP_2)
	v_mul_hi_u32 v5, s46, v4
	v_add3_u32 v0, v7, v0, v2
	s_delay_alu instid0(VALU_DEP_2) | instskip(NEXT) | instid1(VALU_DEP_1)
	v_add_nc_u32_e32 v5, v4, v5
	v_lshrrev_b32_e32 v1, s47, v5
	v_mul_lo_u32 v5, v4, s42
	s_delay_alu instid0(VALU_DEP_2) | instskip(NEXT) | instid1(VALU_DEP_2)
	v_mul_lo_u32 v9, v1, s45
	v_sub_nc_u32_e32 v3, v3, v5
	s_delay_alu instid0(VALU_DEP_2) | instskip(NEXT) | instid1(VALU_DEP_2)
	v_sub_nc_u32_e32 v4, v4, v9
	v_mul_lo_u32 v3, v3, s50
	s_delay_alu instid0(VALU_DEP_2) | instskip(NEXT) | instid1(VALU_DEP_1)
	v_mul_lo_u32 v4, v4, s51
	v_add3_u32 v0, v3, v0, v4
	s_cbranch_scc0 .LBB133_194
	s_branch .LBB133_208
.LBB133_195:
                                        ; implicit-def: $vgpr0
	s_branch .LBB133_212
.LBB133_196:
	v_mov_b32_e32 v1, v6
.LBB133_197:
	s_and_b32 s29, s29, 3
	s_delay_alu instid0(SALU_CYCLE_1)
	s_cmp_eq_u32 s29, 0
	s_cbranch_scc1 .LBB133_200
; %bb.198:
	s_lshl_b32 s14, s28, 2
	s_mul_i32 s16, s28, 12
	s_add_u32 s14, s14, s0
	s_addc_u32 s15, s1, 0
	s_add_u32 s14, s14, 0xc4
	s_addc_u32 s15, s15, 0
	;; [unrolled: 2-line block ×3, first 2 shown]
	.p2align	6
.LBB133_199:                            ; =>This Inner Loop Header: Depth=1
	s_clause 0x1
	s_load_b64 s[30:31], s[16:17], 0x4
	s_load_b32 s28, s[16:17], 0xc
	s_add_u32 s16, s16, 12
	s_addc_u32 s17, s17, 0
	s_waitcnt lgkmcnt(0)
	v_mul_hi_u32 v2, s31, v1
	s_load_b32 s31, s[14:15], 0x0
	s_add_u32 s14, s14, 4
	s_addc_u32 s15, s15, 0
	s_add_i32 s29, s29, -1
	s_delay_alu instid0(SALU_CYCLE_1) | instskip(NEXT) | instid1(VALU_DEP_1)
	s_cmp_lg_u32 s29, 0
	v_add_nc_u32_e32 v2, v1, v2
	s_delay_alu instid0(VALU_DEP_1) | instskip(NEXT) | instid1(VALU_DEP_1)
	v_lshrrev_b32_e32 v4, s28, v2
	v_mul_lo_u32 v2, v4, s30
	s_delay_alu instid0(VALU_DEP_1) | instskip(SKIP_1) | instid1(VALU_DEP_1)
	v_sub_nc_u32_e32 v1, v1, v2
	s_waitcnt lgkmcnt(0)
	v_mad_u64_u32 v[2:3], null, v1, s31, v[0:1]
	s_delay_alu instid0(VALU_DEP_1)
	v_dual_mov_b32 v1, v4 :: v_dual_mov_b32 v0, v2
	s_cbranch_scc1 .LBB133_199
.LBB133_200:
	s_cbranch_execnz .LBB133_203
.LBB133_201:
	s_waitcnt lgkmcnt(0)
	v_mul_hi_u32 v0, s5, v6
	s_and_not1_b32 vcc_lo, exec_lo, s23
	s_delay_alu instid0(VALU_DEP_1) | instskip(NEXT) | instid1(VALU_DEP_1)
	v_add_nc_u32_e32 v0, v6, v0
	v_lshrrev_b32_e32 v1, s6, v0
	s_delay_alu instid0(VALU_DEP_1) | instskip(NEXT) | instid1(VALU_DEP_1)
	v_mul_lo_u32 v0, v1, s4
	v_sub_nc_u32_e32 v0, v6, v0
	s_delay_alu instid0(VALU_DEP_1)
	v_mul_lo_u32 v0, v0, s8
	s_cbranch_vccnz .LBB133_203
; %bb.202:
	v_mul_hi_u32 v2, s10, v1
	s_delay_alu instid0(VALU_DEP_1) | instskip(NEXT) | instid1(VALU_DEP_1)
	v_add_nc_u32_e32 v2, v1, v2
	v_lshrrev_b32_e32 v2, s11, v2
	s_delay_alu instid0(VALU_DEP_1) | instskip(NEXT) | instid1(VALU_DEP_1)
	v_mul_lo_u32 v2, v2, s7
	v_sub_nc_u32_e32 v3, v1, v2
	s_delay_alu instid0(VALU_DEP_1) | instskip(NEXT) | instid1(VALU_DEP_1)
	v_mad_u64_u32 v[1:2], null, v3, s9, v[0:1]
	v_mov_b32_e32 v0, v1
.LBB133_203:
	s_waitcnt lgkmcnt(0)
	v_dual_mov_b32 v1, s22 :: v_dual_add_nc_u32 v6, 0x80, v6
	global_store_b8 v0, v1, s[2:3]
	s_or_b32 exec_lo, exec_lo, s27
	s_delay_alu instid0(SALU_CYCLE_1)
	s_mov_b32 s27, exec_lo
	v_cmpx_gt_i32_e64 s24, v6
	s_cbranch_execnz .LBB133_190
.LBB133_204:
	s_or_b32 exec_lo, exec_lo, s27
	s_delay_alu instid0(SALU_CYCLE_1)
	s_mov_b32 s16, exec_lo
	v_cmpx_gt_i32_e64 s24, v6
	s_cbranch_execnz .LBB133_215
.LBB133_205:
	s_or_b32 exec_lo, exec_lo, s16
                                        ; implicit-def: $vgpr8
                                        ; implicit-def: $vgpr6
	s_waitcnt lgkmcnt(0)
	s_and_not1_saveexec_b32 s2, s21
	s_cbranch_execnz .LBB133_8
.LBB133_206:
	s_nop 0
	s_sendmsg sendmsg(MSG_DEALLOC_VGPRS)
	s_endpgm
.LBB133_207:
	v_mov_b32_e32 v1, v6
.LBB133_208:
	s_and_b32 s29, s29, 3
	s_delay_alu instid0(SALU_CYCLE_1)
	s_cmp_eq_u32 s29, 0
	s_cbranch_scc1 .LBB133_211
; %bb.209:
	s_lshl_b32 s14, s28, 2
	s_mul_i32 s16, s28, 12
	s_add_u32 s14, s14, s0
	s_addc_u32 s15, s1, 0
	s_add_u32 s14, s14, 0xc4
	s_addc_u32 s15, s15, 0
	;; [unrolled: 2-line block ×3, first 2 shown]
	.p2align	6
.LBB133_210:                            ; =>This Inner Loop Header: Depth=1
	s_clause 0x1
	s_load_b64 s[30:31], s[16:17], 0x4
	s_load_b32 s28, s[16:17], 0xc
	s_add_u32 s16, s16, 12
	s_addc_u32 s17, s17, 0
	s_waitcnt lgkmcnt(0)
	v_mul_hi_u32 v2, s31, v1
	s_load_b32 s31, s[14:15], 0x0
	s_add_u32 s14, s14, 4
	s_addc_u32 s15, s15, 0
	s_add_i32 s29, s29, -1
	s_delay_alu instid0(SALU_CYCLE_1) | instskip(NEXT) | instid1(VALU_DEP_1)
	s_cmp_lg_u32 s29, 0
	v_add_nc_u32_e32 v2, v1, v2
	s_delay_alu instid0(VALU_DEP_1) | instskip(NEXT) | instid1(VALU_DEP_1)
	v_lshrrev_b32_e32 v4, s28, v2
	v_mul_lo_u32 v2, v4, s30
	s_delay_alu instid0(VALU_DEP_1) | instskip(SKIP_1) | instid1(VALU_DEP_1)
	v_sub_nc_u32_e32 v1, v1, v2
	s_waitcnt lgkmcnt(0)
	v_mad_u64_u32 v[2:3], null, v1, s31, v[0:1]
	s_delay_alu instid0(VALU_DEP_1)
	v_dual_mov_b32 v1, v4 :: v_dual_mov_b32 v0, v2
	s_cbranch_scc1 .LBB133_210
.LBB133_211:
	s_cbranch_execnz .LBB133_214
.LBB133_212:
	s_waitcnt lgkmcnt(0)
	v_mul_hi_u32 v0, s5, v6
	s_and_not1_b32 vcc_lo, exec_lo, s23
	s_delay_alu instid0(VALU_DEP_1) | instskip(NEXT) | instid1(VALU_DEP_1)
	v_add_nc_u32_e32 v0, v6, v0
	v_lshrrev_b32_e32 v1, s6, v0
	s_delay_alu instid0(VALU_DEP_1) | instskip(NEXT) | instid1(VALU_DEP_1)
	v_mul_lo_u32 v0, v1, s4
	v_sub_nc_u32_e32 v0, v6, v0
	s_delay_alu instid0(VALU_DEP_1)
	v_mul_lo_u32 v0, v0, s8
	s_cbranch_vccnz .LBB133_214
; %bb.213:
	v_mul_hi_u32 v2, s10, v1
	s_delay_alu instid0(VALU_DEP_1) | instskip(NEXT) | instid1(VALU_DEP_1)
	v_add_nc_u32_e32 v2, v1, v2
	v_lshrrev_b32_e32 v2, s11, v2
	s_delay_alu instid0(VALU_DEP_1) | instskip(NEXT) | instid1(VALU_DEP_1)
	v_mul_lo_u32 v2, v2, s7
	v_sub_nc_u32_e32 v3, v1, v2
	s_delay_alu instid0(VALU_DEP_1) | instskip(NEXT) | instid1(VALU_DEP_1)
	v_mad_u64_u32 v[1:2], null, v3, s9, v[0:1]
	v_mov_b32_e32 v0, v1
.LBB133_214:
	s_waitcnt lgkmcnt(0)
	v_dual_mov_b32 v1, s22 :: v_dual_add_nc_u32 v6, 0x80, v6
	global_store_b8 v0, v1, s[2:3]
	s_or_b32 exec_lo, exec_lo, s27
	s_delay_alu instid0(SALU_CYCLE_1)
	s_mov_b32 s16, exec_lo
	v_cmpx_gt_i32_e64 s24, v6
	s_cbranch_execz .LBB133_205
.LBB133_215:
	s_and_not1_b32 vcc_lo, exec_lo, s20
	s_cbranch_vccnz .LBB133_220
; %bb.216:
	v_mov_b32_e32 v0, 0
	s_and_not1_b32 vcc_lo, exec_lo, s26
	s_cbranch_vccnz .LBB133_225
; %bb.217:
	s_add_i32 s25, s25, 1
	s_cmp_eq_u32 s19, 2
	s_mov_b32 s17, 0
	s_cbranch_scc1 .LBB133_221
; %bb.218:
	v_dual_mov_b32 v0, 0 :: v_dual_mov_b32 v1, v6
	s_and_b32 s17, s25, 28
	s_mov_b32 s24, 0
	s_mov_b64 s[14:15], s[0:1]
.LBB133_219:                            ; =>This Inner Loop Header: Depth=1
	s_clause 0x1
	s_load_b256 s[36:43], s[14:15], 0x4
	s_load_b128 s[28:31], s[14:15], 0x24
	s_load_b128 s[44:47], s[12:13], 0x0
	s_add_u32 s14, s14, 48
	s_addc_u32 s15, s15, 0
	s_add_i32 s24, s24, 4
	s_add_u32 s12, s12, 16
	s_addc_u32 s13, s13, 0
	s_cmp_eq_u32 s17, s24
	s_waitcnt lgkmcnt(0)
	v_mul_hi_u32 v2, s37, v1
	s_delay_alu instid0(VALU_DEP_1) | instskip(NEXT) | instid1(VALU_DEP_1)
	v_add_nc_u32_e32 v2, v1, v2
	v_lshrrev_b32_e32 v2, s38, v2
	s_delay_alu instid0(VALU_DEP_1) | instskip(SKIP_1) | instid1(VALU_DEP_2)
	v_mul_hi_u32 v3, s40, v2
	v_mul_lo_u32 v7, v2, s36
	v_add_nc_u32_e32 v3, v2, v3
	s_delay_alu instid0(VALU_DEP_2) | instskip(NEXT) | instid1(VALU_DEP_2)
	v_sub_nc_u32_e32 v7, v1, v7
	v_lshrrev_b32_e32 v3, s41, v3
	s_delay_alu instid0(VALU_DEP_2) | instskip(NEXT) | instid1(VALU_DEP_2)
	v_mul_lo_u32 v7, v7, s44
	v_mul_hi_u32 v4, s43, v3
	v_mul_lo_u32 v8, v3, s39
	s_delay_alu instid0(VALU_DEP_2) | instskip(NEXT) | instid1(VALU_DEP_2)
	v_add_nc_u32_e32 v4, v3, v4
	v_sub_nc_u32_e32 v2, v2, v8
	s_delay_alu instid0(VALU_DEP_2) | instskip(NEXT) | instid1(VALU_DEP_2)
	v_lshrrev_b32_e32 v4, s28, v4
	v_mul_lo_u32 v2, v2, s45
	s_delay_alu instid0(VALU_DEP_2) | instskip(NEXT) | instid1(VALU_DEP_2)
	v_mul_hi_u32 v5, s30, v4
	v_add3_u32 v0, v7, v0, v2
	s_delay_alu instid0(VALU_DEP_2) | instskip(NEXT) | instid1(VALU_DEP_1)
	v_add_nc_u32_e32 v5, v4, v5
	v_lshrrev_b32_e32 v1, s31, v5
	v_mul_lo_u32 v5, v4, s42
	s_delay_alu instid0(VALU_DEP_2) | instskip(NEXT) | instid1(VALU_DEP_2)
	v_mul_lo_u32 v9, v1, s29
	v_sub_nc_u32_e32 v3, v3, v5
	s_delay_alu instid0(VALU_DEP_2) | instskip(NEXT) | instid1(VALU_DEP_2)
	v_sub_nc_u32_e32 v4, v4, v9
	v_mul_lo_u32 v3, v3, s46
	s_delay_alu instid0(VALU_DEP_2) | instskip(NEXT) | instid1(VALU_DEP_1)
	v_mul_lo_u32 v4, v4, s47
	v_add3_u32 v0, v3, v0, v4
	s_cbranch_scc0 .LBB133_219
	s_branch .LBB133_222
.LBB133_220:
                                        ; implicit-def: $vgpr0
	s_branch .LBB133_226
.LBB133_221:
	v_mov_b32_e32 v1, v6
.LBB133_222:
	s_and_b32 s24, s25, 3
	s_delay_alu instid0(SALU_CYCLE_1)
	s_cmp_eq_u32 s24, 0
	s_cbranch_scc1 .LBB133_225
; %bb.223:
	s_lshl_b32 s12, s17, 2
	s_mul_i32 s14, s17, 12
	s_add_u32 s12, s12, s0
	s_addc_u32 s13, s1, 0
	s_add_u32 s12, s12, 0xc4
	s_addc_u32 s13, s13, 0
	;; [unrolled: 2-line block ×3, first 2 shown]
	.p2align	6
.LBB133_224:                            ; =>This Inner Loop Header: Depth=1
	s_clause 0x1
	s_load_b64 s[26:27], s[14:15], 0x4
	s_load_b32 s17, s[14:15], 0xc
	s_load_b32 s25, s[12:13], 0x0
	s_add_u32 s14, s14, 12
	s_addc_u32 s15, s15, 0
	s_add_u32 s12, s12, 4
	s_addc_u32 s13, s13, 0
	s_add_i32 s24, s24, -1
	s_delay_alu instid0(SALU_CYCLE_1) | instskip(SKIP_2) | instid1(VALU_DEP_1)
	s_cmp_lg_u32 s24, 0
	s_waitcnt lgkmcnt(0)
	v_mul_hi_u32 v2, s27, v1
	v_add_nc_u32_e32 v2, v1, v2
	s_delay_alu instid0(VALU_DEP_1) | instskip(NEXT) | instid1(VALU_DEP_1)
	v_lshrrev_b32_e32 v4, s17, v2
	v_mul_lo_u32 v2, v4, s26
	s_delay_alu instid0(VALU_DEP_1) | instskip(NEXT) | instid1(VALU_DEP_1)
	v_sub_nc_u32_e32 v1, v1, v2
	v_mad_u64_u32 v[2:3], null, v1, s25, v[0:1]
	s_delay_alu instid0(VALU_DEP_1)
	v_dual_mov_b32 v1, v4 :: v_dual_mov_b32 v0, v2
	s_cbranch_scc1 .LBB133_224
.LBB133_225:
	s_cbranch_execnz .LBB133_228
.LBB133_226:
	s_waitcnt lgkmcnt(0)
	v_mul_hi_u32 v0, s5, v6
	s_and_not1_b32 vcc_lo, exec_lo, s23
	s_delay_alu instid0(VALU_DEP_1) | instskip(NEXT) | instid1(VALU_DEP_1)
	v_add_nc_u32_e32 v0, v6, v0
	v_lshrrev_b32_e32 v1, s6, v0
	s_delay_alu instid0(VALU_DEP_1) | instskip(NEXT) | instid1(VALU_DEP_1)
	v_mul_lo_u32 v0, v1, s4
	v_sub_nc_u32_e32 v0, v6, v0
	s_delay_alu instid0(VALU_DEP_1)
	v_mul_lo_u32 v0, v0, s8
	s_cbranch_vccnz .LBB133_228
; %bb.227:
	v_mul_hi_u32 v2, s10, v1
	s_delay_alu instid0(VALU_DEP_1) | instskip(NEXT) | instid1(VALU_DEP_1)
	v_add_nc_u32_e32 v2, v1, v2
	v_lshrrev_b32_e32 v2, s11, v2
	s_delay_alu instid0(VALU_DEP_1) | instskip(NEXT) | instid1(VALU_DEP_1)
	v_mul_lo_u32 v2, v2, s7
	v_sub_nc_u32_e32 v3, v1, v2
	s_delay_alu instid0(VALU_DEP_1) | instskip(NEXT) | instid1(VALU_DEP_1)
	v_mad_u64_u32 v[1:2], null, v3, s9, v[0:1]
	v_mov_b32_e32 v0, v1
.LBB133_228:
	s_waitcnt lgkmcnt(0)
	v_mov_b32_e32 v1, s22
	global_store_b8 v0, v1, s[2:3]
	s_or_b32 exec_lo, exec_lo, s16
                                        ; implicit-def: $vgpr8
                                        ; implicit-def: $vgpr6
	s_and_not1_saveexec_b32 s2, s21
	s_cbranch_execz .LBB133_206
	s_branch .LBB133_8
	.section	.rodata,"a",@progbits
	.p2align	6, 0x0
	.amdhsa_kernel _ZN2at6native32elementwise_kernel_manual_unrollILi128ELi8EZNS0_22gpu_kernel_impl_nocastINS0_11FillFunctorIN3c1013Float8_e4m3fnEEEEEvRNS_18TensorIteratorBaseERKT_EUlibE_EEviT1_
		.amdhsa_group_segment_fixed_size 0
		.amdhsa_private_segment_fixed_size 0
		.amdhsa_kernarg_size 288
		.amdhsa_user_sgpr_count 15
		.amdhsa_user_sgpr_dispatch_ptr 0
		.amdhsa_user_sgpr_queue_ptr 0
		.amdhsa_user_sgpr_kernarg_segment_ptr 1
		.amdhsa_user_sgpr_dispatch_id 0
		.amdhsa_user_sgpr_private_segment_size 0
		.amdhsa_wavefront_size32 1
		.amdhsa_uses_dynamic_stack 0
		.amdhsa_enable_private_segment 0
		.amdhsa_system_sgpr_workgroup_id_x 1
		.amdhsa_system_sgpr_workgroup_id_y 0
		.amdhsa_system_sgpr_workgroup_id_z 0
		.amdhsa_system_sgpr_workgroup_info 0
		.amdhsa_system_vgpr_workitem_id 0
		.amdhsa_next_free_vgpr 18
		.amdhsa_next_free_sgpr 52
		.amdhsa_reserve_vcc 1
		.amdhsa_float_round_mode_32 0
		.amdhsa_float_round_mode_16_64 0
		.amdhsa_float_denorm_mode_32 3
		.amdhsa_float_denorm_mode_16_64 3
		.amdhsa_dx10_clamp 1
		.amdhsa_ieee_mode 1
		.amdhsa_fp16_overflow 0
		.amdhsa_workgroup_processor_mode 1
		.amdhsa_memory_ordered 1
		.amdhsa_forward_progress 0
		.amdhsa_shared_vgpr_count 0
		.amdhsa_exception_fp_ieee_invalid_op 0
		.amdhsa_exception_fp_denorm_src 0
		.amdhsa_exception_fp_ieee_div_zero 0
		.amdhsa_exception_fp_ieee_overflow 0
		.amdhsa_exception_fp_ieee_underflow 0
		.amdhsa_exception_fp_ieee_inexact 0
		.amdhsa_exception_int_div_zero 0
	.end_amdhsa_kernel
	.section	.text._ZN2at6native32elementwise_kernel_manual_unrollILi128ELi8EZNS0_22gpu_kernel_impl_nocastINS0_11FillFunctorIN3c1013Float8_e4m3fnEEEEEvRNS_18TensorIteratorBaseERKT_EUlibE_EEviT1_,"axG",@progbits,_ZN2at6native32elementwise_kernel_manual_unrollILi128ELi8EZNS0_22gpu_kernel_impl_nocastINS0_11FillFunctorIN3c1013Float8_e4m3fnEEEEEvRNS_18TensorIteratorBaseERKT_EUlibE_EEviT1_,comdat
.Lfunc_end133:
	.size	_ZN2at6native32elementwise_kernel_manual_unrollILi128ELi8EZNS0_22gpu_kernel_impl_nocastINS0_11FillFunctorIN3c1013Float8_e4m3fnEEEEEvRNS_18TensorIteratorBaseERKT_EUlibE_EEviT1_, .Lfunc_end133-_ZN2at6native32elementwise_kernel_manual_unrollILi128ELi8EZNS0_22gpu_kernel_impl_nocastINS0_11FillFunctorIN3c1013Float8_e4m3fnEEEEEvRNS_18TensorIteratorBaseERKT_EUlibE_EEviT1_
                                        ; -- End function
	.section	.AMDGPU.csdata,"",@progbits
; Kernel info:
; codeLenInByte = 11652
; NumSgprs: 54
; NumVgprs: 18
; ScratchSize: 0
; MemoryBound: 0
; FloatMode: 240
; IeeeMode: 1
; LDSByteSize: 0 bytes/workgroup (compile time only)
; SGPRBlocks: 6
; VGPRBlocks: 2
; NumSGPRsForWavesPerEU: 54
; NumVGPRsForWavesPerEU: 18
; Occupancy: 16
; WaveLimiterHint : 1
; COMPUTE_PGM_RSRC2:SCRATCH_EN: 0
; COMPUTE_PGM_RSRC2:USER_SGPR: 15
; COMPUTE_PGM_RSRC2:TRAP_HANDLER: 0
; COMPUTE_PGM_RSRC2:TGID_X_EN: 1
; COMPUTE_PGM_RSRC2:TGID_Y_EN: 0
; COMPUTE_PGM_RSRC2:TGID_Z_EN: 0
; COMPUTE_PGM_RSRC2:TIDIG_COMP_CNT: 0
	.section	.text._ZN2at6native32elementwise_kernel_manual_unrollILi128ELi4EZNS0_15gpu_kernel_implINS0_11FillFunctorIN3c1013Float8_e4m3fnEEEEEvRNS_18TensorIteratorBaseERKT_EUlibE_EEviT1_,"axG",@progbits,_ZN2at6native32elementwise_kernel_manual_unrollILi128ELi4EZNS0_15gpu_kernel_implINS0_11FillFunctorIN3c1013Float8_e4m3fnEEEEEvRNS_18TensorIteratorBaseERKT_EUlibE_EEviT1_,comdat
	.protected	_ZN2at6native32elementwise_kernel_manual_unrollILi128ELi4EZNS0_15gpu_kernel_implINS0_11FillFunctorIN3c1013Float8_e4m3fnEEEEEvRNS_18TensorIteratorBaseERKT_EUlibE_EEviT1_ ; -- Begin function _ZN2at6native32elementwise_kernel_manual_unrollILi128ELi4EZNS0_15gpu_kernel_implINS0_11FillFunctorIN3c1013Float8_e4m3fnEEEEEvRNS_18TensorIteratorBaseERKT_EUlibE_EEviT1_
	.globl	_ZN2at6native32elementwise_kernel_manual_unrollILi128ELi4EZNS0_15gpu_kernel_implINS0_11FillFunctorIN3c1013Float8_e4m3fnEEEEEvRNS_18TensorIteratorBaseERKT_EUlibE_EEviT1_
	.p2align	8
	.type	_ZN2at6native32elementwise_kernel_manual_unrollILi128ELi4EZNS0_15gpu_kernel_implINS0_11FillFunctorIN3c1013Float8_e4m3fnEEEEEvRNS_18TensorIteratorBaseERKT_EUlibE_EEviT1_,@function
_ZN2at6native32elementwise_kernel_manual_unrollILi128ELi4EZNS0_15gpu_kernel_implINS0_11FillFunctorIN3c1013Float8_e4m3fnEEEEEvRNS_18TensorIteratorBaseERKT_EUlibE_EEviT1_: ; @_ZN2at6native32elementwise_kernel_manual_unrollILi128ELi4EZNS0_15gpu_kernel_implINS0_11FillFunctorIN3c1013Float8_e4m3fnEEEEEvRNS_18TensorIteratorBaseERKT_EUlibE_EEviT1_
; %bb.0:
	s_clause 0x1
	s_load_b128 s[4:7], s[0:1], 0x8
	s_load_b32 s23, s[0:1], 0x0
	v_lshl_or_b32 v18, s15, 9, v0
	s_mov_b32 s3, 0
	s_mov_b32 s1, 0
	s_mov_b32 s0, exec_lo
	s_delay_alu instid0(VALU_DEP_1) | instskip(SKIP_2) | instid1(VALU_DEP_2)
	v_or_b32_e32 v0, 0x180, v18
	s_waitcnt lgkmcnt(0)
	v_lshrrev_b16 v10, 8, s7
	v_cmpx_le_i32_e64 s23, v0
	s_xor_b32 s2, exec_lo, s0
	s_cbranch_execz .LBB134_151
; %bb.1:
	s_lshl_b32 s0, s7, 24
	s_movk_i32 s14, 0x7f
	s_and_b32 s1, s0, 0x7f000000
	s_and_b32 s0, s0, 0x80000000
	s_clz_i32_u32 s8, s1
	s_add_i32 s9, s1, 0x1000000
	s_min_u32 s8, s8, 32
	s_ashr_i32 s9, s9, 8
	v_sub_nc_u32_e64 v0, s8, 4 clamp
	s_and_b32 s25, s9, 0x7f800000
	s_delay_alu instid0(VALU_DEP_1) | instskip(NEXT) | instid1(VALU_DEP_1)
	v_readfirstlane_b32 s8, v0
	s_lshl_b32 s10, s1, s8
	s_lshl_b32 s8, s8, 23
	s_lshr_b32 s10, s10, 4
	s_delay_alu instid0(SALU_CYCLE_1) | instskip(NEXT) | instid1(SALU_CYCLE_1)
	s_sub_i32 s8, s10, s8
	s_add_i32 s26, s8, 0x3c000000
	s_delay_alu instid0(SALU_CYCLE_1) | instskip(SKIP_2) | instid1(SALU_CYCLE_1)
	s_or_b32 s8, s26, s25
	s_cmp_lg_u32 s1, 0
	s_cselect_b32 s27, -1, 0
	s_and_b32 s1, s27, exec_lo
	s_cselect_b32 s10, s8, 0
	s_delay_alu instid0(SALU_CYCLE_1)
	s_lshr_b32 s28, s10, 23
	s_or_b32 s1, s10, s0
	s_cmpk_eq_i32 s28, 0xff
	v_add_f32_e64 v16, 0x46000000, |s1|
	s_cselect_b32 s24, -1, 0
	s_bitcmp1_b32 s10, 22
	v_add_f32_e64 v15, 0x42800000, |s1|
	s_cselect_b32 s0, -1, 0
	s_and_b32 s8, s10, 0x3fffff
	v_cvt_f64_f32_e32 v[0:1], s1
	s_or_b32 s8, s28, s8
	v_readfirstlane_b32 s12, v15
	s_cmp_lg_u32 s8, 0
	v_trunc_f32_e32 v2, s1
	s_cselect_b32 s8, -1, 0
	s_and_b32 s29, s1, 0x7fffffff
	s_and_b32 s0, s0, s8
	s_cmp_lt_u32 s29, 0x43800000
	v_readfirstlane_b32 s8, v16
	s_cselect_b32 s20, -1, 0
	s_cmp_gt_u32 s29, 0x3bffffff
	v_add_f32_e64 v3, 0x43000000, |s1|
	s_cselect_b32 s19, -1, 0
	s_bfe_u32 s9, s10, 0x10014
	s_and_b32 s8, s8, 0xff
	s_add_i32 s9, s1, s9
	v_mul_f32_e32 v4, 0x2f800000, v2
	s_add_i32 s9, s9, 0x487ffff
	v_cndmask_b32_e64 v6, 0, 1, s0
	s_lshr_b32 s21, s9, 20
	s_cmp_lg_u32 s8, 0
	v_readfirstlane_b32 s9, v3
	s_cselect_b32 s22, -1, 0
	s_lshr_b32 s8, s1, 24
	v_mul_f32_e64 v3, 0x2f800000, |v2|
	s_and_b32 s8, s8, 0x80
	s_cmp_gt_u32 s29, 0x477fffff
	v_floor_f32_e32 v4, v4
	s_cselect_b32 s11, -1, 0
	s_cmp_lt_u32 s29, 0x47800000
	v_floor_f32_e32 v3, v3
	s_cselect_b32 s17, -1, 0
	s_cmp_gt_u32 s29, 0x37ffffff
	v_ashrrev_i32_e32 v5, 31, v2
	s_cselect_b32 s15, -1, 0
	s_bfe_u32 s13, s10, 0x10015
	s_and_b32 s12, s12, 0xff
	s_add_i32 s13, s1, s13
	v_dual_fmamk_f32 v8, v4, 0xcf800000, v2 :: v_dual_add_nc_u32 v19, s28, v6
	s_add_i32 s16, s13, 0x88fffff
	v_fma_f32 v2, 0xcf800000, v3, |v2|
	s_lshr_b32 s16, s16, 21
	s_cmp_lg_u32 s12, 0
	v_cmp_o_f32_e64 s30, s1, s1
	s_cselect_b32 s18, -1, 0
	s_cmp_lt_u32 s29, 0x38800000
	v_cvt_u32_f32_e32 v2, v2
	s_cselect_b32 s12, -1, 0
	s_add_i32 s13, s13, 0x80fffff
	v_cvt_u32_f32_e32 v3, v3
	s_lshr_b32 s13, s13, 21
	s_cmp_gt_u32 s29, 0x7f800000
	v_xor_b32_e32 v2, v2, v5
	s_cselect_b32 s14, s14, 0x7c
	s_bfe_u32 s0, s10, 0x10010
	v_cvt_f16_f32_e32 v12, s1
	s_add_i32 s0, s1, s0
	v_xor_b32_e32 v3, v3, v5
	s_addk_i32 s0, 0x7fff
	v_cvt_u32_f32_e32 v7, v4
	s_lshr_b32 s0, s0, 16
	s_and_b32 s10, s30, exec_lo
	s_cselect_b32 s10, s0, 0x7fc0
	s_and_b32 s0, s26, 0x7ff00000
	v_sub_co_u32 v4, vcc_lo, v2, v5
	s_or_b32 s0, s0, s25
	v_cvt_u32_f32_e32 v17, s1
	s_cmp_lg_u32 s0, 0
	v_and_b32_e32 v13, 0xffff, v12
	s_cselect_b32 s0, -1, 0
	v_cvt_u32_f32_e32 v6, v8
	s_and_b32 s0, s27, s0
	v_sub_co_ci_u32_e32 v5, vcc_lo, v3, v5, vcc_lo
	v_cndmask_b32_e64 v14, 0, 1, s0
	v_cvt_i32_f32_e32 v11, s1
	s_mov_b32 s27, 0
	s_mov_b32 s0, -1
	s_mov_b32 s25, 0
	s_mov_b32 s26, exec_lo
	v_cmpx_gt_i32_e64 s23, v18
	s_cbranch_execz .LBB134_100
; %bb.2:
	v_mul_lo_u32 v2, v18, s6
	v_cmp_gt_i16_e32 vcc_lo, 11, v10
	s_delay_alu instid0(VALU_DEP_2) | instskip(SKIP_1) | instid1(VALU_DEP_1)
	v_ashrrev_i32_e32 v3, 31, v2
	v_add_co_u32 v8, s0, s4, v2
	v_add_co_ci_u32_e64 v9, s0, s5, v3, s0
	s_cbranch_vccnz .LBB134_9
; %bb.3:
	v_cmp_lt_i16_e32 vcc_lo, 25, v10
	s_cbranch_vccz .LBB134_12
; %bb.4:
	v_cmp_lt_i16_e32 vcc_lo, 28, v10
	s_cbranch_vccz .LBB134_13
	;; [unrolled: 3-line block ×4, first 2 shown]
; %bb.7:
	v_cmp_eq_u16_e32 vcc_lo, 46, v10
	s_mov_b32 s28, 0
	s_mov_b32 s0, -1
	s_cbranch_vccz .LBB134_16
; %bb.8:
	v_mov_b32_e32 v2, s10
	s_mov_b32 s25, -1
	s_mov_b32 s0, 0
	global_store_b32 v[8:9], v2, off
	s_branch .LBB134_16
.LBB134_9:
	s_mov_b32 s0, 0
	s_cbranch_execnz .LBB134_60
.LBB134_10:
	s_and_not1_b32 vcc_lo, exec_lo, s25
	s_cbranch_vccnz .LBB134_98
.LBB134_11:
	v_add_nc_u32_e32 v18, 0x80, v18
	s_mov_b32 s28, -1
	s_branch .LBB134_99
.LBB134_12:
	s_mov_b32 s0, 0
	s_cbranch_execnz .LBB134_38
	s_branch .LBB134_59
.LBB134_13:
	s_mov_b32 s28, -1
	s_mov_b32 s0, 0
	s_branch .LBB134_24
.LBB134_14:
	s_mov_b32 s28, -1
	s_mov_b32 s0, 0
	s_branch .LBB134_20
.LBB134_15:
	s_mov_b32 s28, -1
	s_mov_b32 s0, 0
.LBB134_16:
	s_and_b32 vcc_lo, exec_lo, s28
	s_cbranch_vccz .LBB134_19
; %bb.17:
	v_cmp_eq_u16_e32 vcc_lo, 44, v10
	s_mov_b32 s0, -1
	s_cbranch_vccz .LBB134_19
; %bb.18:
	v_cndmask_b32_e64 v2, v19, 0xff, s24
	s_mov_b32 s25, -1
	s_mov_b32 s0, 0
	s_mov_b32 s28, 0
	global_store_b8 v[8:9], v2, off
	s_branch .LBB134_20
.LBB134_19:
	s_mov_b32 s28, 0
.LBB134_20:
	s_delay_alu instid0(SALU_CYCLE_1)
	s_and_b32 vcc_lo, exec_lo, s28
	s_cbranch_vccz .LBB134_23
; %bb.21:
	v_cmp_eq_u16_e32 vcc_lo, 29, v10
	s_mov_b32 s0, -1
	s_cbranch_vccz .LBB134_23
; %bb.22:
	s_mov_b32 s25, -1
	s_mov_b32 s0, 0
	global_store_b64 v[8:9], v[6:7], off
.LBB134_23:
	s_mov_b32 s28, 0
.LBB134_24:
	s_delay_alu instid0(SALU_CYCLE_1)
	s_and_b32 vcc_lo, exec_lo, s28
	s_cbranch_vccz .LBB134_37
; %bb.25:
	v_cmp_gt_i16_e32 vcc_lo, 27, v10
	s_mov_b32 s25, -1
	s_cbranch_vccnz .LBB134_31
; %bb.26:
	v_cmp_lt_i16_e32 vcc_lo, 27, v10
	s_cbranch_vccz .LBB134_28
; %bb.27:
	s_mov_b32 s25, 0
	global_store_b32 v[8:9], v17, off
.LBB134_28:
	s_and_not1_b32 vcc_lo, exec_lo, s25
	s_cbranch_vccnz .LBB134_30
; %bb.29:
	global_store_b16 v[8:9], v17, off
.LBB134_30:
	s_mov_b32 s25, 0
.LBB134_31:
	s_delay_alu instid0(SALU_CYCLE_1)
	s_and_not1_b32 vcc_lo, exec_lo, s25
	s_cbranch_vccnz .LBB134_36
; %bb.32:
	v_mov_b32_e32 v2, 0x80
	s_and_not1_b32 vcc_lo, exec_lo, s20
	s_cbranch_vccnz .LBB134_35
; %bb.33:
	v_mov_b32_e32 v2, 0
	s_or_b32 s25, s19, s22
	s_delay_alu instid0(SALU_CYCLE_1)
	s_and_not1_b32 vcc_lo, exec_lo, s25
	s_cbranch_vccnz .LBB134_35
; %bb.34:
	v_cndmask_b32_e64 v2, v16, s21, s19
	s_delay_alu instid0(VALU_DEP_1)
	v_or_b32_e32 v2, s8, v2
.LBB134_35:
	global_store_b8 v[8:9], v2, off
.LBB134_36:
	s_mov_b32 s25, -1
.LBB134_37:
	s_branch .LBB134_59
.LBB134_38:
	v_cmp_lt_i16_e32 vcc_lo, 22, v10
	s_mov_b32 s28, -1
	s_cbranch_vccz .LBB134_51
; %bb.39:
	v_cmp_gt_i16_e32 vcc_lo, 24, v10
	s_mov_b32 s25, -1
	s_cbranch_vccnz .LBB134_48
; %bb.40:
	v_cmp_lt_i16_e32 vcc_lo, 24, v10
	s_cbranch_vccz .LBB134_45
; %bb.41:
	v_mov_b32_e32 v2, 0x80
	s_and_not1_b32 vcc_lo, exec_lo, s17
	s_cbranch_vccnz .LBB134_44
; %bb.42:
	v_mov_b32_e32 v2, 0
	s_or_b32 s25, s15, s18
	s_delay_alu instid0(SALU_CYCLE_1)
	s_and_not1_b32 vcc_lo, exec_lo, s25
	s_cbranch_vccnz .LBB134_44
; %bb.43:
	v_cndmask_b32_e64 v2, v15, s16, s15
	s_delay_alu instid0(VALU_DEP_1)
	v_or_b32_e32 v2, s8, v2
.LBB134_44:
	s_mov_b32 s25, 0
	global_store_b8 v[8:9], v2, off
.LBB134_45:
	s_and_b32 vcc_lo, exec_lo, s25
	s_cbranch_vccz .LBB134_47
; %bb.46:
	v_mov_b32_e32 v2, s7
	global_store_b8 v[8:9], v2, off
.LBB134_47:
	s_mov_b32 s25, 0
.LBB134_48:
	s_delay_alu instid0(SALU_CYCLE_1)
	s_and_not1_b32 vcc_lo, exec_lo, s25
	s_cbranch_vccnz .LBB134_50
; %bb.49:
	s_and_b32 s25, s12, exec_lo
	s_cselect_b32 s25, s9, s13
	s_and_b32 s28, s11, exec_lo
	s_cselect_b32 s25, s14, s25
	s_delay_alu instid0(SALU_CYCLE_1) | instskip(NEXT) | instid1(SALU_CYCLE_1)
	s_or_b32 s25, s25, s8
	v_mov_b32_e32 v2, s25
	global_store_b8 v[8:9], v2, off
.LBB134_50:
	s_mov_b32 s28, 0
	s_mov_b32 s25, -1
.LBB134_51:
	s_and_not1_b32 vcc_lo, exec_lo, s28
	s_cbranch_vccnz .LBB134_59
; %bb.52:
	v_cmp_lt_i16_e32 vcc_lo, 14, v10
	s_mov_b32 s28, -1
	s_cbranch_vccz .LBB134_56
; %bb.53:
	v_cmp_eq_u16_e32 vcc_lo, 15, v10
	s_mov_b32 s0, -1
	s_cbranch_vccz .LBB134_55
; %bb.54:
	v_mov_b32_e32 v2, s10
	s_mov_b32 s25, -1
	s_mov_b32 s0, 0
	global_store_b16 v[8:9], v2, off
.LBB134_55:
	s_mov_b32 s28, 0
.LBB134_56:
	s_delay_alu instid0(SALU_CYCLE_1)
	s_and_b32 vcc_lo, exec_lo, s28
	s_cbranch_vccz .LBB134_59
; %bb.57:
	v_cmp_eq_u16_e32 vcc_lo, 11, v10
	s_mov_b32 s0, -1
	s_cbranch_vccz .LBB134_59
; %bb.58:
	s_mov_b32 s25, -1
	s_mov_b32 s0, 0
	global_store_b8 v[8:9], v14, off
.LBB134_59:
	s_branch .LBB134_10
.LBB134_60:
	v_cmp_gt_i16_e32 vcc_lo, 5, v10
	s_mov_b32 s25, -1
	s_cbranch_vccnz .LBB134_81
; %bb.61:
	v_cmp_gt_i16_e32 vcc_lo, 8, v10
	s_cbranch_vccnz .LBB134_71
; %bb.62:
	v_cmp_gt_i16_e32 vcc_lo, 9, v10
	s_cbranch_vccnz .LBB134_68
; %bb.63:
	v_cmp_lt_i16_e32 vcc_lo, 9, v10
	s_cbranch_vccz .LBB134_65
; %bb.64:
	v_mov_b32_e32 v2, 0
	s_mov_b32 s25, 0
	s_delay_alu instid0(VALU_DEP_1)
	v_mov_b32_e32 v3, v2
	global_store_b128 v[8:9], v[0:3], off
.LBB134_65:
	s_and_not1_b32 vcc_lo, exec_lo, s25
	s_cbranch_vccnz .LBB134_67
; %bb.66:
	v_dual_mov_b32 v2, s1 :: v_dual_mov_b32 v3, 0
	global_store_b64 v[8:9], v[2:3], off
.LBB134_67:
	s_mov_b32 s25, 0
.LBB134_68:
	s_delay_alu instid0(SALU_CYCLE_1)
	s_and_not1_b32 vcc_lo, exec_lo, s25
	s_cbranch_vccnz .LBB134_70
; %bb.69:
	global_store_b32 v[8:9], v13, off
.LBB134_70:
	s_mov_b32 s25, 0
.LBB134_71:
	s_delay_alu instid0(SALU_CYCLE_1)
	s_and_not1_b32 vcc_lo, exec_lo, s25
	s_cbranch_vccnz .LBB134_80
; %bb.72:
	v_cmp_gt_i16_e32 vcc_lo, 6, v10
	s_mov_b32 s25, -1
	s_cbranch_vccnz .LBB134_78
; %bb.73:
	v_cmp_lt_i16_e32 vcc_lo, 6, v10
	s_cbranch_vccz .LBB134_75
; %bb.74:
	s_mov_b32 s25, 0
	global_store_b64 v[8:9], v[0:1], off
.LBB134_75:
	s_and_not1_b32 vcc_lo, exec_lo, s25
	s_cbranch_vccnz .LBB134_77
; %bb.76:
	v_mov_b32_e32 v2, s1
	global_store_b32 v[8:9], v2, off
.LBB134_77:
	s_mov_b32 s25, 0
.LBB134_78:
	s_delay_alu instid0(SALU_CYCLE_1)
	s_and_not1_b32 vcc_lo, exec_lo, s25
	s_cbranch_vccnz .LBB134_80
; %bb.79:
	global_store_b16 v[8:9], v12, off
.LBB134_80:
	s_mov_b32 s25, 0
.LBB134_81:
	s_delay_alu instid0(SALU_CYCLE_1)
	s_and_not1_b32 vcc_lo, exec_lo, s25
	s_cbranch_vccnz .LBB134_97
; %bb.82:
	v_cmp_gt_i16_e32 vcc_lo, 2, v10
	s_mov_b32 s25, -1
	s_cbranch_vccnz .LBB134_92
; %bb.83:
	v_cmp_gt_i16_e32 vcc_lo, 3, v10
	s_cbranch_vccnz .LBB134_89
; %bb.84:
	v_cmp_lt_i16_e32 vcc_lo, 3, v10
	s_cbranch_vccz .LBB134_86
; %bb.85:
	s_mov_b32 s25, 0
	global_store_b64 v[8:9], v[4:5], off
.LBB134_86:
	s_and_not1_b32 vcc_lo, exec_lo, s25
	s_cbranch_vccnz .LBB134_88
; %bb.87:
	global_store_b32 v[8:9], v11, off
.LBB134_88:
	s_mov_b32 s25, 0
.LBB134_89:
	s_delay_alu instid0(SALU_CYCLE_1)
	s_and_not1_b32 vcc_lo, exec_lo, s25
	s_cbranch_vccnz .LBB134_91
; %bb.90:
	global_store_b16 v[8:9], v11, off
.LBB134_91:
	s_mov_b32 s25, 0
.LBB134_92:
	s_delay_alu instid0(SALU_CYCLE_1)
	s_and_not1_b32 vcc_lo, exec_lo, s25
	s_cbranch_vccnz .LBB134_97
; %bb.93:
	v_cmp_lt_i16_e32 vcc_lo, 0, v10
	s_mov_b32 s25, -1
	s_cbranch_vccz .LBB134_95
; %bb.94:
	s_mov_b32 s25, 0
	global_store_b8 v[8:9], v11, off
.LBB134_95:
	s_and_not1_b32 vcc_lo, exec_lo, s25
	s_cbranch_vccnz .LBB134_97
; %bb.96:
	global_store_b8 v[8:9], v4, off
.LBB134_97:
	s_branch .LBB134_11
.LBB134_98:
	s_mov_b32 s28, 0
                                        ; implicit-def: $vgpr18
.LBB134_99:
	s_and_b32 s25, s0, exec_lo
	s_or_not1_b32 s0, s28, exec_lo
.LBB134_100:
	s_or_b32 exec_lo, exec_lo, s26
	s_mov_b32 s28, 0
                                        ; implicit-def: $vgpr8_vgpr9
	s_and_saveexec_b32 s26, s0
	s_cbranch_execz .LBB134_109
; %bb.101:
	s_mov_b32 s30, -1
	s_mov_b32 s27, s25
	s_mov_b32 s28, exec_lo
	v_cmpx_gt_i32_e64 s23, v18
	s_cbranch_execz .LBB134_326
; %bb.102:
	v_mul_lo_u32 v2, v18, s6
	v_cmp_gt_i16_e32 vcc_lo, 11, v10
	s_delay_alu instid0(VALU_DEP_2) | instskip(SKIP_1) | instid1(VALU_DEP_1)
	v_ashrrev_i32_e32 v3, 31, v2
	v_add_co_u32 v8, s0, s4, v2
	v_add_co_ci_u32_e64 v9, s0, s5, v3, s0
	s_cbranch_vccnz .LBB134_219
; %bb.103:
	v_cmp_lt_i16_e32 vcc_lo, 25, v10
	s_cbranch_vccz .LBB134_222
; %bb.104:
	v_cmp_lt_i16_e32 vcc_lo, 28, v10
	s_cbranch_vccz .LBB134_223
	;; [unrolled: 3-line block ×4, first 2 shown]
; %bb.107:
	v_cmp_eq_u16_e32 vcc_lo, 46, v10
	s_mov_b32 s29, 0
	s_mov_b32 s0, -1
	s_mov_b32 s27, 0
	s_cbranch_vccz .LBB134_241
; %bb.108:
	v_mov_b32_e32 v2, s10
	s_mov_b32 s27, -1
	s_mov_b32 s0, 0
	global_store_b32 v[8:9], v2, off
	s_branch .LBB134_241
.LBB134_109:
	s_or_b32 exec_lo, exec_lo, s26
	s_mov_b32 s0, 0
	s_and_saveexec_b32 s8, s25
	s_cbranch_execnz .LBB134_853
.LBB134_110:
	s_or_b32 exec_lo, exec_lo, s8
	s_and_saveexec_b32 s8, s27
	s_delay_alu instid0(SALU_CYCLE_1)
	s_xor_b32 s8, exec_lo, s8
	s_cbranch_execz .LBB134_112
.LBB134_111:
	global_store_b8 v[8:9], v14, off
.LBB134_112:
	s_or_b32 exec_lo, exec_lo, s8
	s_and_saveexec_b32 s8, s28
	s_delay_alu instid0(SALU_CYCLE_1)
	s_xor_b32 s8, exec_lo, s8
	s_cbranch_execz .LBB134_150
; %bb.113:
	v_cmp_gt_i16_e32 vcc_lo, 5, v10
	s_mov_b32 s9, -1
	s_cbranch_vccnz .LBB134_134
; %bb.114:
	v_cmp_gt_i16_e32 vcc_lo, 8, v10
	s_cbranch_vccnz .LBB134_124
; %bb.115:
	v_cmp_gt_i16_e32 vcc_lo, 9, v10
	s_cbranch_vccnz .LBB134_121
; %bb.116:
	v_cmp_lt_i16_e32 vcc_lo, 9, v10
	s_cbranch_vccz .LBB134_118
; %bb.117:
	v_mov_b32_e32 v2, 0
	s_mov_b32 s9, 0
	s_delay_alu instid0(VALU_DEP_1)
	v_mov_b32_e32 v3, v2
	global_store_b128 v[8:9], v[0:3], off
.LBB134_118:
	s_and_not1_b32 vcc_lo, exec_lo, s9
	s_cbranch_vccnz .LBB134_120
; %bb.119:
	v_dual_mov_b32 v2, s1 :: v_dual_mov_b32 v3, 0
	global_store_b64 v[8:9], v[2:3], off
.LBB134_120:
	s_mov_b32 s9, 0
.LBB134_121:
	s_delay_alu instid0(SALU_CYCLE_1)
	s_and_not1_b32 vcc_lo, exec_lo, s9
	s_cbranch_vccnz .LBB134_123
; %bb.122:
	global_store_b32 v[8:9], v13, off
.LBB134_123:
	s_mov_b32 s9, 0
.LBB134_124:
	s_delay_alu instid0(SALU_CYCLE_1)
	s_and_not1_b32 vcc_lo, exec_lo, s9
	s_cbranch_vccnz .LBB134_133
; %bb.125:
	v_cmp_gt_i16_e32 vcc_lo, 6, v10
	s_mov_b32 s9, -1
	s_cbranch_vccnz .LBB134_131
; %bb.126:
	v_cmp_lt_i16_e32 vcc_lo, 6, v10
	s_cbranch_vccz .LBB134_128
; %bb.127:
	s_mov_b32 s9, 0
	global_store_b64 v[8:9], v[0:1], off
.LBB134_128:
	s_and_not1_b32 vcc_lo, exec_lo, s9
	s_cbranch_vccnz .LBB134_130
; %bb.129:
	v_mov_b32_e32 v0, s1
	global_store_b32 v[8:9], v0, off
.LBB134_130:
	s_mov_b32 s9, 0
.LBB134_131:
	s_delay_alu instid0(SALU_CYCLE_1)
	s_and_not1_b32 vcc_lo, exec_lo, s9
	s_cbranch_vccnz .LBB134_133
; %bb.132:
	global_store_b16 v[8:9], v12, off
.LBB134_133:
	s_mov_b32 s9, 0
.LBB134_134:
	s_delay_alu instid0(SALU_CYCLE_1)
	s_and_not1_b32 vcc_lo, exec_lo, s9
	s_cbranch_vccnz .LBB134_150
; %bb.135:
	v_cmp_gt_i16_e32 vcc_lo, 2, v10
	s_mov_b32 s1, -1
	s_cbranch_vccnz .LBB134_145
; %bb.136:
	v_cmp_gt_i16_e32 vcc_lo, 3, v10
	s_cbranch_vccnz .LBB134_142
; %bb.137:
	v_cmp_lt_i16_e32 vcc_lo, 3, v10
	s_cbranch_vccz .LBB134_139
; %bb.138:
	s_mov_b32 s1, 0
	global_store_b64 v[8:9], v[4:5], off
.LBB134_139:
	s_and_not1_b32 vcc_lo, exec_lo, s1
	s_cbranch_vccnz .LBB134_141
; %bb.140:
	global_store_b32 v[8:9], v11, off
.LBB134_141:
	s_mov_b32 s1, 0
.LBB134_142:
	s_delay_alu instid0(SALU_CYCLE_1)
	s_and_not1_b32 vcc_lo, exec_lo, s1
	s_cbranch_vccnz .LBB134_144
; %bb.143:
	global_store_b16 v[8:9], v11, off
.LBB134_144:
	s_mov_b32 s1, 0
.LBB134_145:
	s_delay_alu instid0(SALU_CYCLE_1)
	s_and_not1_b32 vcc_lo, exec_lo, s1
	s_cbranch_vccnz .LBB134_150
; %bb.146:
	v_cmp_lt_i16_e32 vcc_lo, 0, v10
	s_mov_b32 s1, -1
	s_cbranch_vccz .LBB134_148
; %bb.147:
	s_mov_b32 s1, 0
	global_store_b8 v[8:9], v11, off
.LBB134_148:
	s_and_not1_b32 vcc_lo, exec_lo, s1
	s_cbranch_vccnz .LBB134_150
; %bb.149:
	global_store_b8 v[8:9], v4, off
.LBB134_150:
	s_or_b32 exec_lo, exec_lo, s8
	s_delay_alu instid0(SALU_CYCLE_1)
	s_and_b32 s1, s0, exec_lo
                                        ; implicit-def: $vgpr10
                                        ; implicit-def: $vgpr18
.LBB134_151:
	s_or_saveexec_b32 s2, s2
	s_mov_b32 s0, 0
                                        ; implicit-def: $vgpr0_vgpr1
	s_xor_b32 exec_lo, exec_lo, s2
	s_cbranch_execz .LBB134_661
; %bb.152:
	v_mul_lo_u32 v2, s6, v18
	v_cmp_gt_i16_e32 vcc_lo, 11, v10
	s_delay_alu instid0(VALU_DEP_2) | instskip(SKIP_1) | instid1(VALU_DEP_1)
	v_ashrrev_i32_e32 v1, 31, v2
	v_add_co_u32 v0, s0, s4, v2
	v_add_co_ci_u32_e64 v1, s0, s5, v1, s0
	s_cbranch_vccnz .LBB134_180
; %bb.153:
	v_cmp_lt_i16_e32 vcc_lo, 25, v10
	s_mov_b32 s3, -1
	s_mov_b32 s8, 0
	s_mov_b32 s9, 0
	;; [unrolled: 1-line block ×3, first 2 shown]
	s_cbranch_vccz .LBB134_233
; %bb.154:
	v_cmp_lt_i16_e32 vcc_lo, 28, v10
	s_cbranch_vccz .LBB134_169
; %bb.155:
	v_cmp_lt_i16_e32 vcc_lo, 43, v10
	;; [unrolled: 3-line block ×3, first 2 shown]
	s_cbranch_vccz .LBB134_159
; %bb.157:
	v_cmp_eq_u16_e32 vcc_lo, 46, v10
	s_mov_b32 s0, -1
	s_mov_b32 s3, 0
	s_cbranch_vccz .LBB134_159
; %bb.158:
	s_lshl_b32 s0, s7, 24
	s_delay_alu instid0(SALU_CYCLE_1)
	s_and_b32 s9, s0, 0x7f000000
	s_and_b32 s0, s0, 0x80000000
	s_clz_i32_u32 s10, s9
	s_add_i32 s11, s9, 0x1000000
	s_min_u32 s10, s10, 32
	s_ashr_i32 s11, s11, 8
	v_sub_nc_u32_e64 v3, s10, 4 clamp
	s_and_b32 s11, s11, 0x7f800000
	s_delay_alu instid0(VALU_DEP_1) | instskip(NEXT) | instid1(VALU_DEP_1)
	v_readfirstlane_b32 s10, v3
	s_lshl_b32 s12, s9, s10
	s_lshl_b32 s10, s10, 23
	s_lshr_b32 s12, s12, 4
	s_delay_alu instid0(SALU_CYCLE_1) | instskip(NEXT) | instid1(SALU_CYCLE_1)
	s_sub_i32 s10, s12, s10
	s_add_i32 s10, s10, 0x3c000000
	s_delay_alu instid0(SALU_CYCLE_1) | instskip(SKIP_2) | instid1(SALU_CYCLE_1)
	s_or_b32 s10, s10, s11
	s_cmp_lg_u32 s9, 0
	s_cselect_b32 s9, s10, 0
	s_or_b32 s0, s9, s0
	s_bfe_u32 s9, s9, 0x10010
	s_delay_alu instid0(SALU_CYCLE_1) | instskip(SKIP_2) | instid1(SALU_CYCLE_1)
	s_add_i32 s9, s0, s9
	v_cmp_o_f32_e64 s0, s0, s0
	s_addk_i32 s9, 0x7fff
	s_lshr_b32 s9, s9, 16
	s_delay_alu instid0(VALU_DEP_1)
	s_and_b32 s0, s0, exec_lo
	s_cselect_b32 s0, s9, 0x7fc0
	s_mov_b32 s9, -1
	v_mov_b32_e32 v3, s0
	s_mov_b32 s0, 0
	global_store_b32 v[0:1], v3, off
.LBB134_159:
	s_and_b32 vcc_lo, exec_lo, s3
	s_cbranch_vccz .LBB134_164
; %bb.160:
	v_cmp_eq_u16_e32 vcc_lo, 44, v10
	s_mov_b32 s0, -1
	s_cbranch_vccz .LBB134_164
; %bb.161:
	s_lshl_b32 s0, s7, 24
	s_delay_alu instid0(SALU_CYCLE_1) | instskip(NEXT) | instid1(SALU_CYCLE_1)
	s_and_b32 s0, s0, 0x7f000000
	s_clz_i32_u32 s3, s0
	s_add_i32 s9, s0, 0x1000000
	s_min_u32 s3, s3, 32
	s_ashr_i32 s9, s9, 8
	v_sub_nc_u32_e64 v3, s3, 4 clamp
	s_and_b32 s9, s9, 0x7f800000
	s_delay_alu instid0(VALU_DEP_1) | instskip(SKIP_1) | instid1(VALU_DEP_2)
	v_readfirstlane_b32 s3, v3
	v_mov_b32_e32 v3, 0xff
	s_lshl_b32 s10, s0, s3
	s_lshl_b32 s3, s3, 23
	s_lshr_b32 s10, s10, 4
	s_delay_alu instid0(SALU_CYCLE_1) | instskip(NEXT) | instid1(SALU_CYCLE_1)
	s_sub_i32 s3, s10, s3
	s_add_i32 s3, s3, 0x3c000000
	s_delay_alu instid0(SALU_CYCLE_1) | instskip(SKIP_3) | instid1(SALU_CYCLE_1)
	s_or_b32 s3, s3, s9
	s_cmp_lg_u32 s0, 0
	s_mov_b32 s0, 0
	s_cselect_b32 s9, s3, 0
	s_lshr_b32 s3, s9, 23
	s_delay_alu instid0(SALU_CYCLE_1)
	s_cmpk_eq_i32 s3, 0xff
	s_cbranch_scc1 .LBB134_163
; %bb.162:
	s_bitcmp1_b32 s9, 22
	s_cselect_b32 s10, -1, 0
	s_and_b32 s9, s9, 0x3fffff
	s_delay_alu instid0(SALU_CYCLE_1) | instskip(NEXT) | instid1(SALU_CYCLE_1)
	s_or_b32 s9, s3, s9
	s_cmp_lg_u32 s9, 0
	s_cselect_b32 s9, -1, 0
	s_delay_alu instid0(SALU_CYCLE_1) | instskip(NEXT) | instid1(SALU_CYCLE_1)
	s_and_b32 s9, s10, s9
	v_cndmask_b32_e64 v3, 0, 1, s9
	s_delay_alu instid0(VALU_DEP_1)
	v_add_nc_u32_e32 v3, s3, v3
.LBB134_163:
	s_mov_b32 s9, -1
	global_store_b8 v[0:1], v3, off
.LBB134_164:
	s_mov_b32 s3, 0
.LBB134_165:
	s_delay_alu instid0(SALU_CYCLE_1)
	s_and_b32 vcc_lo, exec_lo, s3
	s_cbranch_vccz .LBB134_168
; %bb.166:
	v_cmp_eq_u16_e32 vcc_lo, 29, v10
	s_mov_b32 s0, -1
	s_cbranch_vccz .LBB134_168
; %bb.167:
	s_lshl_b32 s0, s7, 24
	s_delay_alu instid0(SALU_CYCLE_1)
	s_and_b32 s3, s0, 0x7f000000
	s_and_b32 s0, s0, 0x80000000
	s_clz_i32_u32 s9, s3
	s_add_i32 s10, s3, 0x1000000
	s_min_u32 s9, s9, 32
	s_ashr_i32 s10, s10, 8
	v_sub_nc_u32_e64 v3, s9, 4 clamp
	s_and_b32 s10, s10, 0x7f800000
	s_delay_alu instid0(VALU_DEP_1) | instskip(NEXT) | instid1(VALU_DEP_1)
	v_readfirstlane_b32 s9, v3
	s_lshl_b32 s11, s3, s9
	s_lshl_b32 s9, s9, 23
	s_lshr_b32 s11, s11, 4
	s_delay_alu instid0(SALU_CYCLE_1) | instskip(NEXT) | instid1(SALU_CYCLE_1)
	s_sub_i32 s9, s11, s9
	s_add_i32 s9, s9, 0x3c000000
	s_delay_alu instid0(SALU_CYCLE_1) | instskip(SKIP_4) | instid1(SALU_CYCLE_1)
	s_or_b32 s9, s9, s10
	s_cmp_lg_u32 s3, 0
	s_cselect_b32 s3, s9, 0
	s_mov_b32 s9, -1
	s_or_b32 s0, s3, s0
	v_trunc_f32_e32 v3, s0
	s_mov_b32 s0, 0
	s_delay_alu instid0(VALU_DEP_1) | instskip(NEXT) | instid1(VALU_DEP_1)
	v_mul_f32_e32 v4, 0x2f800000, v3
	v_floor_f32_e32 v4, v4
	s_delay_alu instid0(VALU_DEP_1) | instskip(SKIP_1) | instid1(VALU_DEP_2)
	v_fmamk_f32 v3, v4, 0xcf800000, v3
	v_cvt_u32_f32_e32 v4, v4
	v_cvt_u32_f32_e32 v3, v3
	global_store_b64 v[0:1], v[3:4], off
.LBB134_168:
	s_mov_b32 s3, 0
.LBB134_169:
	s_delay_alu instid0(SALU_CYCLE_1)
	s_and_b32 vcc_lo, exec_lo, s3
	s_cbranch_vccz .LBB134_232
; %bb.170:
	v_cmp_gt_i16_e32 vcc_lo, 27, v10
	s_mov_b32 s3, -1
	s_cbranch_vccnz .LBB134_176
; %bb.171:
	v_cmp_lt_i16_e32 vcc_lo, 27, v10
	s_cbranch_vccz .LBB134_173
; %bb.172:
	s_lshl_b32 s3, s7, 24
	s_delay_alu instid0(SALU_CYCLE_1)
	s_and_b32 s9, s3, 0x7f000000
	s_and_b32 s3, s3, 0x80000000
	s_clz_i32_u32 s10, s9
	s_add_i32 s12, s9, 0x1000000
	s_min_u32 s10, s10, 32
	s_ashr_i32 s12, s12, 8
	v_sub_nc_u32_e64 v3, s10, 4 clamp
	s_delay_alu instid0(VALU_DEP_1) | instskip(NEXT) | instid1(VALU_DEP_1)
	v_readfirstlane_b32 s10, v3
	s_lshl_b32 s11, s9, s10
	s_lshl_b32 s10, s10, 23
	s_lshr_b32 s11, s11, 4
	s_delay_alu instid0(SALU_CYCLE_1) | instskip(SKIP_2) | instid1(SALU_CYCLE_1)
	s_sub_i32 s10, s11, s10
	s_and_b32 s11, s12, 0x7f800000
	s_add_i32 s10, s10, 0x3c000000
	s_or_b32 s10, s10, s11
	s_cmp_lg_u32 s9, 0
	s_cselect_b32 s9, s10, 0
	s_delay_alu instid0(SALU_CYCLE_1) | instskip(NEXT) | instid1(SALU_CYCLE_1)
	s_or_b32 s3, s9, s3
	v_cvt_u32_f32_e32 v3, s3
	s_mov_b32 s3, 0
	global_store_b32 v[0:1], v3, off
.LBB134_173:
	s_and_not1_b32 vcc_lo, exec_lo, s3
	s_cbranch_vccnz .LBB134_175
; %bb.174:
	s_lshl_b32 s3, s7, 24
	s_delay_alu instid0(SALU_CYCLE_1)
	s_and_b32 s9, s3, 0x7f000000
	s_and_b32 s3, s3, 0x80000000
	s_clz_i32_u32 s10, s9
	s_add_i32 s12, s9, 0x1000000
	s_min_u32 s10, s10, 32
	s_ashr_i32 s12, s12, 8
	v_sub_nc_u32_e64 v3, s10, 4 clamp
	s_delay_alu instid0(VALU_DEP_1) | instskip(NEXT) | instid1(VALU_DEP_1)
	v_readfirstlane_b32 s10, v3
	s_lshl_b32 s11, s9, s10
	s_lshl_b32 s10, s10, 23
	s_lshr_b32 s11, s11, 4
	s_delay_alu instid0(SALU_CYCLE_1) | instskip(SKIP_2) | instid1(SALU_CYCLE_1)
	s_sub_i32 s10, s11, s10
	s_and_b32 s11, s12, 0x7f800000
	s_add_i32 s10, s10, 0x3c000000
	s_or_b32 s10, s10, s11
	s_cmp_lg_u32 s9, 0
	s_cselect_b32 s9, s10, 0
	s_delay_alu instid0(SALU_CYCLE_1) | instskip(NEXT) | instid1(SALU_CYCLE_1)
	s_or_b32 s3, s9, s3
	v_cvt_u32_f32_e32 v3, s3
	global_store_b16 v[0:1], v3, off
.LBB134_175:
	s_mov_b32 s3, 0
.LBB134_176:
	s_delay_alu instid0(SALU_CYCLE_1)
	s_and_not1_b32 vcc_lo, exec_lo, s3
	s_cbranch_vccnz .LBB134_231
; %bb.177:
	s_lshl_b32 s3, s7, 24
	v_mov_b32_e32 v4, 0x80
	s_and_b32 s9, s3, 0x7f000000
	s_and_b32 s3, s3, 0x80000000
	s_clz_i32_u32 s10, s9
	s_add_i32 s11, s9, 0x1000000
	s_min_u32 s10, s10, 32
	s_ashr_i32 s11, s11, 8
	v_sub_nc_u32_e64 v3, s10, 4 clamp
	s_and_b32 s11, s11, 0x7f800000
	s_delay_alu instid0(VALU_DEP_1) | instskip(NEXT) | instid1(VALU_DEP_1)
	v_readfirstlane_b32 s10, v3
	s_lshl_b32 s12, s9, s10
	s_lshl_b32 s10, s10, 23
	s_lshr_b32 s12, s12, 4
	s_delay_alu instid0(SALU_CYCLE_1) | instskip(NEXT) | instid1(SALU_CYCLE_1)
	s_sub_i32 s10, s12, s10
	s_add_i32 s10, s10, 0x3c000000
	s_delay_alu instid0(SALU_CYCLE_1) | instskip(SKIP_3) | instid1(SALU_CYCLE_1)
	s_or_b32 s10, s10, s11
	s_cmp_lg_u32 s9, 0
	s_mov_b32 s9, 0
	s_cselect_b32 s10, s10, 0
	s_or_b32 s3, s10, s3
	s_delay_alu instid0(SALU_CYCLE_1) | instskip(NEXT) | instid1(SALU_CYCLE_1)
	s_and_b32 s11, s3, 0x7fffffff
	s_cmp_gt_u32 s11, 0x437fffff
	s_cbranch_scc1 .LBB134_230
; %bb.178:
	s_cmp_gt_u32 s11, 0x3bffffff
	s_cbranch_scc0 .LBB134_225
; %bb.179:
	s_bfe_u32 s9, s10, 0x10014
	s_mov_b32 s10, 0
	s_add_i32 s9, s3, s9
	s_delay_alu instid0(SALU_CYCLE_1) | instskip(NEXT) | instid1(SALU_CYCLE_1)
	s_add_i32 s9, s9, 0x487ffff
	s_lshr_b32 s11, s9, 20
	s_mov_b32 s9, -1
	s_branch .LBB134_226
.LBB134_180:
	s_mov_b32 s9, 0
	s_mov_b32 s3, s1
	s_cbranch_execz .LBB134_372
; %bb.181:
	v_cmp_gt_i16_e32 vcc_lo, 5, v10
	s_mov_b32 s0, -1
	s_cbranch_vccnz .LBB134_202
; %bb.182:
	v_cmp_gt_i16_e32 vcc_lo, 8, v10
	s_cbranch_vccnz .LBB134_192
; %bb.183:
	v_cmp_gt_i16_e32 vcc_lo, 9, v10
	s_cbranch_vccnz .LBB134_189
; %bb.184:
	v_cmp_lt_i16_e32 vcc_lo, 9, v10
	s_cbranch_vccz .LBB134_186
; %bb.185:
	s_lshl_b32 s0, s7, 24
	v_mov_b32_e32 v5, 0
	s_and_b32 s8, s0, 0x7f000000
	s_and_b32 s0, s0, 0x80000000
	s_clz_i32_u32 s9, s8
	s_add_i32 s11, s8, 0x1000000
	s_min_u32 s9, s9, 32
	s_ashr_i32 s11, s11, 8
	v_sub_nc_u32_e64 v3, s9, 4 clamp
	v_mov_b32_e32 v6, v5
	s_delay_alu instid0(VALU_DEP_2) | instskip(NEXT) | instid1(VALU_DEP_1)
	v_readfirstlane_b32 s9, v3
	s_lshl_b32 s10, s8, s9
	s_lshl_b32 s9, s9, 23
	s_lshr_b32 s10, s10, 4
	s_delay_alu instid0(SALU_CYCLE_1) | instskip(SKIP_2) | instid1(SALU_CYCLE_1)
	s_sub_i32 s9, s10, s9
	s_and_b32 s10, s11, 0x7f800000
	s_add_i32 s9, s9, 0x3c000000
	s_or_b32 s9, s9, s10
	s_cmp_lg_u32 s8, 0
	s_cselect_b32 s8, s9, 0
	s_delay_alu instid0(SALU_CYCLE_1) | instskip(NEXT) | instid1(SALU_CYCLE_1)
	s_or_b32 s0, s8, s0
	v_cvt_f64_f32_e32 v[3:4], s0
	s_mov_b32 s0, 0
	global_store_b128 v[0:1], v[3:6], off
.LBB134_186:
	s_and_not1_b32 vcc_lo, exec_lo, s0
	s_cbranch_vccnz .LBB134_188
; %bb.187:
	s_lshl_b32 s0, s7, 24
	v_mov_b32_e32 v4, 0
	s_and_b32 s8, s0, 0x7f000000
	s_and_b32 s0, s0, 0x80000000
	s_clz_i32_u32 s9, s8
	s_add_i32 s10, s8, 0x1000000
	s_min_u32 s9, s9, 32
	s_ashr_i32 s10, s10, 8
	v_sub_nc_u32_e64 v3, s9, 4 clamp
	s_and_b32 s10, s10, 0x7f800000
	s_delay_alu instid0(VALU_DEP_1) | instskip(NEXT) | instid1(VALU_DEP_1)
	v_readfirstlane_b32 s9, v3
	s_lshl_b32 s11, s8, s9
	s_lshl_b32 s9, s9, 23
	s_lshr_b32 s11, s11, 4
	s_delay_alu instid0(SALU_CYCLE_1) | instskip(NEXT) | instid1(SALU_CYCLE_1)
	s_sub_i32 s9, s11, s9
	s_add_i32 s9, s9, 0x3c000000
	s_delay_alu instid0(SALU_CYCLE_1) | instskip(SKIP_2) | instid1(SALU_CYCLE_1)
	s_or_b32 s9, s9, s10
	s_cmp_lg_u32 s8, 0
	s_cselect_b32 s8, s9, 0
	s_or_b32 s0, s8, s0
	s_delay_alu instid0(SALU_CYCLE_1)
	v_mov_b32_e32 v3, s0
	global_store_b64 v[0:1], v[3:4], off
.LBB134_188:
	s_mov_b32 s0, 0
.LBB134_189:
	s_delay_alu instid0(SALU_CYCLE_1)
	s_and_not1_b32 vcc_lo, exec_lo, s0
	s_cbranch_vccnz .LBB134_191
; %bb.190:
	s_lshl_b32 s0, s7, 24
	s_delay_alu instid0(SALU_CYCLE_1)
	s_and_b32 s8, s0, 0x7f000000
	s_and_b32 s0, s0, 0x80000000
	s_clz_i32_u32 s9, s8
	s_add_i32 s11, s8, 0x1000000
	s_min_u32 s9, s9, 32
	s_ashr_i32 s11, s11, 8
	v_sub_nc_u32_e64 v3, s9, 4 clamp
	s_delay_alu instid0(VALU_DEP_1) | instskip(NEXT) | instid1(VALU_DEP_1)
	v_readfirstlane_b32 s9, v3
	s_lshl_b32 s10, s8, s9
	s_lshl_b32 s9, s9, 23
	s_lshr_b32 s10, s10, 4
	s_delay_alu instid0(SALU_CYCLE_1) | instskip(SKIP_2) | instid1(SALU_CYCLE_1)
	s_sub_i32 s9, s10, s9
	s_and_b32 s10, s11, 0x7f800000
	s_add_i32 s9, s9, 0x3c000000
	s_or_b32 s9, s9, s10
	s_cmp_lg_u32 s8, 0
	s_cselect_b32 s8, s9, 0
	s_delay_alu instid0(SALU_CYCLE_1) | instskip(NEXT) | instid1(SALU_CYCLE_1)
	s_or_b32 s0, s8, s0
	v_cvt_f16_f32_e32 v3, s0
	s_delay_alu instid0(VALU_DEP_1)
	v_and_b32_e32 v3, 0xffff, v3
	global_store_b32 v[0:1], v3, off
.LBB134_191:
	s_mov_b32 s0, 0
.LBB134_192:
	s_delay_alu instid0(SALU_CYCLE_1)
	s_and_not1_b32 vcc_lo, exec_lo, s0
	s_cbranch_vccnz .LBB134_201
; %bb.193:
	v_cmp_gt_i16_e32 vcc_lo, 6, v10
	s_mov_b32 s0, -1
	s_cbranch_vccnz .LBB134_199
; %bb.194:
	v_cmp_lt_i16_e32 vcc_lo, 6, v10
	s_cbranch_vccz .LBB134_196
; %bb.195:
	s_lshl_b32 s0, s7, 24
	s_delay_alu instid0(SALU_CYCLE_1)
	s_and_b32 s8, s0, 0x7f000000
	s_and_b32 s0, s0, 0x80000000
	s_clz_i32_u32 s9, s8
	s_add_i32 s11, s8, 0x1000000
	s_min_u32 s9, s9, 32
	s_ashr_i32 s11, s11, 8
	v_sub_nc_u32_e64 v3, s9, 4 clamp
	s_delay_alu instid0(VALU_DEP_1) | instskip(NEXT) | instid1(VALU_DEP_1)
	v_readfirstlane_b32 s9, v3
	s_lshl_b32 s10, s8, s9
	s_lshl_b32 s9, s9, 23
	s_lshr_b32 s10, s10, 4
	s_delay_alu instid0(SALU_CYCLE_1) | instskip(SKIP_2) | instid1(SALU_CYCLE_1)
	s_sub_i32 s9, s10, s9
	s_and_b32 s10, s11, 0x7f800000
	s_add_i32 s9, s9, 0x3c000000
	s_or_b32 s9, s9, s10
	s_cmp_lg_u32 s8, 0
	s_cselect_b32 s8, s9, 0
	s_delay_alu instid0(SALU_CYCLE_1) | instskip(NEXT) | instid1(SALU_CYCLE_1)
	s_or_b32 s0, s8, s0
	v_cvt_f64_f32_e32 v[3:4], s0
	s_mov_b32 s0, 0
	global_store_b64 v[0:1], v[3:4], off
.LBB134_196:
	s_and_not1_b32 vcc_lo, exec_lo, s0
	s_cbranch_vccnz .LBB134_198
; %bb.197:
	s_lshl_b32 s0, s7, 24
	s_delay_alu instid0(SALU_CYCLE_1)
	s_and_b32 s8, s0, 0x7f000000
	s_and_b32 s0, s0, 0x80000000
	s_clz_i32_u32 s9, s8
	s_add_i32 s11, s8, 0x1000000
	s_min_u32 s9, s9, 32
	s_ashr_i32 s11, s11, 8
	v_sub_nc_u32_e64 v3, s9, 4 clamp
	s_delay_alu instid0(VALU_DEP_1) | instskip(NEXT) | instid1(VALU_DEP_1)
	v_readfirstlane_b32 s9, v3
	s_lshl_b32 s10, s8, s9
	s_lshl_b32 s9, s9, 23
	s_lshr_b32 s10, s10, 4
	s_delay_alu instid0(SALU_CYCLE_1) | instskip(SKIP_2) | instid1(SALU_CYCLE_1)
	s_sub_i32 s9, s10, s9
	s_and_b32 s10, s11, 0x7f800000
	s_add_i32 s9, s9, 0x3c000000
	s_or_b32 s9, s9, s10
	s_cmp_lg_u32 s8, 0
	s_cselect_b32 s8, s9, 0
	s_delay_alu instid0(SALU_CYCLE_1) | instskip(NEXT) | instid1(SALU_CYCLE_1)
	s_or_b32 s0, s8, s0
	v_mov_b32_e32 v3, s0
	global_store_b32 v[0:1], v3, off
.LBB134_198:
	s_mov_b32 s0, 0
.LBB134_199:
	s_delay_alu instid0(SALU_CYCLE_1)
	s_and_not1_b32 vcc_lo, exec_lo, s0
	s_cbranch_vccnz .LBB134_201
; %bb.200:
	s_lshl_b32 s0, s7, 24
	s_delay_alu instid0(SALU_CYCLE_1)
	s_and_b32 s8, s0, 0x7f000000
	s_and_b32 s0, s0, 0x80000000
	s_clz_i32_u32 s9, s8
	s_add_i32 s11, s8, 0x1000000
	s_min_u32 s9, s9, 32
	s_ashr_i32 s11, s11, 8
	v_sub_nc_u32_e64 v3, s9, 4 clamp
	s_delay_alu instid0(VALU_DEP_1) | instskip(NEXT) | instid1(VALU_DEP_1)
	v_readfirstlane_b32 s9, v3
	s_lshl_b32 s10, s8, s9
	s_lshl_b32 s9, s9, 23
	s_lshr_b32 s10, s10, 4
	s_delay_alu instid0(SALU_CYCLE_1) | instskip(SKIP_2) | instid1(SALU_CYCLE_1)
	s_sub_i32 s9, s10, s9
	s_and_b32 s10, s11, 0x7f800000
	s_add_i32 s9, s9, 0x3c000000
	s_or_b32 s9, s9, s10
	s_cmp_lg_u32 s8, 0
	s_cselect_b32 s8, s9, 0
	s_delay_alu instid0(SALU_CYCLE_1) | instskip(NEXT) | instid1(SALU_CYCLE_1)
	s_or_b32 s0, s8, s0
	v_cvt_f16_f32_e32 v3, s0
	global_store_b16 v[0:1], v3, off
.LBB134_201:
	s_mov_b32 s0, 0
.LBB134_202:
	s_delay_alu instid0(SALU_CYCLE_1)
	s_and_not1_b32 vcc_lo, exec_lo, s0
	s_cbranch_vccnz .LBB134_218
; %bb.203:
	v_cmp_gt_i16_e32 vcc_lo, 2, v10
	s_mov_b32 s0, -1
	s_cbranch_vccnz .LBB134_213
; %bb.204:
	v_cmp_gt_i16_e32 vcc_lo, 3, v10
	s_cbranch_vccnz .LBB134_210
; %bb.205:
	v_cmp_lt_i16_e32 vcc_lo, 3, v10
	s_cbranch_vccz .LBB134_207
; %bb.206:
	s_lshl_b32 s0, s7, 24
	s_delay_alu instid0(SALU_CYCLE_1)
	s_and_b32 s8, s0, 0x7f000000
	s_and_b32 s0, s0, 0x80000000
	s_clz_i32_u32 s9, s8
	s_add_i32 s10, s8, 0x1000000
	s_min_u32 s9, s9, 32
	s_ashr_i32 s10, s10, 8
	v_sub_nc_u32_e64 v3, s9, 4 clamp
	s_and_b32 s10, s10, 0x7f800000
	s_delay_alu instid0(VALU_DEP_1) | instskip(NEXT) | instid1(VALU_DEP_1)
	v_readfirstlane_b32 s9, v3
	s_lshl_b32 s11, s8, s9
	s_lshl_b32 s9, s9, 23
	s_lshr_b32 s11, s11, 4
	s_delay_alu instid0(SALU_CYCLE_1) | instskip(NEXT) | instid1(SALU_CYCLE_1)
	s_sub_i32 s9, s11, s9
	s_add_i32 s9, s9, 0x3c000000
	s_delay_alu instid0(SALU_CYCLE_1) | instskip(SKIP_2) | instid1(SALU_CYCLE_1)
	s_or_b32 s9, s9, s10
	s_cmp_lg_u32 s8, 0
	s_cselect_b32 s8, s9, 0
	s_or_b32 s0, s8, s0
	s_delay_alu instid0(SALU_CYCLE_1) | instskip(SKIP_1) | instid1(VALU_DEP_1)
	v_trunc_f32_e32 v3, s0
	s_mov_b32 s0, 0
	v_mul_f32_e64 v4, 0x2f800000, |v3|
	v_ashrrev_i32_e32 v6, 31, v3
	s_delay_alu instid0(VALU_DEP_2) | instskip(NEXT) | instid1(VALU_DEP_1)
	v_floor_f32_e32 v4, v4
	v_fma_f32 v5, 0xcf800000, v4, |v3|
	v_cvt_u32_f32_e32 v4, v4
	s_delay_alu instid0(VALU_DEP_2) | instskip(NEXT) | instid1(VALU_DEP_2)
	v_cvt_u32_f32_e32 v3, v5
	v_xor_b32_e32 v4, v4, v6
	s_delay_alu instid0(VALU_DEP_2) | instskip(NEXT) | instid1(VALU_DEP_1)
	v_xor_b32_e32 v3, v3, v6
	v_sub_co_u32 v3, vcc_lo, v3, v6
	s_delay_alu instid0(VALU_DEP_3)
	v_sub_co_ci_u32_e32 v4, vcc_lo, v4, v6, vcc_lo
	global_store_b64 v[0:1], v[3:4], off
.LBB134_207:
	s_and_not1_b32 vcc_lo, exec_lo, s0
	s_cbranch_vccnz .LBB134_209
; %bb.208:
	s_lshl_b32 s0, s7, 24
	s_delay_alu instid0(SALU_CYCLE_1)
	s_and_b32 s8, s0, 0x7f000000
	s_and_b32 s0, s0, 0x80000000
	s_clz_i32_u32 s9, s8
	s_add_i32 s11, s8, 0x1000000
	s_min_u32 s9, s9, 32
	s_ashr_i32 s11, s11, 8
	v_sub_nc_u32_e64 v3, s9, 4 clamp
	s_delay_alu instid0(VALU_DEP_1) | instskip(NEXT) | instid1(VALU_DEP_1)
	v_readfirstlane_b32 s9, v3
	s_lshl_b32 s10, s8, s9
	s_lshl_b32 s9, s9, 23
	s_lshr_b32 s10, s10, 4
	s_delay_alu instid0(SALU_CYCLE_1) | instskip(SKIP_2) | instid1(SALU_CYCLE_1)
	s_sub_i32 s9, s10, s9
	s_and_b32 s10, s11, 0x7f800000
	s_add_i32 s9, s9, 0x3c000000
	s_or_b32 s9, s9, s10
	s_cmp_lg_u32 s8, 0
	s_cselect_b32 s8, s9, 0
	s_delay_alu instid0(SALU_CYCLE_1) | instskip(NEXT) | instid1(SALU_CYCLE_1)
	s_or_b32 s0, s8, s0
	v_cvt_i32_f32_e32 v3, s0
	global_store_b32 v[0:1], v3, off
.LBB134_209:
	s_mov_b32 s0, 0
.LBB134_210:
	s_delay_alu instid0(SALU_CYCLE_1)
	s_and_not1_b32 vcc_lo, exec_lo, s0
	s_cbranch_vccnz .LBB134_212
; %bb.211:
	s_lshl_b32 s0, s7, 24
	s_delay_alu instid0(SALU_CYCLE_1)
	s_and_b32 s8, s0, 0x7f000000
	s_and_b32 s0, s0, 0x80000000
	s_clz_i32_u32 s9, s8
	s_add_i32 s11, s8, 0x1000000
	s_min_u32 s9, s9, 32
	s_ashr_i32 s11, s11, 8
	v_sub_nc_u32_e64 v3, s9, 4 clamp
	s_delay_alu instid0(VALU_DEP_1) | instskip(NEXT) | instid1(VALU_DEP_1)
	v_readfirstlane_b32 s9, v3
	s_lshl_b32 s10, s8, s9
	s_lshl_b32 s9, s9, 23
	s_lshr_b32 s10, s10, 4
	s_delay_alu instid0(SALU_CYCLE_1) | instskip(SKIP_2) | instid1(SALU_CYCLE_1)
	s_sub_i32 s9, s10, s9
	s_and_b32 s10, s11, 0x7f800000
	s_add_i32 s9, s9, 0x3c000000
	s_or_b32 s9, s9, s10
	s_cmp_lg_u32 s8, 0
	s_cselect_b32 s8, s9, 0
	s_delay_alu instid0(SALU_CYCLE_1) | instskip(NEXT) | instid1(SALU_CYCLE_1)
	s_or_b32 s0, s8, s0
	v_cvt_i32_f32_e32 v3, s0
	global_store_b16 v[0:1], v3, off
.LBB134_212:
	s_mov_b32 s0, 0
.LBB134_213:
	s_delay_alu instid0(SALU_CYCLE_1)
	s_and_not1_b32 vcc_lo, exec_lo, s0
	s_cbranch_vccnz .LBB134_218
; %bb.214:
	v_cmp_lt_i16_e32 vcc_lo, 0, v10
	s_mov_b32 s0, -1
	s_cbranch_vccz .LBB134_216
; %bb.215:
	s_lshl_b32 s0, s7, 24
	s_delay_alu instid0(SALU_CYCLE_1)
	s_and_b32 s8, s0, 0x7f000000
	s_and_b32 s0, s0, 0x80000000
	s_clz_i32_u32 s9, s8
	s_add_i32 s11, s8, 0x1000000
	s_min_u32 s9, s9, 32
	s_ashr_i32 s11, s11, 8
	v_sub_nc_u32_e64 v3, s9, 4 clamp
	s_delay_alu instid0(VALU_DEP_1) | instskip(NEXT) | instid1(VALU_DEP_1)
	v_readfirstlane_b32 s9, v3
	s_lshl_b32 s10, s8, s9
	s_lshl_b32 s9, s9, 23
	s_lshr_b32 s10, s10, 4
	s_delay_alu instid0(SALU_CYCLE_1) | instskip(SKIP_2) | instid1(SALU_CYCLE_1)
	s_sub_i32 s9, s10, s9
	s_and_b32 s10, s11, 0x7f800000
	s_add_i32 s9, s9, 0x3c000000
	s_or_b32 s9, s9, s10
	s_cmp_lg_u32 s8, 0
	s_cselect_b32 s8, s9, 0
	s_delay_alu instid0(SALU_CYCLE_1) | instskip(NEXT) | instid1(SALU_CYCLE_1)
	s_or_b32 s0, s8, s0
	v_cvt_i32_f32_e32 v3, s0
	s_mov_b32 s0, 0
	global_store_b8 v[0:1], v3, off
.LBB134_216:
	s_and_not1_b32 vcc_lo, exec_lo, s0
	s_cbranch_vccnz .LBB134_218
; %bb.217:
	s_lshl_b32 s0, s7, 24
	s_delay_alu instid0(SALU_CYCLE_1)
	s_and_b32 s8, s0, 0x7f000000
	s_and_b32 s0, s0, 0x80000000
	s_clz_i32_u32 s9, s8
	s_add_i32 s10, s8, 0x1000000
	s_min_u32 s9, s9, 32
	s_ashr_i32 s10, s10, 8
	v_sub_nc_u32_e64 v3, s9, 4 clamp
	s_and_b32 s10, s10, 0x7f800000
	s_delay_alu instid0(VALU_DEP_1) | instskip(NEXT) | instid1(VALU_DEP_1)
	v_readfirstlane_b32 s9, v3
	s_lshl_b32 s11, s8, s9
	s_lshl_b32 s9, s9, 23
	s_lshr_b32 s11, s11, 4
	s_delay_alu instid0(SALU_CYCLE_1) | instskip(NEXT) | instid1(SALU_CYCLE_1)
	s_sub_i32 s9, s11, s9
	s_add_i32 s9, s9, 0x3c000000
	s_delay_alu instid0(SALU_CYCLE_1) | instskip(SKIP_2) | instid1(SALU_CYCLE_1)
	s_or_b32 s9, s9, s10
	s_cmp_lg_u32 s8, 0
	s_cselect_b32 s8, s9, 0
	s_or_b32 s0, s8, s0
	s_delay_alu instid0(SALU_CYCLE_1) | instskip(NEXT) | instid1(VALU_DEP_1)
	v_trunc_f32_e32 v3, s0
	v_mul_f32_e64 v4, 0x2f800000, |v3|
	s_delay_alu instid0(VALU_DEP_1) | instskip(NEXT) | instid1(VALU_DEP_1)
	v_floor_f32_e32 v4, v4
	v_fma_f32 v4, 0xcf800000, v4, |v3|
	v_ashrrev_i32_e32 v3, 31, v3
	s_delay_alu instid0(VALU_DEP_2) | instskip(NEXT) | instid1(VALU_DEP_1)
	v_cvt_u32_f32_e32 v4, v4
	v_xor_b32_e32 v4, v4, v3
	s_delay_alu instid0(VALU_DEP_1)
	v_sub_nc_u32_e32 v3, v4, v3
	global_store_b8 v[0:1], v3, off
.LBB134_218:
	s_branch .LBB134_373
.LBB134_219:
	s_mov_b32 s27, 0
	s_mov_b32 s0, s25
	s_cbranch_execnz .LBB134_286
.LBB134_220:
	s_and_not1_b32 vcc_lo, exec_lo, s27
	s_cbranch_vccnz .LBB134_324
.LBB134_221:
	v_add_nc_u32_e32 v18, 0x80, v18
	s_mov_b32 s29, -1
	s_branch .LBB134_325
.LBB134_222:
	s_mov_b32 s29, -1
	s_mov_b32 s27, 0
	s_mov_b32 s0, s25
	s_branch .LBB134_263
.LBB134_223:
	s_mov_b32 s29, -1
	s_mov_b32 s27, 0
	s_mov_b32 s0, s25
	s_branch .LBB134_249
.LBB134_224:
	s_mov_b32 s29, -1
	s_mov_b32 s27, 0
	s_mov_b32 s0, s25
	s_branch .LBB134_245
.LBB134_225:
	s_mov_b32 s10, -1
                                        ; implicit-def: $sgpr11
.LBB134_226:
	v_mov_b32_e32 v3, s11
	s_and_not1_b32 vcc_lo, exec_lo, s10
                                        ; implicit-def: $sgpr10
	s_cbranch_vccnz .LBB134_228
; %bb.227:
	v_add_f32_e64 v3, 0x46000000, |s3|
	s_mov_b32 s10, 0
	s_delay_alu instid0(VALU_DEP_1) | instskip(NEXT) | instid1(VALU_DEP_1)
	v_and_b32_e32 v3, 0xff, v3
	v_cmp_ne_u32_e64 s9, 0, v3
.LBB134_228:
	v_mov_b32_e32 v4, s10
	s_delay_alu instid0(VALU_DEP_2)
	s_and_not1_b32 vcc_lo, exec_lo, s9
	s_cbranch_vccnz .LBB134_230
; %bb.229:
	s_lshr_b32 s3, s3, 24
	s_delay_alu instid0(SALU_CYCLE_1) | instskip(NEXT) | instid1(SALU_CYCLE_1)
	s_and_b32 s3, s3, 0x80
	v_or_b32_e32 v4, s3, v3
.LBB134_230:
	global_store_b8 v[0:1], v4, off
.LBB134_231:
	s_mov_b32 s9, -1
.LBB134_232:
	s_mov_b32 s3, 0
.LBB134_233:
	s_delay_alu instid0(SALU_CYCLE_1)
	s_and_b32 vcc_lo, exec_lo, s3
	s_cbranch_vccz .LBB134_368
; %bb.234:
	v_cmp_lt_i16_e32 vcc_lo, 22, v10
	s_mov_b32 s3, -1
	s_cbranch_vccz .LBB134_361
; %bb.235:
	v_cmp_gt_i16_e32 vcc_lo, 24, v10
	s_cbranch_vccnz .LBB134_348
; %bb.236:
	v_cmp_lt_i16_e32 vcc_lo, 24, v10
	s_cbranch_vccz .LBB134_345
; %bb.237:
	s_lshl_b32 s3, s7, 24
	v_mov_b32_e32 v4, 0x80
	s_and_b32 s8, s3, 0x7f000000
	s_and_b32 s3, s3, 0x80000000
	s_clz_i32_u32 s9, s8
	s_add_i32 s10, s8, 0x1000000
	s_min_u32 s9, s9, 32
	s_ashr_i32 s10, s10, 8
	v_sub_nc_u32_e64 v3, s9, 4 clamp
	s_and_b32 s10, s10, 0x7f800000
	s_delay_alu instid0(VALU_DEP_1) | instskip(NEXT) | instid1(VALU_DEP_1)
	v_readfirstlane_b32 s9, v3
	s_lshl_b32 s11, s8, s9
	s_lshl_b32 s9, s9, 23
	s_lshr_b32 s11, s11, 4
	s_delay_alu instid0(SALU_CYCLE_1) | instskip(NEXT) | instid1(SALU_CYCLE_1)
	s_sub_i32 s9, s11, s9
	s_add_i32 s9, s9, 0x3c000000
	s_delay_alu instid0(SALU_CYCLE_1) | instskip(SKIP_2) | instid1(SALU_CYCLE_1)
	s_or_b32 s9, s9, s10
	s_cmp_lg_u32 s8, 0
	s_cselect_b32 s9, s9, 0
	s_or_b32 s8, s9, s3
	s_mov_b32 s3, 0
	s_and_b32 s10, s8, 0x7fffffff
	s_delay_alu instid0(SALU_CYCLE_1)
	s_cmp_gt_u32 s10, 0x477fffff
	s_cbranch_scc1 .LBB134_344
; %bb.238:
	s_cmp_gt_u32 s10, 0x37ffffff
	s_cbranch_scc0 .LBB134_339
; %bb.239:
	s_bfe_u32 s9, s9, 0x10015
	s_mov_b32 s10, 0
	s_add_i32 s9, s8, s9
	s_delay_alu instid0(SALU_CYCLE_1) | instskip(NEXT) | instid1(SALU_CYCLE_1)
	s_add_i32 s9, s9, 0x88fffff
	s_lshr_b32 s11, s9, 21
	s_mov_b32 s9, -1
	s_branch .LBB134_340
.LBB134_240:
	s_mov_b32 s29, -1
	s_mov_b32 s27, 0
	s_mov_b32 s0, s25
.LBB134_241:
	s_and_b32 vcc_lo, exec_lo, s29
	s_cbranch_vccz .LBB134_244
; %bb.242:
	v_cmp_eq_u16_e32 vcc_lo, 44, v10
	s_mov_b32 s0, -1
	s_cbranch_vccz .LBB134_244
; %bb.243:
	v_cndmask_b32_e64 v2, v19, 0xff, s24
	s_mov_b32 s27, -1
	s_mov_b32 s0, 0
	global_store_b8 v[8:9], v2, off
.LBB134_244:
	s_mov_b32 s29, 0
.LBB134_245:
	s_delay_alu instid0(SALU_CYCLE_1)
	s_and_b32 vcc_lo, exec_lo, s29
	s_cbranch_vccz .LBB134_248
; %bb.246:
	v_cmp_eq_u16_e32 vcc_lo, 29, v10
	s_mov_b32 s0, -1
	s_cbranch_vccz .LBB134_248
; %bb.247:
	s_mov_b32 s27, -1
	s_mov_b32 s0, 0
	global_store_b64 v[8:9], v[6:7], off
.LBB134_248:
	s_mov_b32 s29, 0
.LBB134_249:
	s_delay_alu instid0(SALU_CYCLE_1)
	s_and_b32 vcc_lo, exec_lo, s29
	s_cbranch_vccz .LBB134_262
; %bb.250:
	v_cmp_gt_i16_e32 vcc_lo, 27, v10
	s_mov_b32 s27, -1
	s_cbranch_vccnz .LBB134_256
; %bb.251:
	v_cmp_lt_i16_e32 vcc_lo, 27, v10
	s_cbranch_vccz .LBB134_253
; %bb.252:
	s_mov_b32 s27, 0
	global_store_b32 v[8:9], v17, off
.LBB134_253:
	s_and_not1_b32 vcc_lo, exec_lo, s27
	s_cbranch_vccnz .LBB134_255
; %bb.254:
	global_store_b16 v[8:9], v17, off
.LBB134_255:
	s_mov_b32 s27, 0
.LBB134_256:
	s_delay_alu instid0(SALU_CYCLE_1)
	s_and_not1_b32 vcc_lo, exec_lo, s27
	s_cbranch_vccnz .LBB134_261
; %bb.257:
	v_mov_b32_e32 v2, 0x80
	s_and_not1_b32 vcc_lo, exec_lo, s20
	s_cbranch_vccnz .LBB134_260
; %bb.258:
	v_mov_b32_e32 v2, 0
	s_or_b32 s27, s19, s22
	s_delay_alu instid0(SALU_CYCLE_1)
	s_and_not1_b32 vcc_lo, exec_lo, s27
	s_cbranch_vccnz .LBB134_260
; %bb.259:
	v_cndmask_b32_e64 v2, v16, s21, s19
	s_delay_alu instid0(VALU_DEP_1)
	v_or_b32_e32 v2, s8, v2
.LBB134_260:
	global_store_b8 v[8:9], v2, off
.LBB134_261:
	s_mov_b32 s27, -1
.LBB134_262:
	s_mov_b32 s29, 0
.LBB134_263:
	s_delay_alu instid0(SALU_CYCLE_1)
	s_and_b32 vcc_lo, exec_lo, s29
	s_cbranch_vccz .LBB134_285
; %bb.264:
	v_cmp_lt_i16_e32 vcc_lo, 22, v10
	s_mov_b32 s29, -1
	s_cbranch_vccz .LBB134_277
; %bb.265:
	v_cmp_gt_i16_e32 vcc_lo, 24, v10
	s_mov_b32 s27, -1
	s_cbranch_vccnz .LBB134_274
; %bb.266:
	v_cmp_lt_i16_e32 vcc_lo, 24, v10
	s_cbranch_vccz .LBB134_271
; %bb.267:
	v_mov_b32_e32 v2, 0x80
	s_and_not1_b32 vcc_lo, exec_lo, s17
	s_cbranch_vccnz .LBB134_270
; %bb.268:
	v_mov_b32_e32 v2, 0
	s_or_b32 s27, s15, s18
	s_delay_alu instid0(SALU_CYCLE_1)
	s_and_not1_b32 vcc_lo, exec_lo, s27
	s_cbranch_vccnz .LBB134_270
; %bb.269:
	v_cndmask_b32_e64 v2, v15, s16, s15
	s_delay_alu instid0(VALU_DEP_1)
	v_or_b32_e32 v2, s8, v2
.LBB134_270:
	s_mov_b32 s27, 0
	global_store_b8 v[8:9], v2, off
.LBB134_271:
	s_and_b32 vcc_lo, exec_lo, s27
	s_cbranch_vccz .LBB134_273
; %bb.272:
	v_mov_b32_e32 v2, s7
	global_store_b8 v[8:9], v2, off
.LBB134_273:
	s_mov_b32 s27, 0
.LBB134_274:
	s_delay_alu instid0(SALU_CYCLE_1)
	s_and_not1_b32 vcc_lo, exec_lo, s27
	s_cbranch_vccnz .LBB134_276
; %bb.275:
	s_and_b32 s27, s12, exec_lo
	s_cselect_b32 s27, s9, s13
	s_and_b32 s29, s11, exec_lo
	s_cselect_b32 s27, s14, s27
	s_delay_alu instid0(SALU_CYCLE_1) | instskip(NEXT) | instid1(SALU_CYCLE_1)
	s_or_b32 s27, s27, s8
	v_mov_b32_e32 v2, s27
	global_store_b8 v[8:9], v2, off
.LBB134_276:
	s_mov_b32 s29, 0
	s_mov_b32 s27, -1
.LBB134_277:
	s_and_not1_b32 vcc_lo, exec_lo, s29
	s_cbranch_vccnz .LBB134_285
; %bb.278:
	v_cmp_lt_i16_e32 vcc_lo, 14, v10
	s_mov_b32 s29, -1
	s_cbranch_vccz .LBB134_282
; %bb.279:
	v_cmp_eq_u16_e32 vcc_lo, 15, v10
	s_mov_b32 s0, -1
	s_cbranch_vccz .LBB134_281
; %bb.280:
	v_mov_b32_e32 v2, s10
	s_mov_b32 s27, -1
	s_mov_b32 s0, 0
	global_store_b16 v[8:9], v2, off
.LBB134_281:
	s_mov_b32 s29, 0
.LBB134_282:
	s_delay_alu instid0(SALU_CYCLE_1)
	s_and_b32 vcc_lo, exec_lo, s29
	s_cbranch_vccz .LBB134_285
; %bb.283:
	v_cmp_eq_u16_e32 vcc_lo, 11, v10
	s_mov_b32 s0, -1
	s_cbranch_vccz .LBB134_285
; %bb.284:
	s_mov_b32 s27, -1
	s_mov_b32 s0, 0
	global_store_b8 v[8:9], v14, off
.LBB134_285:
	s_branch .LBB134_220
.LBB134_286:
	v_cmp_gt_i16_e32 vcc_lo, 5, v10
	s_mov_b32 s27, -1
	s_cbranch_vccnz .LBB134_307
; %bb.287:
	v_cmp_gt_i16_e32 vcc_lo, 8, v10
	s_cbranch_vccnz .LBB134_297
; %bb.288:
	v_cmp_gt_i16_e32 vcc_lo, 9, v10
	s_cbranch_vccnz .LBB134_294
; %bb.289:
	v_cmp_lt_i16_e32 vcc_lo, 9, v10
	s_cbranch_vccz .LBB134_291
; %bb.290:
	v_mov_b32_e32 v2, 0
	s_mov_b32 s27, 0
	s_delay_alu instid0(VALU_DEP_1)
	v_mov_b32_e32 v3, v2
	global_store_b128 v[8:9], v[0:3], off
.LBB134_291:
	s_and_not1_b32 vcc_lo, exec_lo, s27
	s_cbranch_vccnz .LBB134_293
; %bb.292:
	v_dual_mov_b32 v2, s1 :: v_dual_mov_b32 v3, 0
	global_store_b64 v[8:9], v[2:3], off
.LBB134_293:
	s_mov_b32 s27, 0
.LBB134_294:
	s_delay_alu instid0(SALU_CYCLE_1)
	s_and_not1_b32 vcc_lo, exec_lo, s27
	s_cbranch_vccnz .LBB134_296
; %bb.295:
	global_store_b32 v[8:9], v13, off
.LBB134_296:
	s_mov_b32 s27, 0
.LBB134_297:
	s_delay_alu instid0(SALU_CYCLE_1)
	s_and_not1_b32 vcc_lo, exec_lo, s27
	s_cbranch_vccnz .LBB134_306
; %bb.298:
	v_cmp_gt_i16_e32 vcc_lo, 6, v10
	s_mov_b32 s27, -1
	s_cbranch_vccnz .LBB134_304
; %bb.299:
	v_cmp_lt_i16_e32 vcc_lo, 6, v10
	s_cbranch_vccz .LBB134_301
; %bb.300:
	s_mov_b32 s27, 0
	global_store_b64 v[8:9], v[0:1], off
.LBB134_301:
	s_and_not1_b32 vcc_lo, exec_lo, s27
	s_cbranch_vccnz .LBB134_303
; %bb.302:
	v_mov_b32_e32 v2, s1
	global_store_b32 v[8:9], v2, off
.LBB134_303:
	s_mov_b32 s27, 0
.LBB134_304:
	s_delay_alu instid0(SALU_CYCLE_1)
	s_and_not1_b32 vcc_lo, exec_lo, s27
	s_cbranch_vccnz .LBB134_306
; %bb.305:
	global_store_b16 v[8:9], v12, off
.LBB134_306:
	s_mov_b32 s27, 0
.LBB134_307:
	s_delay_alu instid0(SALU_CYCLE_1)
	s_and_not1_b32 vcc_lo, exec_lo, s27
	s_cbranch_vccnz .LBB134_323
; %bb.308:
	v_cmp_gt_i16_e32 vcc_lo, 2, v10
	s_mov_b32 s27, -1
	s_cbranch_vccnz .LBB134_318
; %bb.309:
	v_cmp_gt_i16_e32 vcc_lo, 3, v10
	s_cbranch_vccnz .LBB134_315
; %bb.310:
	v_cmp_lt_i16_e32 vcc_lo, 3, v10
	s_cbranch_vccz .LBB134_312
; %bb.311:
	s_mov_b32 s27, 0
	global_store_b64 v[8:9], v[4:5], off
.LBB134_312:
	s_and_not1_b32 vcc_lo, exec_lo, s27
	s_cbranch_vccnz .LBB134_314
; %bb.313:
	global_store_b32 v[8:9], v11, off
.LBB134_314:
	s_mov_b32 s27, 0
.LBB134_315:
	s_delay_alu instid0(SALU_CYCLE_1)
	s_and_not1_b32 vcc_lo, exec_lo, s27
	s_cbranch_vccnz .LBB134_317
; %bb.316:
	global_store_b16 v[8:9], v11, off
.LBB134_317:
	s_mov_b32 s27, 0
.LBB134_318:
	s_delay_alu instid0(SALU_CYCLE_1)
	s_and_not1_b32 vcc_lo, exec_lo, s27
	s_cbranch_vccnz .LBB134_323
; %bb.319:
	v_cmp_lt_i16_e32 vcc_lo, 0, v10
	s_mov_b32 s27, -1
	s_cbranch_vccz .LBB134_321
; %bb.320:
	s_mov_b32 s27, 0
	global_store_b8 v[8:9], v11, off
.LBB134_321:
	s_and_not1_b32 vcc_lo, exec_lo, s27
	s_cbranch_vccnz .LBB134_323
; %bb.322:
	global_store_b8 v[8:9], v4, off
.LBB134_323:
	s_branch .LBB134_221
.LBB134_324:
	s_mov_b32 s29, 0
                                        ; implicit-def: $vgpr18
.LBB134_325:
	s_and_not1_b32 s27, s25, exec_lo
	s_and_b32 s0, s0, exec_lo
	s_or_not1_b32 s30, s29, exec_lo
	s_or_b32 s27, s27, s0
.LBB134_326:
	s_or_b32 exec_lo, exec_lo, s28
	s_mov_b32 s0, 0
	s_mov_b32 s29, 0
                                        ; implicit-def: $vgpr8_vgpr9
	s_and_saveexec_b32 s28, s30
	s_cbranch_execz .LBB134_852
; %bb.327:
	s_mov_b32 s33, -1
	s_mov_b32 s30, s27
	s_mov_b32 s29, exec_lo
	v_cmpx_gt_i32_e64 s23, v18
	s_cbranch_execz .LBB134_548
; %bb.328:
	v_mul_lo_u32 v2, v18, s6
	v_cmp_gt_i16_e32 vcc_lo, 11, v10
	s_delay_alu instid0(VALU_DEP_2) | instskip(SKIP_1) | instid1(VALU_DEP_1)
	v_ashrrev_i32_e32 v3, 31, v2
	v_add_co_u32 v8, s0, s4, v2
	v_add_co_ci_u32_e64 v9, s0, s5, v3, s0
	s_cbranch_vccnz .LBB134_335
; %bb.329:
	v_cmp_lt_i16_e32 vcc_lo, 25, v10
	s_cbranch_vccz .LBB134_336
; %bb.330:
	v_cmp_lt_i16_e32 vcc_lo, 28, v10
	s_cbranch_vccz .LBB134_337
	;; [unrolled: 3-line block ×4, first 2 shown]
; %bb.333:
	v_cmp_eq_u16_e32 vcc_lo, 46, v10
	s_mov_b32 s31, 0
	s_mov_b32 s0, -1
	s_mov_b32 s30, 0
	s_cbranch_vccz .LBB134_460
; %bb.334:
	v_mov_b32_e32 v2, s10
	s_mov_b32 s30, -1
	s_mov_b32 s0, 0
	global_store_b32 v[8:9], v2, off
	s_branch .LBB134_460
.LBB134_335:
	s_mov_b32 s31, -1
	s_mov_b32 s30, 0
	s_mov_b32 s0, s27
	s_branch .LBB134_505
.LBB134_336:
	s_mov_b32 s31, -1
	s_mov_b32 s30, 0
	s_mov_b32 s0, s27
	s_branch .LBB134_482
.LBB134_337:
	s_mov_b32 s31, -1
	s_mov_b32 s30, 0
	s_mov_b32 s0, s27
	s_branch .LBB134_468
.LBB134_338:
	s_mov_b32 s31, -1
	s_mov_b32 s30, 0
	s_mov_b32 s0, s27
	s_branch .LBB134_464
.LBB134_339:
	s_mov_b32 s10, -1
	s_mov_b32 s9, 0
                                        ; implicit-def: $sgpr11
.LBB134_340:
	v_mov_b32_e32 v3, s11
	s_and_not1_b32 vcc_lo, exec_lo, s10
                                        ; implicit-def: $sgpr10
	s_cbranch_vccnz .LBB134_342
; %bb.341:
	v_add_f32_e64 v3, 0x42800000, |s8|
	s_mov_b32 s10, 0
	s_delay_alu instid0(VALU_DEP_1) | instskip(NEXT) | instid1(VALU_DEP_1)
	v_and_b32_e32 v3, 0xff, v3
	v_cmp_ne_u32_e64 s9, 0, v3
.LBB134_342:
	v_mov_b32_e32 v4, s10
	s_delay_alu instid0(VALU_DEP_2)
	s_and_not1_b32 vcc_lo, exec_lo, s9
	s_cbranch_vccnz .LBB134_344
; %bb.343:
	s_lshr_b32 s8, s8, 24
	s_delay_alu instid0(SALU_CYCLE_1) | instskip(NEXT) | instid1(SALU_CYCLE_1)
	s_and_b32 s8, s8, 0x80
	v_or_b32_e32 v4, s8, v3
.LBB134_344:
	global_store_b8 v[0:1], v4, off
.LBB134_345:
	s_and_b32 vcc_lo, exec_lo, s3
	s_cbranch_vccz .LBB134_347
; %bb.346:
	v_mov_b32_e32 v3, s7
	global_store_b8 v[0:1], v3, off
.LBB134_347:
	s_mov_b32 s3, 0
.LBB134_348:
	s_delay_alu instid0(SALU_CYCLE_1)
	s_and_not1_b32 vcc_lo, exec_lo, s3
	s_cbranch_vccnz .LBB134_360
; %bb.349:
	s_lshl_b32 s3, s7, 24
	s_delay_alu instid0(SALU_CYCLE_1)
	s_and_b32 s8, s3, 0x7f000000
	s_and_b32 s3, s3, 0x80000000
	s_clz_i32_u32 s9, s8
	s_add_i32 s11, s8, 0x1000000
	s_min_u32 s9, s9, 32
	s_ashr_i32 s11, s11, 8
	v_sub_nc_u32_e64 v3, s9, 4 clamp
	s_delay_alu instid0(VALU_DEP_1) | instskip(NEXT) | instid1(VALU_DEP_1)
	v_readfirstlane_b32 s9, v3
	s_lshl_b32 s10, s8, s9
	s_lshl_b32 s9, s9, 23
	s_lshr_b32 s10, s10, 4
	s_delay_alu instid0(SALU_CYCLE_1) | instskip(SKIP_2) | instid1(SALU_CYCLE_1)
	s_sub_i32 s9, s10, s9
	s_and_b32 s10, s11, 0x7f800000
	s_add_i32 s9, s9, 0x3c000000
	s_or_b32 s9, s9, s10
	s_cmp_lg_u32 s8, 0
	s_cselect_b32 s9, s9, 0
	s_delay_alu instid0(SALU_CYCLE_1) | instskip(NEXT) | instid1(SALU_CYCLE_1)
	s_or_b32 s3, s9, s3
	s_and_b32 s8, s3, 0x7fffffff
	s_delay_alu instid0(SALU_CYCLE_1)
	s_cmp_lt_u32 s8, 0x47800000
	s_cbranch_scc0 .LBB134_352
; %bb.350:
	s_cmp_gt_u32 s8, 0x387fffff
	s_cbranch_scc0 .LBB134_353
; %bb.351:
	s_bfe_u32 s9, s9, 0x10015
	s_delay_alu instid0(SALU_CYCLE_1) | instskip(NEXT) | instid1(SALU_CYCLE_1)
	s_add_i32 s9, s3, s9
	s_add_i32 s9, s9, 0x80fffff
	s_delay_alu instid0(SALU_CYCLE_1)
	s_lshr_b32 s10, s9, 21
	s_mov_b32 s9, 0
	s_branch .LBB134_354
.LBB134_352:
	s_mov_b32 s9, -1
                                        ; implicit-def: $vgpr3
	s_branch .LBB134_357
.LBB134_353:
	s_mov_b32 s9, -1
                                        ; implicit-def: $sgpr10
.LBB134_354:
	v_mov_b32_e32 v3, s10
	s_and_not1_b32 vcc_lo, exec_lo, s9
	s_cbranch_vccnz .LBB134_356
; %bb.355:
	v_add_f32_e64 v3, 0x43000000, |s3|
.LBB134_356:
	s_mov_b32 s9, 0
.LBB134_357:
	s_delay_alu instid0(SALU_CYCLE_1)
	s_and_not1_b32 vcc_lo, exec_lo, s9
	s_cbranch_vccnz .LBB134_359
; %bb.358:
	s_cmp_gt_u32 s8, 0x7f800000
	s_movk_i32 s8, 0x7f
	s_delay_alu instid0(SALU_CYCLE_1) | instskip(NEXT) | instid1(SALU_CYCLE_1)
	s_cselect_b32 s8, s8, 0x7c
	v_mov_b32_e32 v3, s8
.LBB134_359:
	s_lshr_b32 s3, s3, 24
	s_delay_alu instid0(SALU_CYCLE_1)
	s_and_b32 s3, s3, 0x80
	s_delay_alu instid0(VALU_DEP_1) | instid1(SALU_CYCLE_1)
	v_or_b32_e32 v3, s3, v3
	global_store_b8 v[0:1], v3, off
.LBB134_360:
	s_mov_b32 s3, 0
	s_mov_b32 s9, -1
.LBB134_361:
	s_and_not1_b32 vcc_lo, exec_lo, s3
	s_mov_b32 s8, 0
	s_cbranch_vccnz .LBB134_368
; %bb.362:
	v_cmp_lt_i16_e32 vcc_lo, 14, v10
	s_mov_b32 s3, -1
	s_cbranch_vccz .LBB134_366
; %bb.363:
	v_cmp_eq_u16_e32 vcc_lo, 15, v10
	s_mov_b32 s0, -1
	s_cbranch_vccz .LBB134_365
; %bb.364:
	s_lshl_b32 s0, s7, 24
	s_delay_alu instid0(SALU_CYCLE_1)
	s_and_b32 s3, s0, 0x7f000000
	s_and_b32 s0, s0, 0x80000000
	s_clz_i32_u32 s8, s3
	s_add_i32 s9, s3, 0x1000000
	s_min_u32 s8, s8, 32
	s_ashr_i32 s9, s9, 8
	v_sub_nc_u32_e64 v3, s8, 4 clamp
	s_and_b32 s9, s9, 0x7f800000
	s_delay_alu instid0(VALU_DEP_1) | instskip(NEXT) | instid1(VALU_DEP_1)
	v_readfirstlane_b32 s8, v3
	s_lshl_b32 s10, s3, s8
	s_lshl_b32 s8, s8, 23
	s_lshr_b32 s10, s10, 4
	s_delay_alu instid0(SALU_CYCLE_1) | instskip(NEXT) | instid1(SALU_CYCLE_1)
	s_sub_i32 s8, s10, s8
	s_add_i32 s8, s8, 0x3c000000
	s_delay_alu instid0(SALU_CYCLE_1) | instskip(SKIP_3) | instid1(SALU_CYCLE_1)
	s_or_b32 s8, s8, s9
	s_cmp_lg_u32 s3, 0
	s_mov_b32 s9, -1
	s_cselect_b32 s3, s8, 0
	s_or_b32 s0, s3, s0
	s_bfe_u32 s3, s3, 0x10010
	s_delay_alu instid0(SALU_CYCLE_1) | instskip(SKIP_2) | instid1(SALU_CYCLE_1)
	s_add_i32 s3, s0, s3
	v_cmp_o_f32_e64 s0, s0, s0
	s_addk_i32 s3, 0x7fff
	s_lshr_b32 s3, s3, 16
	s_delay_alu instid0(VALU_DEP_1) | instskip(SKIP_1) | instid1(SALU_CYCLE_1)
	s_and_b32 s0, s0, exec_lo
	s_cselect_b32 s0, s3, 0x7fc0
	v_mov_b32_e32 v3, s0
	s_mov_b32 s0, 0
	global_store_b16 v[0:1], v3, off
.LBB134_365:
	s_mov_b32 s3, 0
.LBB134_366:
	s_delay_alu instid0(SALU_CYCLE_1)
	s_and_b32 vcc_lo, exec_lo, s3
	s_mov_b32 s8, 0
	s_cbranch_vccz .LBB134_368
; %bb.367:
	v_cmp_ne_u16_e64 s0, 11, v10
	s_mov_b32 s8, -1
.LBB134_368:
	s_delay_alu instid0(VALU_DEP_1)
	s_and_b32 vcc_lo, exec_lo, s0
	s_mov_b32 s3, s1
	s_cbranch_vccnz .LBB134_440
; %bb.369:
	s_and_not1_b32 vcc_lo, exec_lo, s8
	s_cbranch_vccnz .LBB134_371
.LBB134_370:
	s_lshl_b32 s0, s7, 24
	s_delay_alu instid0(SALU_CYCLE_1) | instskip(NEXT) | instid1(SALU_CYCLE_1)
	s_and_b32 s0, s0, 0x7f000000
	s_clz_i32_u32 s8, s0
	s_add_i32 s9, s0, 0x1000000
	s_min_u32 s8, s8, 32
	s_ashr_i32 s9, s9, 8
	v_sub_nc_u32_e64 v3, s8, 4 clamp
	s_and_b32 s9, s9, 0x7f800000
	s_delay_alu instid0(VALU_DEP_1) | instskip(NEXT) | instid1(VALU_DEP_1)
	v_readfirstlane_b32 s8, v3
	s_lshl_b32 s10, s0, s8
	s_lshl_b32 s8, s8, 23
	s_lshr_b32 s10, s10, 4
	s_delay_alu instid0(SALU_CYCLE_1) | instskip(NEXT) | instid1(SALU_CYCLE_1)
	s_sub_i32 s8, s10, s8
	s_add_i32 s8, s8, 0x3c000000
	s_cmp_lg_u32 s0, 0
	s_cselect_b32 s0, -1, 0
	s_and_b32 s8, s8, 0x7ff00000
	s_delay_alu instid0(SALU_CYCLE_1) | instskip(SKIP_3) | instid1(SALU_CYCLE_1)
	s_or_b32 s8, s8, s9
	s_mov_b32 s9, -1
	s_cmp_lg_u32 s8, 0
	s_cselect_b32 s8, -1, 0
	s_and_b32 s0, s0, s8
	s_delay_alu instid0(SALU_CYCLE_1)
	v_cndmask_b32_e64 v3, 0, 1, s0
	global_store_b8 v[0:1], v3, off
.LBB134_371:
.LBB134_372:
	s_and_not1_b32 vcc_lo, exec_lo, s9
	s_cbranch_vccnz .LBB134_659
.LBB134_373:
	s_lshl_b32 s6, s6, 7
	v_cmp_gt_i16_e32 vcc_lo, 11, v10
	v_add_nc_u32_e32 v2, s6, v2
	s_delay_alu instid0(VALU_DEP_1) | instskip(SKIP_1) | instid1(VALU_DEP_1)
	v_ashrrev_i32_e32 v1, 31, v2
	v_add_co_u32 v0, s0, s4, v2
	v_add_co_ci_u32_e64 v1, s0, s5, v1, s0
	s_cbranch_vccnz .LBB134_401
; %bb.374:
	v_cmp_lt_i16_e32 vcc_lo, 25, v10
	s_mov_b32 s10, -1
	s_mov_b32 s8, 0
	s_mov_b32 s9, 0
	;; [unrolled: 1-line block ×3, first 2 shown]
	s_cbranch_vccz .LBB134_452
; %bb.375:
	v_cmp_lt_i16_e32 vcc_lo, 28, v10
	s_cbranch_vccz .LBB134_390
; %bb.376:
	v_cmp_lt_i16_e32 vcc_lo, 43, v10
	;; [unrolled: 3-line block ×3, first 2 shown]
	s_cbranch_vccz .LBB134_380
; %bb.378:
	v_cmp_eq_u16_e32 vcc_lo, 46, v10
	s_mov_b32 s0, -1
	s_mov_b32 s10, 0
	s_cbranch_vccz .LBB134_380
; %bb.379:
	s_lshl_b32 s0, s7, 24
	s_delay_alu instid0(SALU_CYCLE_1)
	s_and_b32 s9, s0, 0x7f000000
	s_and_b32 s0, s0, 0x80000000
	s_clz_i32_u32 s11, s9
	s_add_i32 s12, s9, 0x1000000
	s_min_u32 s11, s11, 32
	s_ashr_i32 s12, s12, 8
	v_sub_nc_u32_e64 v3, s11, 4 clamp
	s_and_b32 s12, s12, 0x7f800000
	s_delay_alu instid0(VALU_DEP_1) | instskip(NEXT) | instid1(VALU_DEP_1)
	v_readfirstlane_b32 s11, v3
	s_lshl_b32 s13, s9, s11
	s_lshl_b32 s11, s11, 23
	s_lshr_b32 s13, s13, 4
	s_delay_alu instid0(SALU_CYCLE_1) | instskip(NEXT) | instid1(SALU_CYCLE_1)
	s_sub_i32 s11, s13, s11
	s_add_i32 s11, s11, 0x3c000000
	s_delay_alu instid0(SALU_CYCLE_1) | instskip(SKIP_2) | instid1(SALU_CYCLE_1)
	s_or_b32 s11, s11, s12
	s_cmp_lg_u32 s9, 0
	s_cselect_b32 s9, s11, 0
	s_or_b32 s0, s9, s0
	s_bfe_u32 s9, s9, 0x10010
	s_delay_alu instid0(SALU_CYCLE_1) | instskip(SKIP_2) | instid1(SALU_CYCLE_1)
	s_add_i32 s9, s0, s9
	v_cmp_o_f32_e64 s0, s0, s0
	s_addk_i32 s9, 0x7fff
	s_lshr_b32 s9, s9, 16
	s_delay_alu instid0(VALU_DEP_1)
	s_and_b32 s0, s0, exec_lo
	s_cselect_b32 s0, s9, 0x7fc0
	s_mov_b32 s9, -1
	v_mov_b32_e32 v3, s0
	s_mov_b32 s0, 0
	global_store_b32 v[0:1], v3, off
.LBB134_380:
	s_and_b32 vcc_lo, exec_lo, s10
	s_cbranch_vccz .LBB134_385
; %bb.381:
	v_cmp_eq_u16_e32 vcc_lo, 44, v10
	s_mov_b32 s0, -1
	s_cbranch_vccz .LBB134_385
; %bb.382:
	s_lshl_b32 s0, s7, 24
	s_delay_alu instid0(SALU_CYCLE_1) | instskip(NEXT) | instid1(SALU_CYCLE_1)
	s_and_b32 s0, s0, 0x7f000000
	s_clz_i32_u32 s9, s0
	s_add_i32 s10, s0, 0x1000000
	s_min_u32 s9, s9, 32
	s_ashr_i32 s10, s10, 8
	v_sub_nc_u32_e64 v3, s9, 4 clamp
	s_and_b32 s10, s10, 0x7f800000
	s_delay_alu instid0(VALU_DEP_1) | instskip(SKIP_1) | instid1(VALU_DEP_2)
	v_readfirstlane_b32 s9, v3
	v_mov_b32_e32 v3, 0xff
	s_lshl_b32 s11, s0, s9
	s_lshl_b32 s9, s9, 23
	s_lshr_b32 s11, s11, 4
	s_delay_alu instid0(SALU_CYCLE_1) | instskip(NEXT) | instid1(SALU_CYCLE_1)
	s_sub_i32 s9, s11, s9
	s_add_i32 s9, s9, 0x3c000000
	s_delay_alu instid0(SALU_CYCLE_1) | instskip(SKIP_3) | instid1(SALU_CYCLE_1)
	s_or_b32 s9, s9, s10
	s_cmp_lg_u32 s0, 0
	s_mov_b32 s0, 0
	s_cselect_b32 s10, s9, 0
	s_lshr_b32 s9, s10, 23
	s_delay_alu instid0(SALU_CYCLE_1)
	s_cmpk_eq_i32 s9, 0xff
	s_cbranch_scc1 .LBB134_384
; %bb.383:
	s_bitcmp1_b32 s10, 22
	s_cselect_b32 s11, -1, 0
	s_and_b32 s10, s10, 0x3fffff
	s_delay_alu instid0(SALU_CYCLE_1) | instskip(NEXT) | instid1(SALU_CYCLE_1)
	s_or_b32 s10, s9, s10
	s_cmp_lg_u32 s10, 0
	s_cselect_b32 s10, -1, 0
	s_delay_alu instid0(SALU_CYCLE_1) | instskip(NEXT) | instid1(SALU_CYCLE_1)
	s_and_b32 s10, s11, s10
	v_cndmask_b32_e64 v3, 0, 1, s10
	s_delay_alu instid0(VALU_DEP_1)
	v_add_nc_u32_e32 v3, s9, v3
.LBB134_384:
	s_mov_b32 s9, -1
	global_store_b8 v[0:1], v3, off
.LBB134_385:
	s_mov_b32 s10, 0
.LBB134_386:
	s_delay_alu instid0(SALU_CYCLE_1)
	s_and_b32 vcc_lo, exec_lo, s10
	s_cbranch_vccz .LBB134_389
; %bb.387:
	v_cmp_eq_u16_e32 vcc_lo, 29, v10
	s_mov_b32 s0, -1
	s_cbranch_vccz .LBB134_389
; %bb.388:
	s_lshl_b32 s0, s7, 24
	s_delay_alu instid0(SALU_CYCLE_1)
	s_and_b32 s9, s0, 0x7f000000
	s_and_b32 s0, s0, 0x80000000
	s_clz_i32_u32 s10, s9
	s_add_i32 s11, s9, 0x1000000
	s_min_u32 s10, s10, 32
	s_ashr_i32 s11, s11, 8
	v_sub_nc_u32_e64 v3, s10, 4 clamp
	s_and_b32 s11, s11, 0x7f800000
	s_delay_alu instid0(VALU_DEP_1) | instskip(NEXT) | instid1(VALU_DEP_1)
	v_readfirstlane_b32 s10, v3
	s_lshl_b32 s12, s9, s10
	s_lshl_b32 s10, s10, 23
	s_lshr_b32 s12, s12, 4
	s_delay_alu instid0(SALU_CYCLE_1) | instskip(NEXT) | instid1(SALU_CYCLE_1)
	s_sub_i32 s10, s12, s10
	s_add_i32 s10, s10, 0x3c000000
	s_delay_alu instid0(SALU_CYCLE_1) | instskip(SKIP_2) | instid1(SALU_CYCLE_1)
	s_or_b32 s10, s10, s11
	s_cmp_lg_u32 s9, 0
	s_cselect_b32 s9, s10, 0
	s_or_b32 s0, s9, s0
	s_mov_b32 s9, -1
	v_trunc_f32_e32 v3, s0
	s_mov_b32 s0, 0
	s_delay_alu instid0(VALU_DEP_1) | instskip(NEXT) | instid1(VALU_DEP_1)
	v_mul_f32_e32 v4, 0x2f800000, v3
	v_floor_f32_e32 v4, v4
	s_delay_alu instid0(VALU_DEP_1) | instskip(SKIP_1) | instid1(VALU_DEP_2)
	v_fmamk_f32 v3, v4, 0xcf800000, v3
	v_cvt_u32_f32_e32 v4, v4
	v_cvt_u32_f32_e32 v3, v3
	global_store_b64 v[0:1], v[3:4], off
.LBB134_389:
	s_mov_b32 s10, 0
.LBB134_390:
	s_delay_alu instid0(SALU_CYCLE_1)
	s_and_b32 vcc_lo, exec_lo, s10
	s_cbranch_vccz .LBB134_451
; %bb.391:
	v_cmp_gt_i16_e32 vcc_lo, 27, v10
	s_mov_b32 s9, -1
	s_cbranch_vccnz .LBB134_397
; %bb.392:
	v_cmp_lt_i16_e32 vcc_lo, 27, v10
	s_cbranch_vccz .LBB134_394
; %bb.393:
	s_lshl_b32 s9, s7, 24
	s_delay_alu instid0(SALU_CYCLE_1)
	s_and_b32 s10, s9, 0x7f000000
	s_and_b32 s9, s9, 0x80000000
	s_clz_i32_u32 s11, s10
	s_add_i32 s13, s10, 0x1000000
	s_min_u32 s11, s11, 32
	s_ashr_i32 s13, s13, 8
	v_sub_nc_u32_e64 v3, s11, 4 clamp
	s_delay_alu instid0(VALU_DEP_1) | instskip(NEXT) | instid1(VALU_DEP_1)
	v_readfirstlane_b32 s11, v3
	s_lshl_b32 s12, s10, s11
	s_lshl_b32 s11, s11, 23
	s_lshr_b32 s12, s12, 4
	s_delay_alu instid0(SALU_CYCLE_1) | instskip(SKIP_2) | instid1(SALU_CYCLE_1)
	s_sub_i32 s11, s12, s11
	s_and_b32 s12, s13, 0x7f800000
	s_add_i32 s11, s11, 0x3c000000
	s_or_b32 s11, s11, s12
	s_cmp_lg_u32 s10, 0
	s_cselect_b32 s10, s11, 0
	s_delay_alu instid0(SALU_CYCLE_1) | instskip(NEXT) | instid1(SALU_CYCLE_1)
	s_or_b32 s9, s10, s9
	v_cvt_u32_f32_e32 v3, s9
	s_mov_b32 s9, 0
	global_store_b32 v[0:1], v3, off
.LBB134_394:
	s_and_not1_b32 vcc_lo, exec_lo, s9
	s_cbranch_vccnz .LBB134_396
; %bb.395:
	s_lshl_b32 s9, s7, 24
	s_delay_alu instid0(SALU_CYCLE_1)
	s_and_b32 s10, s9, 0x7f000000
	s_and_b32 s9, s9, 0x80000000
	s_clz_i32_u32 s11, s10
	s_add_i32 s13, s10, 0x1000000
	s_min_u32 s11, s11, 32
	s_ashr_i32 s13, s13, 8
	v_sub_nc_u32_e64 v3, s11, 4 clamp
	s_delay_alu instid0(VALU_DEP_1) | instskip(NEXT) | instid1(VALU_DEP_1)
	v_readfirstlane_b32 s11, v3
	s_lshl_b32 s12, s10, s11
	s_lshl_b32 s11, s11, 23
	s_lshr_b32 s12, s12, 4
	s_delay_alu instid0(SALU_CYCLE_1) | instskip(SKIP_2) | instid1(SALU_CYCLE_1)
	s_sub_i32 s11, s12, s11
	s_and_b32 s12, s13, 0x7f800000
	s_add_i32 s11, s11, 0x3c000000
	s_or_b32 s11, s11, s12
	s_cmp_lg_u32 s10, 0
	s_cselect_b32 s10, s11, 0
	s_delay_alu instid0(SALU_CYCLE_1) | instskip(NEXT) | instid1(SALU_CYCLE_1)
	s_or_b32 s9, s10, s9
	v_cvt_u32_f32_e32 v3, s9
	global_store_b16 v[0:1], v3, off
.LBB134_396:
	s_mov_b32 s9, 0
.LBB134_397:
	s_delay_alu instid0(SALU_CYCLE_1)
	s_and_not1_b32 vcc_lo, exec_lo, s9
	s_cbranch_vccnz .LBB134_450
; %bb.398:
	s_lshl_b32 s9, s7, 24
	v_mov_b32_e32 v4, 0x80
	s_and_b32 s10, s9, 0x7f000000
	s_and_b32 s9, s9, 0x80000000
	s_clz_i32_u32 s11, s10
	s_add_i32 s12, s10, 0x1000000
	s_min_u32 s11, s11, 32
	s_ashr_i32 s12, s12, 8
	v_sub_nc_u32_e64 v3, s11, 4 clamp
	s_and_b32 s12, s12, 0x7f800000
	s_delay_alu instid0(VALU_DEP_1) | instskip(NEXT) | instid1(VALU_DEP_1)
	v_readfirstlane_b32 s11, v3
	s_lshl_b32 s13, s10, s11
	s_lshl_b32 s11, s11, 23
	s_lshr_b32 s13, s13, 4
	s_delay_alu instid0(SALU_CYCLE_1) | instskip(NEXT) | instid1(SALU_CYCLE_1)
	s_sub_i32 s11, s13, s11
	s_add_i32 s11, s11, 0x3c000000
	s_delay_alu instid0(SALU_CYCLE_1) | instskip(SKIP_3) | instid1(SALU_CYCLE_1)
	s_or_b32 s11, s11, s12
	s_cmp_lg_u32 s10, 0
	s_mov_b32 s10, 0
	s_cselect_b32 s11, s11, 0
	s_or_b32 s9, s11, s9
	s_delay_alu instid0(SALU_CYCLE_1) | instskip(NEXT) | instid1(SALU_CYCLE_1)
	s_and_b32 s12, s9, 0x7fffffff
	s_cmp_gt_u32 s12, 0x437fffff
	s_cbranch_scc1 .LBB134_449
; %bb.399:
	s_cmp_gt_u32 s12, 0x3bffffff
	s_cbranch_scc0 .LBB134_444
; %bb.400:
	s_bfe_u32 s10, s11, 0x10014
	s_mov_b32 s11, 0
	s_add_i32 s10, s9, s10
	s_delay_alu instid0(SALU_CYCLE_1) | instskip(NEXT) | instid1(SALU_CYCLE_1)
	s_add_i32 s10, s10, 0x487ffff
	s_lshr_b32 s12, s10, 20
	s_mov_b32 s10, -1
	s_branch .LBB134_445
.LBB134_401:
	s_mov_b32 s9, 0
	s_cbranch_execz .LBB134_591
; %bb.402:
	v_cmp_gt_i16_e32 vcc_lo, 5, v10
	s_mov_b32 s0, -1
	s_cbranch_vccnz .LBB134_423
; %bb.403:
	v_cmp_gt_i16_e32 vcc_lo, 8, v10
	s_cbranch_vccnz .LBB134_413
; %bb.404:
	v_cmp_gt_i16_e32 vcc_lo, 9, v10
	s_cbranch_vccnz .LBB134_410
; %bb.405:
	v_cmp_lt_i16_e32 vcc_lo, 9, v10
	s_cbranch_vccz .LBB134_407
; %bb.406:
	s_lshl_b32 s0, s7, 24
	v_mov_b32_e32 v5, 0
	s_and_b32 s8, s0, 0x7f000000
	s_and_b32 s0, s0, 0x80000000
	s_clz_i32_u32 s9, s8
	s_add_i32 s11, s8, 0x1000000
	s_min_u32 s9, s9, 32
	s_ashr_i32 s11, s11, 8
	v_sub_nc_u32_e64 v3, s9, 4 clamp
	v_mov_b32_e32 v6, v5
	s_delay_alu instid0(VALU_DEP_2) | instskip(NEXT) | instid1(VALU_DEP_1)
	v_readfirstlane_b32 s9, v3
	s_lshl_b32 s10, s8, s9
	s_lshl_b32 s9, s9, 23
	s_lshr_b32 s10, s10, 4
	s_delay_alu instid0(SALU_CYCLE_1) | instskip(SKIP_2) | instid1(SALU_CYCLE_1)
	s_sub_i32 s9, s10, s9
	s_and_b32 s10, s11, 0x7f800000
	s_add_i32 s9, s9, 0x3c000000
	s_or_b32 s9, s9, s10
	s_cmp_lg_u32 s8, 0
	s_cselect_b32 s8, s9, 0
	s_delay_alu instid0(SALU_CYCLE_1) | instskip(NEXT) | instid1(SALU_CYCLE_1)
	s_or_b32 s0, s8, s0
	v_cvt_f64_f32_e32 v[3:4], s0
	s_mov_b32 s0, 0
	global_store_b128 v[0:1], v[3:6], off
.LBB134_407:
	s_and_not1_b32 vcc_lo, exec_lo, s0
	s_cbranch_vccnz .LBB134_409
; %bb.408:
	s_lshl_b32 s0, s7, 24
	v_mov_b32_e32 v4, 0
	s_and_b32 s8, s0, 0x7f000000
	s_and_b32 s0, s0, 0x80000000
	s_clz_i32_u32 s9, s8
	s_add_i32 s10, s8, 0x1000000
	s_min_u32 s9, s9, 32
	s_ashr_i32 s10, s10, 8
	v_sub_nc_u32_e64 v3, s9, 4 clamp
	s_and_b32 s10, s10, 0x7f800000
	s_delay_alu instid0(VALU_DEP_1) | instskip(NEXT) | instid1(VALU_DEP_1)
	v_readfirstlane_b32 s9, v3
	s_lshl_b32 s11, s8, s9
	s_lshl_b32 s9, s9, 23
	s_lshr_b32 s11, s11, 4
	s_delay_alu instid0(SALU_CYCLE_1) | instskip(NEXT) | instid1(SALU_CYCLE_1)
	s_sub_i32 s9, s11, s9
	s_add_i32 s9, s9, 0x3c000000
	s_delay_alu instid0(SALU_CYCLE_1) | instskip(SKIP_2) | instid1(SALU_CYCLE_1)
	s_or_b32 s9, s9, s10
	s_cmp_lg_u32 s8, 0
	s_cselect_b32 s8, s9, 0
	s_or_b32 s0, s8, s0
	s_delay_alu instid0(SALU_CYCLE_1)
	v_mov_b32_e32 v3, s0
	global_store_b64 v[0:1], v[3:4], off
.LBB134_409:
	s_mov_b32 s0, 0
.LBB134_410:
	s_delay_alu instid0(SALU_CYCLE_1)
	s_and_not1_b32 vcc_lo, exec_lo, s0
	s_cbranch_vccnz .LBB134_412
; %bb.411:
	s_lshl_b32 s0, s7, 24
	s_delay_alu instid0(SALU_CYCLE_1)
	s_and_b32 s8, s0, 0x7f000000
	s_and_b32 s0, s0, 0x80000000
	s_clz_i32_u32 s9, s8
	s_add_i32 s11, s8, 0x1000000
	s_min_u32 s9, s9, 32
	s_ashr_i32 s11, s11, 8
	v_sub_nc_u32_e64 v3, s9, 4 clamp
	s_delay_alu instid0(VALU_DEP_1) | instskip(NEXT) | instid1(VALU_DEP_1)
	v_readfirstlane_b32 s9, v3
	s_lshl_b32 s10, s8, s9
	s_lshl_b32 s9, s9, 23
	s_lshr_b32 s10, s10, 4
	s_delay_alu instid0(SALU_CYCLE_1) | instskip(SKIP_2) | instid1(SALU_CYCLE_1)
	s_sub_i32 s9, s10, s9
	s_and_b32 s10, s11, 0x7f800000
	s_add_i32 s9, s9, 0x3c000000
	s_or_b32 s9, s9, s10
	s_cmp_lg_u32 s8, 0
	s_cselect_b32 s8, s9, 0
	s_delay_alu instid0(SALU_CYCLE_1) | instskip(NEXT) | instid1(SALU_CYCLE_1)
	s_or_b32 s0, s8, s0
	v_cvt_f16_f32_e32 v3, s0
	s_delay_alu instid0(VALU_DEP_1)
	v_and_b32_e32 v3, 0xffff, v3
	global_store_b32 v[0:1], v3, off
.LBB134_412:
	s_mov_b32 s0, 0
.LBB134_413:
	s_delay_alu instid0(SALU_CYCLE_1)
	s_and_not1_b32 vcc_lo, exec_lo, s0
	s_cbranch_vccnz .LBB134_422
; %bb.414:
	v_cmp_gt_i16_e32 vcc_lo, 6, v10
	s_mov_b32 s0, -1
	s_cbranch_vccnz .LBB134_420
; %bb.415:
	v_cmp_lt_i16_e32 vcc_lo, 6, v10
	s_cbranch_vccz .LBB134_417
; %bb.416:
	s_lshl_b32 s0, s7, 24
	s_delay_alu instid0(SALU_CYCLE_1)
	s_and_b32 s8, s0, 0x7f000000
	s_and_b32 s0, s0, 0x80000000
	s_clz_i32_u32 s9, s8
	s_add_i32 s11, s8, 0x1000000
	s_min_u32 s9, s9, 32
	s_ashr_i32 s11, s11, 8
	v_sub_nc_u32_e64 v3, s9, 4 clamp
	s_delay_alu instid0(VALU_DEP_1) | instskip(NEXT) | instid1(VALU_DEP_1)
	v_readfirstlane_b32 s9, v3
	s_lshl_b32 s10, s8, s9
	s_lshl_b32 s9, s9, 23
	s_lshr_b32 s10, s10, 4
	s_delay_alu instid0(SALU_CYCLE_1) | instskip(SKIP_2) | instid1(SALU_CYCLE_1)
	s_sub_i32 s9, s10, s9
	s_and_b32 s10, s11, 0x7f800000
	s_add_i32 s9, s9, 0x3c000000
	s_or_b32 s9, s9, s10
	s_cmp_lg_u32 s8, 0
	s_cselect_b32 s8, s9, 0
	s_delay_alu instid0(SALU_CYCLE_1) | instskip(NEXT) | instid1(SALU_CYCLE_1)
	s_or_b32 s0, s8, s0
	v_cvt_f64_f32_e32 v[3:4], s0
	s_mov_b32 s0, 0
	global_store_b64 v[0:1], v[3:4], off
.LBB134_417:
	s_and_not1_b32 vcc_lo, exec_lo, s0
	s_cbranch_vccnz .LBB134_419
; %bb.418:
	s_lshl_b32 s0, s7, 24
	s_delay_alu instid0(SALU_CYCLE_1)
	s_and_b32 s8, s0, 0x7f000000
	s_and_b32 s0, s0, 0x80000000
	s_clz_i32_u32 s9, s8
	s_add_i32 s11, s8, 0x1000000
	s_min_u32 s9, s9, 32
	s_ashr_i32 s11, s11, 8
	v_sub_nc_u32_e64 v3, s9, 4 clamp
	s_delay_alu instid0(VALU_DEP_1) | instskip(NEXT) | instid1(VALU_DEP_1)
	v_readfirstlane_b32 s9, v3
	s_lshl_b32 s10, s8, s9
	s_lshl_b32 s9, s9, 23
	s_lshr_b32 s10, s10, 4
	s_delay_alu instid0(SALU_CYCLE_1) | instskip(SKIP_2) | instid1(SALU_CYCLE_1)
	s_sub_i32 s9, s10, s9
	s_and_b32 s10, s11, 0x7f800000
	s_add_i32 s9, s9, 0x3c000000
	s_or_b32 s9, s9, s10
	s_cmp_lg_u32 s8, 0
	s_cselect_b32 s8, s9, 0
	s_delay_alu instid0(SALU_CYCLE_1) | instskip(NEXT) | instid1(SALU_CYCLE_1)
	s_or_b32 s0, s8, s0
	v_mov_b32_e32 v3, s0
	global_store_b32 v[0:1], v3, off
.LBB134_419:
	s_mov_b32 s0, 0
.LBB134_420:
	s_delay_alu instid0(SALU_CYCLE_1)
	s_and_not1_b32 vcc_lo, exec_lo, s0
	s_cbranch_vccnz .LBB134_422
; %bb.421:
	s_lshl_b32 s0, s7, 24
	s_delay_alu instid0(SALU_CYCLE_1)
	s_and_b32 s8, s0, 0x7f000000
	s_and_b32 s0, s0, 0x80000000
	s_clz_i32_u32 s9, s8
	s_add_i32 s11, s8, 0x1000000
	s_min_u32 s9, s9, 32
	s_ashr_i32 s11, s11, 8
	v_sub_nc_u32_e64 v3, s9, 4 clamp
	s_delay_alu instid0(VALU_DEP_1) | instskip(NEXT) | instid1(VALU_DEP_1)
	v_readfirstlane_b32 s9, v3
	s_lshl_b32 s10, s8, s9
	s_lshl_b32 s9, s9, 23
	s_lshr_b32 s10, s10, 4
	s_delay_alu instid0(SALU_CYCLE_1) | instskip(SKIP_2) | instid1(SALU_CYCLE_1)
	s_sub_i32 s9, s10, s9
	s_and_b32 s10, s11, 0x7f800000
	s_add_i32 s9, s9, 0x3c000000
	s_or_b32 s9, s9, s10
	s_cmp_lg_u32 s8, 0
	s_cselect_b32 s8, s9, 0
	s_delay_alu instid0(SALU_CYCLE_1) | instskip(NEXT) | instid1(SALU_CYCLE_1)
	s_or_b32 s0, s8, s0
	v_cvt_f16_f32_e32 v3, s0
	global_store_b16 v[0:1], v3, off
.LBB134_422:
	s_mov_b32 s0, 0
.LBB134_423:
	s_delay_alu instid0(SALU_CYCLE_1)
	s_and_not1_b32 vcc_lo, exec_lo, s0
	s_cbranch_vccnz .LBB134_439
; %bb.424:
	v_cmp_gt_i16_e32 vcc_lo, 2, v10
	s_mov_b32 s0, -1
	s_cbranch_vccnz .LBB134_434
; %bb.425:
	v_cmp_gt_i16_e32 vcc_lo, 3, v10
	s_cbranch_vccnz .LBB134_431
; %bb.426:
	v_cmp_lt_i16_e32 vcc_lo, 3, v10
	s_cbranch_vccz .LBB134_428
; %bb.427:
	s_lshl_b32 s0, s7, 24
	s_delay_alu instid0(SALU_CYCLE_1)
	s_and_b32 s8, s0, 0x7f000000
	s_and_b32 s0, s0, 0x80000000
	s_clz_i32_u32 s9, s8
	s_add_i32 s10, s8, 0x1000000
	s_min_u32 s9, s9, 32
	s_ashr_i32 s10, s10, 8
	v_sub_nc_u32_e64 v3, s9, 4 clamp
	s_and_b32 s10, s10, 0x7f800000
	s_delay_alu instid0(VALU_DEP_1) | instskip(NEXT) | instid1(VALU_DEP_1)
	v_readfirstlane_b32 s9, v3
	s_lshl_b32 s11, s8, s9
	s_lshl_b32 s9, s9, 23
	s_lshr_b32 s11, s11, 4
	s_delay_alu instid0(SALU_CYCLE_1) | instskip(NEXT) | instid1(SALU_CYCLE_1)
	s_sub_i32 s9, s11, s9
	s_add_i32 s9, s9, 0x3c000000
	s_delay_alu instid0(SALU_CYCLE_1) | instskip(SKIP_2) | instid1(SALU_CYCLE_1)
	s_or_b32 s9, s9, s10
	s_cmp_lg_u32 s8, 0
	s_cselect_b32 s8, s9, 0
	s_or_b32 s0, s8, s0
	s_delay_alu instid0(SALU_CYCLE_1) | instskip(SKIP_1) | instid1(VALU_DEP_1)
	v_trunc_f32_e32 v3, s0
	s_mov_b32 s0, 0
	v_mul_f32_e64 v4, 0x2f800000, |v3|
	v_ashrrev_i32_e32 v6, 31, v3
	s_delay_alu instid0(VALU_DEP_2) | instskip(NEXT) | instid1(VALU_DEP_1)
	v_floor_f32_e32 v4, v4
	v_fma_f32 v5, 0xcf800000, v4, |v3|
	v_cvt_u32_f32_e32 v4, v4
	s_delay_alu instid0(VALU_DEP_2) | instskip(NEXT) | instid1(VALU_DEP_2)
	v_cvt_u32_f32_e32 v3, v5
	v_xor_b32_e32 v4, v4, v6
	s_delay_alu instid0(VALU_DEP_2) | instskip(NEXT) | instid1(VALU_DEP_1)
	v_xor_b32_e32 v3, v3, v6
	v_sub_co_u32 v3, vcc_lo, v3, v6
	s_delay_alu instid0(VALU_DEP_3)
	v_sub_co_ci_u32_e32 v4, vcc_lo, v4, v6, vcc_lo
	global_store_b64 v[0:1], v[3:4], off
.LBB134_428:
	s_and_not1_b32 vcc_lo, exec_lo, s0
	s_cbranch_vccnz .LBB134_430
; %bb.429:
	s_lshl_b32 s0, s7, 24
	s_delay_alu instid0(SALU_CYCLE_1)
	s_and_b32 s8, s0, 0x7f000000
	s_and_b32 s0, s0, 0x80000000
	s_clz_i32_u32 s9, s8
	s_add_i32 s11, s8, 0x1000000
	s_min_u32 s9, s9, 32
	s_ashr_i32 s11, s11, 8
	v_sub_nc_u32_e64 v3, s9, 4 clamp
	s_delay_alu instid0(VALU_DEP_1) | instskip(NEXT) | instid1(VALU_DEP_1)
	v_readfirstlane_b32 s9, v3
	s_lshl_b32 s10, s8, s9
	s_lshl_b32 s9, s9, 23
	s_lshr_b32 s10, s10, 4
	s_delay_alu instid0(SALU_CYCLE_1) | instskip(SKIP_2) | instid1(SALU_CYCLE_1)
	s_sub_i32 s9, s10, s9
	s_and_b32 s10, s11, 0x7f800000
	s_add_i32 s9, s9, 0x3c000000
	s_or_b32 s9, s9, s10
	s_cmp_lg_u32 s8, 0
	s_cselect_b32 s8, s9, 0
	s_delay_alu instid0(SALU_CYCLE_1) | instskip(NEXT) | instid1(SALU_CYCLE_1)
	s_or_b32 s0, s8, s0
	v_cvt_i32_f32_e32 v3, s0
	global_store_b32 v[0:1], v3, off
.LBB134_430:
	s_mov_b32 s0, 0
.LBB134_431:
	s_delay_alu instid0(SALU_CYCLE_1)
	s_and_not1_b32 vcc_lo, exec_lo, s0
	s_cbranch_vccnz .LBB134_433
; %bb.432:
	s_lshl_b32 s0, s7, 24
	s_delay_alu instid0(SALU_CYCLE_1)
	s_and_b32 s8, s0, 0x7f000000
	s_and_b32 s0, s0, 0x80000000
	s_clz_i32_u32 s9, s8
	s_add_i32 s11, s8, 0x1000000
	s_min_u32 s9, s9, 32
	s_ashr_i32 s11, s11, 8
	v_sub_nc_u32_e64 v3, s9, 4 clamp
	s_delay_alu instid0(VALU_DEP_1) | instskip(NEXT) | instid1(VALU_DEP_1)
	v_readfirstlane_b32 s9, v3
	s_lshl_b32 s10, s8, s9
	s_lshl_b32 s9, s9, 23
	s_lshr_b32 s10, s10, 4
	s_delay_alu instid0(SALU_CYCLE_1) | instskip(SKIP_2) | instid1(SALU_CYCLE_1)
	s_sub_i32 s9, s10, s9
	s_and_b32 s10, s11, 0x7f800000
	s_add_i32 s9, s9, 0x3c000000
	s_or_b32 s9, s9, s10
	s_cmp_lg_u32 s8, 0
	s_cselect_b32 s8, s9, 0
	s_delay_alu instid0(SALU_CYCLE_1) | instskip(NEXT) | instid1(SALU_CYCLE_1)
	s_or_b32 s0, s8, s0
	v_cvt_i32_f32_e32 v3, s0
	global_store_b16 v[0:1], v3, off
.LBB134_433:
	s_mov_b32 s0, 0
.LBB134_434:
	s_delay_alu instid0(SALU_CYCLE_1)
	s_and_not1_b32 vcc_lo, exec_lo, s0
	s_cbranch_vccnz .LBB134_439
; %bb.435:
	v_cmp_lt_i16_e32 vcc_lo, 0, v10
	s_mov_b32 s0, -1
	s_cbranch_vccz .LBB134_437
; %bb.436:
	s_lshl_b32 s0, s7, 24
	s_delay_alu instid0(SALU_CYCLE_1)
	s_and_b32 s8, s0, 0x7f000000
	s_and_b32 s0, s0, 0x80000000
	s_clz_i32_u32 s9, s8
	s_add_i32 s11, s8, 0x1000000
	s_min_u32 s9, s9, 32
	s_ashr_i32 s11, s11, 8
	v_sub_nc_u32_e64 v3, s9, 4 clamp
	s_delay_alu instid0(VALU_DEP_1) | instskip(NEXT) | instid1(VALU_DEP_1)
	v_readfirstlane_b32 s9, v3
	s_lshl_b32 s10, s8, s9
	s_lshl_b32 s9, s9, 23
	s_lshr_b32 s10, s10, 4
	s_delay_alu instid0(SALU_CYCLE_1) | instskip(SKIP_2) | instid1(SALU_CYCLE_1)
	s_sub_i32 s9, s10, s9
	s_and_b32 s10, s11, 0x7f800000
	s_add_i32 s9, s9, 0x3c000000
	s_or_b32 s9, s9, s10
	s_cmp_lg_u32 s8, 0
	s_cselect_b32 s8, s9, 0
	s_delay_alu instid0(SALU_CYCLE_1) | instskip(NEXT) | instid1(SALU_CYCLE_1)
	s_or_b32 s0, s8, s0
	v_cvt_i32_f32_e32 v3, s0
	s_mov_b32 s0, 0
	global_store_b8 v[0:1], v3, off
.LBB134_437:
	s_and_not1_b32 vcc_lo, exec_lo, s0
	s_cbranch_vccnz .LBB134_439
; %bb.438:
	s_lshl_b32 s0, s7, 24
	s_delay_alu instid0(SALU_CYCLE_1)
	s_and_b32 s8, s0, 0x7f000000
	s_and_b32 s0, s0, 0x80000000
	s_clz_i32_u32 s9, s8
	s_add_i32 s10, s8, 0x1000000
	s_min_u32 s9, s9, 32
	s_ashr_i32 s10, s10, 8
	v_sub_nc_u32_e64 v3, s9, 4 clamp
	s_and_b32 s10, s10, 0x7f800000
	s_delay_alu instid0(VALU_DEP_1) | instskip(NEXT) | instid1(VALU_DEP_1)
	v_readfirstlane_b32 s9, v3
	s_lshl_b32 s11, s8, s9
	s_lshl_b32 s9, s9, 23
	s_lshr_b32 s11, s11, 4
	s_delay_alu instid0(SALU_CYCLE_1) | instskip(NEXT) | instid1(SALU_CYCLE_1)
	s_sub_i32 s9, s11, s9
	s_add_i32 s9, s9, 0x3c000000
	s_delay_alu instid0(SALU_CYCLE_1) | instskip(SKIP_2) | instid1(SALU_CYCLE_1)
	s_or_b32 s9, s9, s10
	s_cmp_lg_u32 s8, 0
	s_cselect_b32 s8, s9, 0
	s_or_b32 s0, s8, s0
	s_delay_alu instid0(SALU_CYCLE_1) | instskip(NEXT) | instid1(VALU_DEP_1)
	v_trunc_f32_e32 v3, s0
	v_mul_f32_e64 v4, 0x2f800000, |v3|
	s_delay_alu instid0(VALU_DEP_1) | instskip(NEXT) | instid1(VALU_DEP_1)
	v_floor_f32_e32 v4, v4
	v_fma_f32 v4, 0xcf800000, v4, |v3|
	v_ashrrev_i32_e32 v3, 31, v3
	s_delay_alu instid0(VALU_DEP_2) | instskip(NEXT) | instid1(VALU_DEP_1)
	v_cvt_u32_f32_e32 v4, v4
	v_xor_b32_e32 v4, v4, v3
	s_delay_alu instid0(VALU_DEP_1)
	v_sub_nc_u32_e32 v3, v4, v3
	global_store_b8 v[0:1], v3, off
.LBB134_439:
	s_branch .LBB134_592
.LBB134_440:
	s_cbranch_execnz .LBB134_442
; %bb.441:
	s_or_b32 s3, s1, exec_lo
	s_cbranch_execz .LBB134_370
	s_branch .LBB134_371
.LBB134_442:
	s_trap 2
	s_sendmsg_rtn_b32 s0, sendmsg(MSG_RTN_GET_DOORBELL)
	s_mov_b32 ttmp2, m0
	s_waitcnt lgkmcnt(0)
	s_and_b32 s0, s0, 0x3ff
	s_delay_alu instid0(SALU_CYCLE_1) | instskip(NEXT) | instid1(SALU_CYCLE_1)
	s_bitset1_b32 s0, 10
	s_mov_b32 m0, s0
	s_sendmsg sendmsg(MSG_INTERRUPT)
	s_mov_b32 m0, ttmp2
.LBB134_443:                            ; =>This Inner Loop Header: Depth=1
	s_sethalt 5
	s_branch .LBB134_443
.LBB134_444:
	s_mov_b32 s11, -1
                                        ; implicit-def: $sgpr12
.LBB134_445:
	v_mov_b32_e32 v3, s12
	s_and_not1_b32 vcc_lo, exec_lo, s11
                                        ; implicit-def: $sgpr11
	s_cbranch_vccnz .LBB134_447
; %bb.446:
	v_add_f32_e64 v3, 0x46000000, |s9|
	s_mov_b32 s11, 0
	s_delay_alu instid0(VALU_DEP_1) | instskip(NEXT) | instid1(VALU_DEP_1)
	v_and_b32_e32 v3, 0xff, v3
	v_cmp_ne_u32_e64 s10, 0, v3
.LBB134_447:
	v_mov_b32_e32 v4, s11
	s_delay_alu instid0(VALU_DEP_2)
	s_and_not1_b32 vcc_lo, exec_lo, s10
	s_cbranch_vccnz .LBB134_449
; %bb.448:
	s_lshr_b32 s9, s9, 24
	s_delay_alu instid0(SALU_CYCLE_1) | instskip(NEXT) | instid1(SALU_CYCLE_1)
	s_and_b32 s9, s9, 0x80
	v_or_b32_e32 v4, s9, v3
.LBB134_449:
	global_store_b8 v[0:1], v4, off
.LBB134_450:
	s_mov_b32 s9, -1
.LBB134_451:
	s_mov_b32 s10, 0
.LBB134_452:
	s_delay_alu instid0(SALU_CYCLE_1)
	s_and_b32 vcc_lo, exec_lo, s10
	s_cbranch_vccz .LBB134_587
; %bb.453:
	v_cmp_lt_i16_e32 vcc_lo, 22, v10
	s_mov_b32 s8, -1
	s_cbranch_vccz .LBB134_580
; %bb.454:
	v_cmp_gt_i16_e32 vcc_lo, 24, v10
	s_cbranch_vccnz .LBB134_567
; %bb.455:
	v_cmp_lt_i16_e32 vcc_lo, 24, v10
	s_cbranch_vccz .LBB134_564
; %bb.456:
	s_lshl_b32 s8, s7, 24
	v_mov_b32_e32 v4, 0x80
	s_and_b32 s9, s8, 0x7f000000
	s_and_b32 s8, s8, 0x80000000
	s_clz_i32_u32 s10, s9
	s_add_i32 s11, s9, 0x1000000
	s_min_u32 s10, s10, 32
	s_ashr_i32 s11, s11, 8
	v_sub_nc_u32_e64 v3, s10, 4 clamp
	s_and_b32 s11, s11, 0x7f800000
	s_delay_alu instid0(VALU_DEP_1) | instskip(NEXT) | instid1(VALU_DEP_1)
	v_readfirstlane_b32 s10, v3
	s_lshl_b32 s12, s9, s10
	s_lshl_b32 s10, s10, 23
	s_lshr_b32 s12, s12, 4
	s_delay_alu instid0(SALU_CYCLE_1) | instskip(NEXT) | instid1(SALU_CYCLE_1)
	s_sub_i32 s10, s12, s10
	s_add_i32 s10, s10, 0x3c000000
	s_delay_alu instid0(SALU_CYCLE_1) | instskip(SKIP_2) | instid1(SALU_CYCLE_1)
	s_or_b32 s10, s10, s11
	s_cmp_lg_u32 s9, 0
	s_cselect_b32 s10, s10, 0
	s_or_b32 s9, s10, s8
	s_mov_b32 s8, 0
	s_and_b32 s11, s9, 0x7fffffff
	s_delay_alu instid0(SALU_CYCLE_1)
	s_cmp_gt_u32 s11, 0x477fffff
	s_cbranch_scc1 .LBB134_563
; %bb.457:
	s_cmp_gt_u32 s11, 0x37ffffff
	s_cbranch_scc0 .LBB134_558
; %bb.458:
	s_bfe_u32 s10, s10, 0x10015
	s_mov_b32 s11, 0
	s_add_i32 s10, s9, s10
	s_delay_alu instid0(SALU_CYCLE_1) | instskip(NEXT) | instid1(SALU_CYCLE_1)
	s_add_i32 s10, s10, 0x88fffff
	s_lshr_b32 s12, s10, 21
	s_mov_b32 s10, -1
	s_branch .LBB134_559
.LBB134_459:
	s_mov_b32 s31, -1
	s_mov_b32 s30, 0
	s_mov_b32 s0, s27
.LBB134_460:
	s_and_b32 vcc_lo, exec_lo, s31
	s_cbranch_vccz .LBB134_463
; %bb.461:
	v_cmp_eq_u16_e32 vcc_lo, 44, v10
	s_mov_b32 s0, -1
	s_cbranch_vccz .LBB134_463
; %bb.462:
	v_cndmask_b32_e64 v2, v19, 0xff, s24
	s_mov_b32 s30, -1
	s_mov_b32 s0, 0
	global_store_b8 v[8:9], v2, off
.LBB134_463:
	s_mov_b32 s31, 0
.LBB134_464:
	s_delay_alu instid0(SALU_CYCLE_1)
	s_and_b32 vcc_lo, exec_lo, s31
	s_cbranch_vccz .LBB134_467
; %bb.465:
	v_cmp_eq_u16_e32 vcc_lo, 29, v10
	s_mov_b32 s0, -1
	s_cbranch_vccz .LBB134_467
; %bb.466:
	s_mov_b32 s30, -1
	s_mov_b32 s0, 0
	global_store_b64 v[8:9], v[6:7], off
.LBB134_467:
	s_mov_b32 s31, 0
.LBB134_468:
	s_delay_alu instid0(SALU_CYCLE_1)
	s_and_b32 vcc_lo, exec_lo, s31
	s_cbranch_vccz .LBB134_481
; %bb.469:
	v_cmp_gt_i16_e32 vcc_lo, 27, v10
	s_mov_b32 s30, -1
	s_cbranch_vccnz .LBB134_475
; %bb.470:
	v_cmp_lt_i16_e32 vcc_lo, 27, v10
	s_cbranch_vccz .LBB134_472
; %bb.471:
	s_mov_b32 s30, 0
	global_store_b32 v[8:9], v17, off
.LBB134_472:
	s_and_not1_b32 vcc_lo, exec_lo, s30
	s_cbranch_vccnz .LBB134_474
; %bb.473:
	global_store_b16 v[8:9], v17, off
.LBB134_474:
	s_mov_b32 s30, 0
.LBB134_475:
	s_delay_alu instid0(SALU_CYCLE_1)
	s_and_not1_b32 vcc_lo, exec_lo, s30
	s_cbranch_vccnz .LBB134_480
; %bb.476:
	v_mov_b32_e32 v2, 0x80
	s_and_not1_b32 vcc_lo, exec_lo, s20
	s_cbranch_vccnz .LBB134_479
; %bb.477:
	v_mov_b32_e32 v2, 0
	s_or_b32 s30, s19, s22
	s_delay_alu instid0(SALU_CYCLE_1)
	s_and_not1_b32 vcc_lo, exec_lo, s30
	s_cbranch_vccnz .LBB134_479
; %bb.478:
	v_cndmask_b32_e64 v2, v16, s21, s19
	s_delay_alu instid0(VALU_DEP_1)
	v_or_b32_e32 v2, s8, v2
.LBB134_479:
	global_store_b8 v[8:9], v2, off
.LBB134_480:
	s_mov_b32 s30, -1
.LBB134_481:
	s_mov_b32 s31, 0
.LBB134_482:
	s_delay_alu instid0(SALU_CYCLE_1)
	s_and_b32 vcc_lo, exec_lo, s31
	s_cbranch_vccz .LBB134_504
; %bb.483:
	v_cmp_lt_i16_e32 vcc_lo, 22, v10
	s_mov_b32 s31, -1
	s_cbranch_vccz .LBB134_496
; %bb.484:
	v_cmp_gt_i16_e32 vcc_lo, 24, v10
	s_mov_b32 s30, -1
	s_cbranch_vccnz .LBB134_493
; %bb.485:
	v_cmp_lt_i16_e32 vcc_lo, 24, v10
	s_cbranch_vccz .LBB134_490
; %bb.486:
	v_mov_b32_e32 v2, 0x80
	s_and_not1_b32 vcc_lo, exec_lo, s17
	s_cbranch_vccnz .LBB134_489
; %bb.487:
	v_mov_b32_e32 v2, 0
	s_or_b32 s30, s15, s18
	s_delay_alu instid0(SALU_CYCLE_1)
	s_and_not1_b32 vcc_lo, exec_lo, s30
	s_cbranch_vccnz .LBB134_489
; %bb.488:
	v_cndmask_b32_e64 v2, v15, s16, s15
	s_delay_alu instid0(VALU_DEP_1)
	v_or_b32_e32 v2, s8, v2
.LBB134_489:
	s_mov_b32 s30, 0
	global_store_b8 v[8:9], v2, off
.LBB134_490:
	s_and_b32 vcc_lo, exec_lo, s30
	s_cbranch_vccz .LBB134_492
; %bb.491:
	v_mov_b32_e32 v2, s7
	global_store_b8 v[8:9], v2, off
.LBB134_492:
	s_mov_b32 s30, 0
.LBB134_493:
	s_delay_alu instid0(SALU_CYCLE_1)
	s_and_not1_b32 vcc_lo, exec_lo, s30
	s_cbranch_vccnz .LBB134_495
; %bb.494:
	s_and_b32 s30, s12, exec_lo
	s_cselect_b32 s30, s9, s13
	s_and_b32 s31, s11, exec_lo
	s_cselect_b32 s30, s14, s30
	s_delay_alu instid0(SALU_CYCLE_1) | instskip(NEXT) | instid1(SALU_CYCLE_1)
	s_or_b32 s30, s30, s8
	v_mov_b32_e32 v2, s30
	global_store_b8 v[8:9], v2, off
.LBB134_495:
	s_mov_b32 s31, 0
	s_mov_b32 s30, -1
.LBB134_496:
	s_and_not1_b32 vcc_lo, exec_lo, s31
	s_cbranch_vccnz .LBB134_504
; %bb.497:
	v_cmp_lt_i16_e32 vcc_lo, 14, v10
	s_mov_b32 s31, -1
	s_cbranch_vccz .LBB134_501
; %bb.498:
	v_cmp_eq_u16_e32 vcc_lo, 15, v10
	s_mov_b32 s0, -1
	s_cbranch_vccz .LBB134_500
; %bb.499:
	v_mov_b32_e32 v2, s10
	s_mov_b32 s30, -1
	s_mov_b32 s0, 0
	global_store_b16 v[8:9], v2, off
.LBB134_500:
	s_mov_b32 s31, 0
.LBB134_501:
	s_delay_alu instid0(SALU_CYCLE_1)
	s_and_b32 vcc_lo, exec_lo, s31
	s_cbranch_vccz .LBB134_504
; %bb.502:
	v_cmp_eq_u16_e32 vcc_lo, 11, v10
	s_mov_b32 s0, -1
	s_cbranch_vccz .LBB134_504
; %bb.503:
	s_mov_b32 s30, -1
	s_mov_b32 s0, 0
	global_store_b8 v[8:9], v14, off
.LBB134_504:
	s_mov_b32 s31, 0
.LBB134_505:
	s_delay_alu instid0(SALU_CYCLE_1)
	s_and_b32 vcc_lo, exec_lo, s31
	s_cbranch_vccz .LBB134_544
; %bb.506:
	v_cmp_gt_i16_e32 vcc_lo, 5, v10
	s_mov_b32 s30, -1
	s_cbranch_vccnz .LBB134_527
; %bb.507:
	v_cmp_gt_i16_e32 vcc_lo, 8, v10
	s_cbranch_vccnz .LBB134_517
; %bb.508:
	v_cmp_gt_i16_e32 vcc_lo, 9, v10
	s_cbranch_vccnz .LBB134_514
; %bb.509:
	v_cmp_lt_i16_e32 vcc_lo, 9, v10
	s_cbranch_vccz .LBB134_511
; %bb.510:
	v_mov_b32_e32 v2, 0
	s_mov_b32 s30, 0
	s_delay_alu instid0(VALU_DEP_1)
	v_mov_b32_e32 v3, v2
	global_store_b128 v[8:9], v[0:3], off
.LBB134_511:
	s_and_not1_b32 vcc_lo, exec_lo, s30
	s_cbranch_vccnz .LBB134_513
; %bb.512:
	v_dual_mov_b32 v2, s1 :: v_dual_mov_b32 v3, 0
	global_store_b64 v[8:9], v[2:3], off
.LBB134_513:
	s_mov_b32 s30, 0
.LBB134_514:
	s_delay_alu instid0(SALU_CYCLE_1)
	s_and_not1_b32 vcc_lo, exec_lo, s30
	s_cbranch_vccnz .LBB134_516
; %bb.515:
	global_store_b32 v[8:9], v13, off
.LBB134_516:
	s_mov_b32 s30, 0
.LBB134_517:
	s_delay_alu instid0(SALU_CYCLE_1)
	s_and_not1_b32 vcc_lo, exec_lo, s30
	s_cbranch_vccnz .LBB134_526
; %bb.518:
	v_cmp_gt_i16_e32 vcc_lo, 6, v10
	s_mov_b32 s30, -1
	s_cbranch_vccnz .LBB134_524
; %bb.519:
	v_cmp_lt_i16_e32 vcc_lo, 6, v10
	s_cbranch_vccz .LBB134_521
; %bb.520:
	s_mov_b32 s30, 0
	global_store_b64 v[8:9], v[0:1], off
.LBB134_521:
	s_and_not1_b32 vcc_lo, exec_lo, s30
	s_cbranch_vccnz .LBB134_523
; %bb.522:
	v_mov_b32_e32 v2, s1
	global_store_b32 v[8:9], v2, off
.LBB134_523:
	s_mov_b32 s30, 0
.LBB134_524:
	s_delay_alu instid0(SALU_CYCLE_1)
	s_and_not1_b32 vcc_lo, exec_lo, s30
	s_cbranch_vccnz .LBB134_526
; %bb.525:
	global_store_b16 v[8:9], v12, off
.LBB134_526:
	s_mov_b32 s30, 0
.LBB134_527:
	s_delay_alu instid0(SALU_CYCLE_1)
	s_and_not1_b32 vcc_lo, exec_lo, s30
	s_cbranch_vccnz .LBB134_543
; %bb.528:
	v_cmp_gt_i16_e32 vcc_lo, 2, v10
	s_mov_b32 s30, -1
	s_cbranch_vccnz .LBB134_538
; %bb.529:
	v_cmp_gt_i16_e32 vcc_lo, 3, v10
	s_cbranch_vccnz .LBB134_535
; %bb.530:
	v_cmp_lt_i16_e32 vcc_lo, 3, v10
	s_cbranch_vccz .LBB134_532
; %bb.531:
	s_mov_b32 s30, 0
	global_store_b64 v[8:9], v[4:5], off
.LBB134_532:
	s_and_not1_b32 vcc_lo, exec_lo, s30
	s_cbranch_vccnz .LBB134_534
; %bb.533:
	global_store_b32 v[8:9], v11, off
.LBB134_534:
	s_mov_b32 s30, 0
.LBB134_535:
	s_delay_alu instid0(SALU_CYCLE_1)
	s_and_not1_b32 vcc_lo, exec_lo, s30
	s_cbranch_vccnz .LBB134_537
; %bb.536:
	global_store_b16 v[8:9], v11, off
.LBB134_537:
	s_mov_b32 s30, 0
.LBB134_538:
	s_delay_alu instid0(SALU_CYCLE_1)
	s_and_not1_b32 vcc_lo, exec_lo, s30
	s_cbranch_vccnz .LBB134_543
; %bb.539:
	v_cmp_lt_i16_e32 vcc_lo, 0, v10
	s_mov_b32 s30, -1
	s_cbranch_vccz .LBB134_541
; %bb.540:
	s_mov_b32 s30, 0
	global_store_b8 v[8:9], v11, off
.LBB134_541:
	s_and_not1_b32 vcc_lo, exec_lo, s30
	s_cbranch_vccnz .LBB134_543
; %bb.542:
	global_store_b8 v[8:9], v4, off
.LBB134_543:
	s_mov_b32 s30, -1
.LBB134_544:
	s_delay_alu instid0(SALU_CYCLE_1)
	s_and_not1_b32 vcc_lo, exec_lo, s30
	s_cbranch_vccnz .LBB134_546
; %bb.545:
	v_add_nc_u32_e32 v18, 0x80, v18
	s_mov_b32 s31, -1
	s_branch .LBB134_547
.LBB134_546:
	s_mov_b32 s31, 0
                                        ; implicit-def: $vgpr18
.LBB134_547:
	s_and_not1_b32 s30, s27, exec_lo
	s_and_b32 s0, s0, exec_lo
	s_or_not1_b32 s33, s31, exec_lo
	s_or_b32 s30, s30, s0
.LBB134_548:
	s_or_b32 exec_lo, exec_lo, s29
	s_mov_b32 s0, 0
	s_mov_b32 s31, 0
                                        ; implicit-def: $vgpr8_vgpr9
	s_and_saveexec_b32 s29, s33
	s_cbranch_execz .LBB134_851
; %bb.549:
	v_cmp_gt_i32_e32 vcc_lo, s23, v18
	s_mov_b32 s33, s30
                                        ; implicit-def: $vgpr8_vgpr9
	s_and_saveexec_b32 s23, vcc_lo
	s_cbranch_execz .LBB134_850
; %bb.550:
	v_mul_lo_u32 v2, v18, s6
	v_cmp_gt_i16_e32 vcc_lo, 11, v10
	s_delay_alu instid0(VALU_DEP_2) | instskip(SKIP_1) | instid1(VALU_DEP_1)
	v_ashrrev_i32_e32 v3, 31, v2
	v_add_co_u32 v8, s0, s4, v2
	v_add_co_ci_u32_e64 v9, s0, s5, v3, s0
	s_cbranch_vccnz .LBB134_557
; %bb.551:
	v_cmp_lt_i16_e32 vcc_lo, 25, v10
	s_mov_b32 s31, -1
	s_mov_b32 s0, s30
	s_cbranch_vccz .LBB134_827
; %bb.552:
	v_cmp_lt_i16_e32 vcc_lo, 28, v10
	s_mov_b32 s0, s30
	s_cbranch_vccz .LBB134_814
; %bb.553:
	v_cmp_lt_i16_e32 vcc_lo, 43, v10
	;; [unrolled: 4-line block ×3, first 2 shown]
	s_mov_b32 s0, s30
	s_cbranch_vccz .LBB134_806
; %bb.555:
	v_cmp_eq_u16_e32 vcc_lo, 46, v10
	s_mov_b32 s0, -1
	s_cbranch_vccz .LBB134_805
; %bb.556:
	v_mov_b32_e32 v2, s10
	s_mov_b32 s0, 0
	s_mov_b32 s31, 0
	global_store_b32 v[8:9], v2, off
	s_branch .LBB134_806
.LBB134_557:
	s_mov_b32 s8, 0
	s_mov_b32 s19, -1
	s_mov_b32 s0, s30
	s_branch .LBB134_849
.LBB134_558:
	s_mov_b32 s11, -1
	s_mov_b32 s10, 0
                                        ; implicit-def: $sgpr12
.LBB134_559:
	v_mov_b32_e32 v3, s12
	s_and_not1_b32 vcc_lo, exec_lo, s11
                                        ; implicit-def: $sgpr11
	s_cbranch_vccnz .LBB134_561
; %bb.560:
	v_add_f32_e64 v3, 0x42800000, |s9|
	s_mov_b32 s11, 0
	s_delay_alu instid0(VALU_DEP_1) | instskip(NEXT) | instid1(VALU_DEP_1)
	v_and_b32_e32 v3, 0xff, v3
	v_cmp_ne_u32_e64 s10, 0, v3
.LBB134_561:
	v_mov_b32_e32 v4, s11
	s_delay_alu instid0(VALU_DEP_2)
	s_and_not1_b32 vcc_lo, exec_lo, s10
	s_cbranch_vccnz .LBB134_563
; %bb.562:
	s_lshr_b32 s9, s9, 24
	s_delay_alu instid0(SALU_CYCLE_1) | instskip(NEXT) | instid1(SALU_CYCLE_1)
	s_and_b32 s9, s9, 0x80
	v_or_b32_e32 v4, s9, v3
.LBB134_563:
	global_store_b8 v[0:1], v4, off
.LBB134_564:
	s_and_b32 vcc_lo, exec_lo, s8
	s_cbranch_vccz .LBB134_566
; %bb.565:
	v_mov_b32_e32 v3, s7
	global_store_b8 v[0:1], v3, off
.LBB134_566:
	s_mov_b32 s8, 0
.LBB134_567:
	s_delay_alu instid0(SALU_CYCLE_1)
	s_and_not1_b32 vcc_lo, exec_lo, s8
	s_cbranch_vccnz .LBB134_579
; %bb.568:
	s_lshl_b32 s8, s7, 24
	s_delay_alu instid0(SALU_CYCLE_1)
	s_and_b32 s9, s8, 0x7f000000
	s_and_b32 s8, s8, 0x80000000
	s_clz_i32_u32 s10, s9
	s_add_i32 s12, s9, 0x1000000
	s_min_u32 s10, s10, 32
	s_ashr_i32 s12, s12, 8
	v_sub_nc_u32_e64 v3, s10, 4 clamp
	s_delay_alu instid0(VALU_DEP_1) | instskip(NEXT) | instid1(VALU_DEP_1)
	v_readfirstlane_b32 s10, v3
	s_lshl_b32 s11, s9, s10
	s_lshl_b32 s10, s10, 23
	s_lshr_b32 s11, s11, 4
	s_delay_alu instid0(SALU_CYCLE_1) | instskip(SKIP_2) | instid1(SALU_CYCLE_1)
	s_sub_i32 s10, s11, s10
	s_and_b32 s11, s12, 0x7f800000
	s_add_i32 s10, s10, 0x3c000000
	s_or_b32 s10, s10, s11
	s_cmp_lg_u32 s9, 0
	s_cselect_b32 s10, s10, 0
	s_delay_alu instid0(SALU_CYCLE_1) | instskip(NEXT) | instid1(SALU_CYCLE_1)
	s_or_b32 s8, s10, s8
	s_and_b32 s9, s8, 0x7fffffff
	s_delay_alu instid0(SALU_CYCLE_1)
	s_cmp_lt_u32 s9, 0x47800000
	s_cbranch_scc0 .LBB134_571
; %bb.569:
	s_cmp_gt_u32 s9, 0x387fffff
	s_cbranch_scc0 .LBB134_572
; %bb.570:
	s_bfe_u32 s10, s10, 0x10015
	s_delay_alu instid0(SALU_CYCLE_1) | instskip(NEXT) | instid1(SALU_CYCLE_1)
	s_add_i32 s10, s8, s10
	s_add_i32 s10, s10, 0x80fffff
	s_delay_alu instid0(SALU_CYCLE_1)
	s_lshr_b32 s11, s10, 21
	s_mov_b32 s10, 0
	s_branch .LBB134_573
.LBB134_571:
	s_mov_b32 s10, -1
                                        ; implicit-def: $vgpr3
	s_branch .LBB134_576
.LBB134_572:
	s_mov_b32 s10, -1
                                        ; implicit-def: $sgpr11
.LBB134_573:
	v_mov_b32_e32 v3, s11
	s_and_not1_b32 vcc_lo, exec_lo, s10
	s_cbranch_vccnz .LBB134_575
; %bb.574:
	v_add_f32_e64 v3, 0x43000000, |s8|
.LBB134_575:
	s_mov_b32 s10, 0
.LBB134_576:
	s_delay_alu instid0(SALU_CYCLE_1)
	s_and_not1_b32 vcc_lo, exec_lo, s10
	s_cbranch_vccnz .LBB134_578
; %bb.577:
	s_cmp_gt_u32 s9, 0x7f800000
	s_movk_i32 s9, 0x7f
	s_delay_alu instid0(SALU_CYCLE_1) | instskip(NEXT) | instid1(SALU_CYCLE_1)
	s_cselect_b32 s9, s9, 0x7c
	v_mov_b32_e32 v3, s9
.LBB134_578:
	s_lshr_b32 s8, s8, 24
	s_delay_alu instid0(SALU_CYCLE_1)
	s_and_b32 s8, s8, 0x80
	s_delay_alu instid0(VALU_DEP_1) | instid1(SALU_CYCLE_1)
	v_or_b32_e32 v3, s8, v3
	global_store_b8 v[0:1], v3, off
.LBB134_579:
	s_mov_b32 s8, 0
	s_mov_b32 s9, -1
.LBB134_580:
	s_and_not1_b32 vcc_lo, exec_lo, s8
	s_mov_b32 s8, 0
	s_cbranch_vccnz .LBB134_587
; %bb.581:
	v_cmp_lt_i16_e32 vcc_lo, 14, v10
	s_mov_b32 s8, -1
	s_cbranch_vccz .LBB134_585
; %bb.582:
	v_cmp_eq_u16_e32 vcc_lo, 15, v10
	s_mov_b32 s0, -1
	s_cbranch_vccz .LBB134_584
; %bb.583:
	s_lshl_b32 s0, s7, 24
	s_delay_alu instid0(SALU_CYCLE_1)
	s_and_b32 s8, s0, 0x7f000000
	s_and_b32 s0, s0, 0x80000000
	s_clz_i32_u32 s9, s8
	s_add_i32 s10, s8, 0x1000000
	s_min_u32 s9, s9, 32
	s_ashr_i32 s10, s10, 8
	v_sub_nc_u32_e64 v3, s9, 4 clamp
	s_and_b32 s10, s10, 0x7f800000
	s_delay_alu instid0(VALU_DEP_1) | instskip(NEXT) | instid1(VALU_DEP_1)
	v_readfirstlane_b32 s9, v3
	s_lshl_b32 s11, s8, s9
	s_lshl_b32 s9, s9, 23
	s_lshr_b32 s11, s11, 4
	s_delay_alu instid0(SALU_CYCLE_1) | instskip(NEXT) | instid1(SALU_CYCLE_1)
	s_sub_i32 s9, s11, s9
	s_add_i32 s9, s9, 0x3c000000
	s_delay_alu instid0(SALU_CYCLE_1)
	s_or_b32 s9, s9, s10
	s_cmp_lg_u32 s8, 0
	s_cselect_b32 s8, s9, 0
	s_mov_b32 s9, -1
	s_or_b32 s0, s8, s0
	s_bfe_u32 s8, s8, 0x10010
	s_delay_alu instid0(SALU_CYCLE_1) | instskip(SKIP_2) | instid1(SALU_CYCLE_1)
	s_add_i32 s8, s0, s8
	v_cmp_o_f32_e64 s0, s0, s0
	s_addk_i32 s8, 0x7fff
	s_lshr_b32 s8, s8, 16
	s_delay_alu instid0(VALU_DEP_1) | instskip(SKIP_1) | instid1(SALU_CYCLE_1)
	s_and_b32 s0, s0, exec_lo
	s_cselect_b32 s0, s8, 0x7fc0
	v_mov_b32_e32 v3, s0
	s_mov_b32 s0, 0
	global_store_b16 v[0:1], v3, off
.LBB134_584:
	s_mov_b32 s8, 0
.LBB134_585:
	s_delay_alu instid0(SALU_CYCLE_1)
	s_and_b32 vcc_lo, exec_lo, s8
	s_mov_b32 s8, 0
	s_cbranch_vccz .LBB134_587
; %bb.586:
	v_cmp_ne_u16_e64 s0, 11, v10
	s_mov_b32 s8, -1
.LBB134_587:
	s_delay_alu instid0(VALU_DEP_1)
	s_and_b32 vcc_lo, exec_lo, s0
	s_cbranch_vccnz .LBB134_704
; %bb.588:
	s_and_not1_b32 vcc_lo, exec_lo, s8
	s_cbranch_vccnz .LBB134_590
.LBB134_589:
	s_lshl_b32 s0, s7, 24
	s_delay_alu instid0(SALU_CYCLE_1) | instskip(NEXT) | instid1(SALU_CYCLE_1)
	s_and_b32 s0, s0, 0x7f000000
	s_clz_i32_u32 s8, s0
	s_add_i32 s9, s0, 0x1000000
	s_min_u32 s8, s8, 32
	s_ashr_i32 s9, s9, 8
	v_sub_nc_u32_e64 v3, s8, 4 clamp
	s_and_b32 s9, s9, 0x7f800000
	s_delay_alu instid0(VALU_DEP_1) | instskip(NEXT) | instid1(VALU_DEP_1)
	v_readfirstlane_b32 s8, v3
	s_lshl_b32 s10, s0, s8
	s_lshl_b32 s8, s8, 23
	s_lshr_b32 s10, s10, 4
	s_delay_alu instid0(SALU_CYCLE_1) | instskip(NEXT) | instid1(SALU_CYCLE_1)
	s_sub_i32 s8, s10, s8
	s_add_i32 s8, s8, 0x3c000000
	s_cmp_lg_u32 s0, 0
	s_cselect_b32 s0, -1, 0
	s_and_b32 s8, s8, 0x7ff00000
	s_delay_alu instid0(SALU_CYCLE_1) | instskip(SKIP_3) | instid1(SALU_CYCLE_1)
	s_or_b32 s8, s8, s9
	s_mov_b32 s9, -1
	s_cmp_lg_u32 s8, 0
	s_cselect_b32 s8, -1, 0
	s_and_b32 s0, s0, s8
	s_delay_alu instid0(SALU_CYCLE_1)
	v_cndmask_b32_e64 v3, 0, 1, s0
	global_store_b8 v[0:1], v3, off
.LBB134_590:
.LBB134_591:
	s_and_not1_b32 vcc_lo, exec_lo, s9
	s_cbranch_vccnz .LBB134_659
.LBB134_592:
	v_add_nc_u32_e32 v2, s6, v2
	v_cmp_gt_i16_e32 vcc_lo, 11, v10
	s_delay_alu instid0(VALU_DEP_2) | instskip(SKIP_1) | instid1(VALU_DEP_1)
	v_ashrrev_i32_e32 v1, 31, v2
	v_add_co_u32 v0, s0, s4, v2
	v_add_co_ci_u32_e64 v1, s0, s5, v1, s0
	s_cbranch_vccnz .LBB134_620
; %bb.593:
	v_cmp_lt_i16_e32 vcc_lo, 25, v10
	s_mov_b32 s10, -1
	s_mov_b32 s8, 0
	s_mov_b32 s9, 0
	;; [unrolled: 1-line block ×3, first 2 shown]
	s_cbranch_vccz .LBB134_716
; %bb.594:
	v_cmp_lt_i16_e32 vcc_lo, 28, v10
	s_cbranch_vccz .LBB134_609
; %bb.595:
	v_cmp_lt_i16_e32 vcc_lo, 43, v10
	;; [unrolled: 3-line block ×3, first 2 shown]
	s_cbranch_vccz .LBB134_599
; %bb.597:
	v_cmp_eq_u16_e32 vcc_lo, 46, v10
	s_mov_b32 s0, -1
	s_mov_b32 s10, 0
	s_cbranch_vccz .LBB134_599
; %bb.598:
	s_lshl_b32 s0, s7, 24
	s_delay_alu instid0(SALU_CYCLE_1)
	s_and_b32 s9, s0, 0x7f000000
	s_and_b32 s0, s0, 0x80000000
	s_clz_i32_u32 s11, s9
	s_add_i32 s12, s9, 0x1000000
	s_min_u32 s11, s11, 32
	s_ashr_i32 s12, s12, 8
	v_sub_nc_u32_e64 v3, s11, 4 clamp
	s_and_b32 s12, s12, 0x7f800000
	s_delay_alu instid0(VALU_DEP_1) | instskip(NEXT) | instid1(VALU_DEP_1)
	v_readfirstlane_b32 s11, v3
	s_lshl_b32 s13, s9, s11
	s_lshl_b32 s11, s11, 23
	s_lshr_b32 s13, s13, 4
	s_delay_alu instid0(SALU_CYCLE_1) | instskip(NEXT) | instid1(SALU_CYCLE_1)
	s_sub_i32 s11, s13, s11
	s_add_i32 s11, s11, 0x3c000000
	s_delay_alu instid0(SALU_CYCLE_1) | instskip(SKIP_2) | instid1(SALU_CYCLE_1)
	s_or_b32 s11, s11, s12
	s_cmp_lg_u32 s9, 0
	s_cselect_b32 s9, s11, 0
	s_or_b32 s0, s9, s0
	s_bfe_u32 s9, s9, 0x10010
	s_delay_alu instid0(SALU_CYCLE_1) | instskip(SKIP_2) | instid1(SALU_CYCLE_1)
	s_add_i32 s9, s0, s9
	v_cmp_o_f32_e64 s0, s0, s0
	s_addk_i32 s9, 0x7fff
	s_lshr_b32 s9, s9, 16
	s_delay_alu instid0(VALU_DEP_1)
	s_and_b32 s0, s0, exec_lo
	s_cselect_b32 s0, s9, 0x7fc0
	s_mov_b32 s9, -1
	v_mov_b32_e32 v3, s0
	s_mov_b32 s0, 0
	global_store_b32 v[0:1], v3, off
.LBB134_599:
	s_and_b32 vcc_lo, exec_lo, s10
	s_cbranch_vccz .LBB134_604
; %bb.600:
	v_cmp_eq_u16_e32 vcc_lo, 44, v10
	s_mov_b32 s0, -1
	s_cbranch_vccz .LBB134_604
; %bb.601:
	s_lshl_b32 s0, s7, 24
	s_delay_alu instid0(SALU_CYCLE_1) | instskip(NEXT) | instid1(SALU_CYCLE_1)
	s_and_b32 s0, s0, 0x7f000000
	s_clz_i32_u32 s9, s0
	s_add_i32 s10, s0, 0x1000000
	s_min_u32 s9, s9, 32
	s_ashr_i32 s10, s10, 8
	v_sub_nc_u32_e64 v3, s9, 4 clamp
	s_and_b32 s10, s10, 0x7f800000
	s_delay_alu instid0(VALU_DEP_1) | instskip(SKIP_1) | instid1(VALU_DEP_2)
	v_readfirstlane_b32 s9, v3
	v_mov_b32_e32 v3, 0xff
	s_lshl_b32 s11, s0, s9
	s_lshl_b32 s9, s9, 23
	s_lshr_b32 s11, s11, 4
	s_delay_alu instid0(SALU_CYCLE_1) | instskip(NEXT) | instid1(SALU_CYCLE_1)
	s_sub_i32 s9, s11, s9
	s_add_i32 s9, s9, 0x3c000000
	s_delay_alu instid0(SALU_CYCLE_1) | instskip(SKIP_3) | instid1(SALU_CYCLE_1)
	s_or_b32 s9, s9, s10
	s_cmp_lg_u32 s0, 0
	s_mov_b32 s0, 0
	s_cselect_b32 s10, s9, 0
	s_lshr_b32 s9, s10, 23
	s_delay_alu instid0(SALU_CYCLE_1)
	s_cmpk_eq_i32 s9, 0xff
	s_cbranch_scc1 .LBB134_603
; %bb.602:
	s_bitcmp1_b32 s10, 22
	s_cselect_b32 s11, -1, 0
	s_and_b32 s10, s10, 0x3fffff
	s_delay_alu instid0(SALU_CYCLE_1) | instskip(NEXT) | instid1(SALU_CYCLE_1)
	s_or_b32 s10, s9, s10
	s_cmp_lg_u32 s10, 0
	s_cselect_b32 s10, -1, 0
	s_delay_alu instid0(SALU_CYCLE_1) | instskip(NEXT) | instid1(SALU_CYCLE_1)
	s_and_b32 s10, s11, s10
	v_cndmask_b32_e64 v3, 0, 1, s10
	s_delay_alu instid0(VALU_DEP_1)
	v_add_nc_u32_e32 v3, s9, v3
.LBB134_603:
	s_mov_b32 s9, -1
	global_store_b8 v[0:1], v3, off
.LBB134_604:
	s_mov_b32 s10, 0
.LBB134_605:
	s_delay_alu instid0(SALU_CYCLE_1)
	s_and_b32 vcc_lo, exec_lo, s10
	s_cbranch_vccz .LBB134_608
; %bb.606:
	v_cmp_eq_u16_e32 vcc_lo, 29, v10
	s_mov_b32 s0, -1
	s_cbranch_vccz .LBB134_608
; %bb.607:
	s_lshl_b32 s0, s7, 24
	s_delay_alu instid0(SALU_CYCLE_1)
	s_and_b32 s9, s0, 0x7f000000
	s_and_b32 s0, s0, 0x80000000
	s_clz_i32_u32 s10, s9
	s_add_i32 s11, s9, 0x1000000
	s_min_u32 s10, s10, 32
	s_ashr_i32 s11, s11, 8
	v_sub_nc_u32_e64 v3, s10, 4 clamp
	s_and_b32 s11, s11, 0x7f800000
	s_delay_alu instid0(VALU_DEP_1) | instskip(NEXT) | instid1(VALU_DEP_1)
	v_readfirstlane_b32 s10, v3
	s_lshl_b32 s12, s9, s10
	s_lshl_b32 s10, s10, 23
	s_lshr_b32 s12, s12, 4
	s_delay_alu instid0(SALU_CYCLE_1) | instskip(NEXT) | instid1(SALU_CYCLE_1)
	s_sub_i32 s10, s12, s10
	s_add_i32 s10, s10, 0x3c000000
	s_delay_alu instid0(SALU_CYCLE_1) | instskip(SKIP_2) | instid1(SALU_CYCLE_1)
	s_or_b32 s10, s10, s11
	s_cmp_lg_u32 s9, 0
	s_cselect_b32 s9, s10, 0
	s_or_b32 s0, s9, s0
	s_mov_b32 s9, -1
	v_trunc_f32_e32 v3, s0
	s_mov_b32 s0, 0
	s_delay_alu instid0(VALU_DEP_1) | instskip(NEXT) | instid1(VALU_DEP_1)
	v_mul_f32_e32 v4, 0x2f800000, v3
	v_floor_f32_e32 v4, v4
	s_delay_alu instid0(VALU_DEP_1) | instskip(SKIP_1) | instid1(VALU_DEP_2)
	v_fmamk_f32 v3, v4, 0xcf800000, v3
	v_cvt_u32_f32_e32 v4, v4
	v_cvt_u32_f32_e32 v3, v3
	global_store_b64 v[0:1], v[3:4], off
.LBB134_608:
	s_mov_b32 s10, 0
.LBB134_609:
	s_delay_alu instid0(SALU_CYCLE_1)
	s_and_b32 vcc_lo, exec_lo, s10
	s_cbranch_vccz .LBB134_715
; %bb.610:
	v_cmp_gt_i16_e32 vcc_lo, 27, v10
	s_mov_b32 s9, -1
	s_cbranch_vccnz .LBB134_616
; %bb.611:
	v_cmp_lt_i16_e32 vcc_lo, 27, v10
	s_cbranch_vccz .LBB134_613
; %bb.612:
	s_lshl_b32 s9, s7, 24
	s_delay_alu instid0(SALU_CYCLE_1)
	s_and_b32 s10, s9, 0x7f000000
	s_and_b32 s9, s9, 0x80000000
	s_clz_i32_u32 s11, s10
	s_add_i32 s13, s10, 0x1000000
	s_min_u32 s11, s11, 32
	s_ashr_i32 s13, s13, 8
	v_sub_nc_u32_e64 v3, s11, 4 clamp
	s_delay_alu instid0(VALU_DEP_1) | instskip(NEXT) | instid1(VALU_DEP_1)
	v_readfirstlane_b32 s11, v3
	s_lshl_b32 s12, s10, s11
	s_lshl_b32 s11, s11, 23
	s_lshr_b32 s12, s12, 4
	s_delay_alu instid0(SALU_CYCLE_1) | instskip(SKIP_2) | instid1(SALU_CYCLE_1)
	s_sub_i32 s11, s12, s11
	s_and_b32 s12, s13, 0x7f800000
	s_add_i32 s11, s11, 0x3c000000
	s_or_b32 s11, s11, s12
	s_cmp_lg_u32 s10, 0
	s_cselect_b32 s10, s11, 0
	s_delay_alu instid0(SALU_CYCLE_1) | instskip(NEXT) | instid1(SALU_CYCLE_1)
	s_or_b32 s9, s10, s9
	v_cvt_u32_f32_e32 v3, s9
	s_mov_b32 s9, 0
	global_store_b32 v[0:1], v3, off
.LBB134_613:
	s_and_not1_b32 vcc_lo, exec_lo, s9
	s_cbranch_vccnz .LBB134_615
; %bb.614:
	s_lshl_b32 s9, s7, 24
	s_delay_alu instid0(SALU_CYCLE_1)
	s_and_b32 s10, s9, 0x7f000000
	s_and_b32 s9, s9, 0x80000000
	s_clz_i32_u32 s11, s10
	s_add_i32 s13, s10, 0x1000000
	s_min_u32 s11, s11, 32
	s_ashr_i32 s13, s13, 8
	v_sub_nc_u32_e64 v3, s11, 4 clamp
	s_delay_alu instid0(VALU_DEP_1) | instskip(NEXT) | instid1(VALU_DEP_1)
	v_readfirstlane_b32 s11, v3
	s_lshl_b32 s12, s10, s11
	s_lshl_b32 s11, s11, 23
	s_lshr_b32 s12, s12, 4
	s_delay_alu instid0(SALU_CYCLE_1) | instskip(SKIP_2) | instid1(SALU_CYCLE_1)
	s_sub_i32 s11, s12, s11
	s_and_b32 s12, s13, 0x7f800000
	s_add_i32 s11, s11, 0x3c000000
	s_or_b32 s11, s11, s12
	s_cmp_lg_u32 s10, 0
	s_cselect_b32 s10, s11, 0
	s_delay_alu instid0(SALU_CYCLE_1) | instskip(NEXT) | instid1(SALU_CYCLE_1)
	s_or_b32 s9, s10, s9
	v_cvt_u32_f32_e32 v3, s9
	global_store_b16 v[0:1], v3, off
.LBB134_615:
	s_mov_b32 s9, 0
.LBB134_616:
	s_delay_alu instid0(SALU_CYCLE_1)
	s_and_not1_b32 vcc_lo, exec_lo, s9
	s_cbranch_vccnz .LBB134_714
; %bb.617:
	s_lshl_b32 s9, s7, 24
	v_mov_b32_e32 v4, 0x80
	s_and_b32 s10, s9, 0x7f000000
	s_and_b32 s9, s9, 0x80000000
	s_clz_i32_u32 s11, s10
	s_add_i32 s12, s10, 0x1000000
	s_min_u32 s11, s11, 32
	s_ashr_i32 s12, s12, 8
	v_sub_nc_u32_e64 v3, s11, 4 clamp
	s_and_b32 s12, s12, 0x7f800000
	s_delay_alu instid0(VALU_DEP_1) | instskip(NEXT) | instid1(VALU_DEP_1)
	v_readfirstlane_b32 s11, v3
	s_lshl_b32 s13, s10, s11
	s_lshl_b32 s11, s11, 23
	s_lshr_b32 s13, s13, 4
	s_delay_alu instid0(SALU_CYCLE_1) | instskip(NEXT) | instid1(SALU_CYCLE_1)
	s_sub_i32 s11, s13, s11
	s_add_i32 s11, s11, 0x3c000000
	s_delay_alu instid0(SALU_CYCLE_1) | instskip(SKIP_3) | instid1(SALU_CYCLE_1)
	s_or_b32 s11, s11, s12
	s_cmp_lg_u32 s10, 0
	s_mov_b32 s10, 0
	s_cselect_b32 s11, s11, 0
	s_or_b32 s9, s11, s9
	s_delay_alu instid0(SALU_CYCLE_1) | instskip(NEXT) | instid1(SALU_CYCLE_1)
	s_and_b32 s12, s9, 0x7fffffff
	s_cmp_gt_u32 s12, 0x437fffff
	s_cbranch_scc1 .LBB134_713
; %bb.618:
	s_cmp_gt_u32 s12, 0x3bffffff
	s_cbranch_scc0 .LBB134_708
; %bb.619:
	s_bfe_u32 s10, s11, 0x10014
	s_mov_b32 s11, 0
	s_add_i32 s10, s9, s10
	s_delay_alu instid0(SALU_CYCLE_1) | instskip(NEXT) | instid1(SALU_CYCLE_1)
	s_add_i32 s10, s10, 0x487ffff
	s_lshr_b32 s12, s10, 20
	s_mov_b32 s10, -1
	s_branch .LBB134_709
.LBB134_620:
	s_mov_b32 s9, 0
	s_cbranch_execz .LBB134_756
; %bb.621:
	v_cmp_gt_i16_e32 vcc_lo, 5, v10
	s_mov_b32 s0, -1
	s_cbranch_vccnz .LBB134_642
; %bb.622:
	v_cmp_gt_i16_e32 vcc_lo, 8, v10
	s_cbranch_vccnz .LBB134_632
; %bb.623:
	v_cmp_gt_i16_e32 vcc_lo, 9, v10
	s_cbranch_vccnz .LBB134_629
; %bb.624:
	v_cmp_lt_i16_e32 vcc_lo, 9, v10
	s_cbranch_vccz .LBB134_626
; %bb.625:
	s_lshl_b32 s0, s7, 24
	v_mov_b32_e32 v5, 0
	s_and_b32 s8, s0, 0x7f000000
	s_and_b32 s0, s0, 0x80000000
	s_clz_i32_u32 s9, s8
	s_add_i32 s11, s8, 0x1000000
	s_min_u32 s9, s9, 32
	s_ashr_i32 s11, s11, 8
	v_sub_nc_u32_e64 v3, s9, 4 clamp
	v_mov_b32_e32 v6, v5
	s_delay_alu instid0(VALU_DEP_2) | instskip(NEXT) | instid1(VALU_DEP_1)
	v_readfirstlane_b32 s9, v3
	s_lshl_b32 s10, s8, s9
	s_lshl_b32 s9, s9, 23
	s_lshr_b32 s10, s10, 4
	s_delay_alu instid0(SALU_CYCLE_1) | instskip(SKIP_2) | instid1(SALU_CYCLE_1)
	s_sub_i32 s9, s10, s9
	s_and_b32 s10, s11, 0x7f800000
	s_add_i32 s9, s9, 0x3c000000
	s_or_b32 s9, s9, s10
	s_cmp_lg_u32 s8, 0
	s_cselect_b32 s8, s9, 0
	s_delay_alu instid0(SALU_CYCLE_1) | instskip(NEXT) | instid1(SALU_CYCLE_1)
	s_or_b32 s0, s8, s0
	v_cvt_f64_f32_e32 v[3:4], s0
	s_mov_b32 s0, 0
	global_store_b128 v[0:1], v[3:6], off
.LBB134_626:
	s_and_not1_b32 vcc_lo, exec_lo, s0
	s_cbranch_vccnz .LBB134_628
; %bb.627:
	s_lshl_b32 s0, s7, 24
	v_mov_b32_e32 v4, 0
	s_and_b32 s8, s0, 0x7f000000
	s_and_b32 s0, s0, 0x80000000
	s_clz_i32_u32 s9, s8
	s_add_i32 s10, s8, 0x1000000
	s_min_u32 s9, s9, 32
	s_ashr_i32 s10, s10, 8
	v_sub_nc_u32_e64 v3, s9, 4 clamp
	s_and_b32 s10, s10, 0x7f800000
	s_delay_alu instid0(VALU_DEP_1) | instskip(NEXT) | instid1(VALU_DEP_1)
	v_readfirstlane_b32 s9, v3
	s_lshl_b32 s11, s8, s9
	s_lshl_b32 s9, s9, 23
	s_lshr_b32 s11, s11, 4
	s_delay_alu instid0(SALU_CYCLE_1) | instskip(NEXT) | instid1(SALU_CYCLE_1)
	s_sub_i32 s9, s11, s9
	s_add_i32 s9, s9, 0x3c000000
	s_delay_alu instid0(SALU_CYCLE_1) | instskip(SKIP_2) | instid1(SALU_CYCLE_1)
	s_or_b32 s9, s9, s10
	s_cmp_lg_u32 s8, 0
	s_cselect_b32 s8, s9, 0
	s_or_b32 s0, s8, s0
	s_delay_alu instid0(SALU_CYCLE_1)
	v_mov_b32_e32 v3, s0
	global_store_b64 v[0:1], v[3:4], off
.LBB134_628:
	s_mov_b32 s0, 0
.LBB134_629:
	s_delay_alu instid0(SALU_CYCLE_1)
	s_and_not1_b32 vcc_lo, exec_lo, s0
	s_cbranch_vccnz .LBB134_631
; %bb.630:
	s_lshl_b32 s0, s7, 24
	s_delay_alu instid0(SALU_CYCLE_1)
	s_and_b32 s8, s0, 0x7f000000
	s_and_b32 s0, s0, 0x80000000
	s_clz_i32_u32 s9, s8
	s_add_i32 s11, s8, 0x1000000
	s_min_u32 s9, s9, 32
	s_ashr_i32 s11, s11, 8
	v_sub_nc_u32_e64 v3, s9, 4 clamp
	s_delay_alu instid0(VALU_DEP_1) | instskip(NEXT) | instid1(VALU_DEP_1)
	v_readfirstlane_b32 s9, v3
	s_lshl_b32 s10, s8, s9
	s_lshl_b32 s9, s9, 23
	s_lshr_b32 s10, s10, 4
	s_delay_alu instid0(SALU_CYCLE_1) | instskip(SKIP_2) | instid1(SALU_CYCLE_1)
	s_sub_i32 s9, s10, s9
	s_and_b32 s10, s11, 0x7f800000
	s_add_i32 s9, s9, 0x3c000000
	s_or_b32 s9, s9, s10
	s_cmp_lg_u32 s8, 0
	s_cselect_b32 s8, s9, 0
	s_delay_alu instid0(SALU_CYCLE_1) | instskip(NEXT) | instid1(SALU_CYCLE_1)
	s_or_b32 s0, s8, s0
	v_cvt_f16_f32_e32 v3, s0
	s_delay_alu instid0(VALU_DEP_1)
	v_and_b32_e32 v3, 0xffff, v3
	global_store_b32 v[0:1], v3, off
.LBB134_631:
	s_mov_b32 s0, 0
.LBB134_632:
	s_delay_alu instid0(SALU_CYCLE_1)
	s_and_not1_b32 vcc_lo, exec_lo, s0
	s_cbranch_vccnz .LBB134_641
; %bb.633:
	v_cmp_gt_i16_e32 vcc_lo, 6, v10
	s_mov_b32 s0, -1
	s_cbranch_vccnz .LBB134_639
; %bb.634:
	v_cmp_lt_i16_e32 vcc_lo, 6, v10
	s_cbranch_vccz .LBB134_636
; %bb.635:
	s_lshl_b32 s0, s7, 24
	s_delay_alu instid0(SALU_CYCLE_1)
	s_and_b32 s8, s0, 0x7f000000
	s_and_b32 s0, s0, 0x80000000
	s_clz_i32_u32 s9, s8
	s_add_i32 s11, s8, 0x1000000
	s_min_u32 s9, s9, 32
	s_ashr_i32 s11, s11, 8
	v_sub_nc_u32_e64 v3, s9, 4 clamp
	s_delay_alu instid0(VALU_DEP_1) | instskip(NEXT) | instid1(VALU_DEP_1)
	v_readfirstlane_b32 s9, v3
	s_lshl_b32 s10, s8, s9
	s_lshl_b32 s9, s9, 23
	s_lshr_b32 s10, s10, 4
	s_delay_alu instid0(SALU_CYCLE_1) | instskip(SKIP_2) | instid1(SALU_CYCLE_1)
	s_sub_i32 s9, s10, s9
	s_and_b32 s10, s11, 0x7f800000
	s_add_i32 s9, s9, 0x3c000000
	s_or_b32 s9, s9, s10
	s_cmp_lg_u32 s8, 0
	s_cselect_b32 s8, s9, 0
	s_delay_alu instid0(SALU_CYCLE_1) | instskip(NEXT) | instid1(SALU_CYCLE_1)
	s_or_b32 s0, s8, s0
	v_cvt_f64_f32_e32 v[3:4], s0
	s_mov_b32 s0, 0
	global_store_b64 v[0:1], v[3:4], off
.LBB134_636:
	s_and_not1_b32 vcc_lo, exec_lo, s0
	s_cbranch_vccnz .LBB134_638
; %bb.637:
	s_lshl_b32 s0, s7, 24
	s_delay_alu instid0(SALU_CYCLE_1)
	s_and_b32 s8, s0, 0x7f000000
	s_and_b32 s0, s0, 0x80000000
	s_clz_i32_u32 s9, s8
	s_add_i32 s11, s8, 0x1000000
	s_min_u32 s9, s9, 32
	s_ashr_i32 s11, s11, 8
	v_sub_nc_u32_e64 v3, s9, 4 clamp
	s_delay_alu instid0(VALU_DEP_1) | instskip(NEXT) | instid1(VALU_DEP_1)
	v_readfirstlane_b32 s9, v3
	s_lshl_b32 s10, s8, s9
	s_lshl_b32 s9, s9, 23
	s_lshr_b32 s10, s10, 4
	s_delay_alu instid0(SALU_CYCLE_1) | instskip(SKIP_2) | instid1(SALU_CYCLE_1)
	s_sub_i32 s9, s10, s9
	s_and_b32 s10, s11, 0x7f800000
	s_add_i32 s9, s9, 0x3c000000
	s_or_b32 s9, s9, s10
	s_cmp_lg_u32 s8, 0
	s_cselect_b32 s8, s9, 0
	s_delay_alu instid0(SALU_CYCLE_1) | instskip(NEXT) | instid1(SALU_CYCLE_1)
	s_or_b32 s0, s8, s0
	v_mov_b32_e32 v3, s0
	global_store_b32 v[0:1], v3, off
.LBB134_638:
	s_mov_b32 s0, 0
.LBB134_639:
	s_delay_alu instid0(SALU_CYCLE_1)
	s_and_not1_b32 vcc_lo, exec_lo, s0
	s_cbranch_vccnz .LBB134_641
; %bb.640:
	s_lshl_b32 s0, s7, 24
	s_delay_alu instid0(SALU_CYCLE_1)
	s_and_b32 s8, s0, 0x7f000000
	s_and_b32 s0, s0, 0x80000000
	s_clz_i32_u32 s9, s8
	s_add_i32 s11, s8, 0x1000000
	s_min_u32 s9, s9, 32
	s_ashr_i32 s11, s11, 8
	v_sub_nc_u32_e64 v3, s9, 4 clamp
	s_delay_alu instid0(VALU_DEP_1) | instskip(NEXT) | instid1(VALU_DEP_1)
	v_readfirstlane_b32 s9, v3
	s_lshl_b32 s10, s8, s9
	s_lshl_b32 s9, s9, 23
	s_lshr_b32 s10, s10, 4
	s_delay_alu instid0(SALU_CYCLE_1) | instskip(SKIP_2) | instid1(SALU_CYCLE_1)
	s_sub_i32 s9, s10, s9
	s_and_b32 s10, s11, 0x7f800000
	s_add_i32 s9, s9, 0x3c000000
	s_or_b32 s9, s9, s10
	s_cmp_lg_u32 s8, 0
	s_cselect_b32 s8, s9, 0
	s_delay_alu instid0(SALU_CYCLE_1) | instskip(NEXT) | instid1(SALU_CYCLE_1)
	s_or_b32 s0, s8, s0
	v_cvt_f16_f32_e32 v3, s0
	global_store_b16 v[0:1], v3, off
.LBB134_641:
	s_mov_b32 s0, 0
.LBB134_642:
	s_delay_alu instid0(SALU_CYCLE_1)
	s_and_not1_b32 vcc_lo, exec_lo, s0
	s_cbranch_vccnz .LBB134_658
; %bb.643:
	v_cmp_gt_i16_e32 vcc_lo, 2, v10
	s_mov_b32 s0, -1
	s_cbranch_vccnz .LBB134_653
; %bb.644:
	v_cmp_gt_i16_e32 vcc_lo, 3, v10
	s_cbranch_vccnz .LBB134_650
; %bb.645:
	v_cmp_lt_i16_e32 vcc_lo, 3, v10
	s_cbranch_vccz .LBB134_647
; %bb.646:
	s_lshl_b32 s0, s7, 24
	s_delay_alu instid0(SALU_CYCLE_1)
	s_and_b32 s8, s0, 0x7f000000
	s_and_b32 s0, s0, 0x80000000
	s_clz_i32_u32 s9, s8
	s_add_i32 s10, s8, 0x1000000
	s_min_u32 s9, s9, 32
	s_ashr_i32 s10, s10, 8
	v_sub_nc_u32_e64 v3, s9, 4 clamp
	s_and_b32 s10, s10, 0x7f800000
	s_delay_alu instid0(VALU_DEP_1) | instskip(NEXT) | instid1(VALU_DEP_1)
	v_readfirstlane_b32 s9, v3
	s_lshl_b32 s11, s8, s9
	s_lshl_b32 s9, s9, 23
	s_lshr_b32 s11, s11, 4
	s_delay_alu instid0(SALU_CYCLE_1) | instskip(NEXT) | instid1(SALU_CYCLE_1)
	s_sub_i32 s9, s11, s9
	s_add_i32 s9, s9, 0x3c000000
	s_delay_alu instid0(SALU_CYCLE_1) | instskip(SKIP_2) | instid1(SALU_CYCLE_1)
	s_or_b32 s9, s9, s10
	s_cmp_lg_u32 s8, 0
	s_cselect_b32 s8, s9, 0
	s_or_b32 s0, s8, s0
	s_delay_alu instid0(SALU_CYCLE_1) | instskip(SKIP_1) | instid1(VALU_DEP_1)
	v_trunc_f32_e32 v3, s0
	s_mov_b32 s0, 0
	v_mul_f32_e64 v4, 0x2f800000, |v3|
	v_ashrrev_i32_e32 v6, 31, v3
	s_delay_alu instid0(VALU_DEP_2) | instskip(NEXT) | instid1(VALU_DEP_1)
	v_floor_f32_e32 v4, v4
	v_fma_f32 v5, 0xcf800000, v4, |v3|
	v_cvt_u32_f32_e32 v4, v4
	s_delay_alu instid0(VALU_DEP_2) | instskip(NEXT) | instid1(VALU_DEP_2)
	v_cvt_u32_f32_e32 v3, v5
	v_xor_b32_e32 v4, v4, v6
	s_delay_alu instid0(VALU_DEP_2) | instskip(NEXT) | instid1(VALU_DEP_1)
	v_xor_b32_e32 v3, v3, v6
	v_sub_co_u32 v3, vcc_lo, v3, v6
	s_delay_alu instid0(VALU_DEP_3)
	v_sub_co_ci_u32_e32 v4, vcc_lo, v4, v6, vcc_lo
	global_store_b64 v[0:1], v[3:4], off
.LBB134_647:
	s_and_not1_b32 vcc_lo, exec_lo, s0
	s_cbranch_vccnz .LBB134_649
; %bb.648:
	s_lshl_b32 s0, s7, 24
	s_delay_alu instid0(SALU_CYCLE_1)
	s_and_b32 s8, s0, 0x7f000000
	s_and_b32 s0, s0, 0x80000000
	s_clz_i32_u32 s9, s8
	s_add_i32 s11, s8, 0x1000000
	s_min_u32 s9, s9, 32
	s_ashr_i32 s11, s11, 8
	v_sub_nc_u32_e64 v3, s9, 4 clamp
	s_delay_alu instid0(VALU_DEP_1) | instskip(NEXT) | instid1(VALU_DEP_1)
	v_readfirstlane_b32 s9, v3
	s_lshl_b32 s10, s8, s9
	s_lshl_b32 s9, s9, 23
	s_lshr_b32 s10, s10, 4
	s_delay_alu instid0(SALU_CYCLE_1) | instskip(SKIP_2) | instid1(SALU_CYCLE_1)
	s_sub_i32 s9, s10, s9
	s_and_b32 s10, s11, 0x7f800000
	s_add_i32 s9, s9, 0x3c000000
	s_or_b32 s9, s9, s10
	s_cmp_lg_u32 s8, 0
	s_cselect_b32 s8, s9, 0
	s_delay_alu instid0(SALU_CYCLE_1) | instskip(NEXT) | instid1(SALU_CYCLE_1)
	s_or_b32 s0, s8, s0
	v_cvt_i32_f32_e32 v3, s0
	global_store_b32 v[0:1], v3, off
.LBB134_649:
	s_mov_b32 s0, 0
.LBB134_650:
	s_delay_alu instid0(SALU_CYCLE_1)
	s_and_not1_b32 vcc_lo, exec_lo, s0
	s_cbranch_vccnz .LBB134_652
; %bb.651:
	s_lshl_b32 s0, s7, 24
	s_delay_alu instid0(SALU_CYCLE_1)
	s_and_b32 s8, s0, 0x7f000000
	s_and_b32 s0, s0, 0x80000000
	s_clz_i32_u32 s9, s8
	s_add_i32 s11, s8, 0x1000000
	s_min_u32 s9, s9, 32
	s_ashr_i32 s11, s11, 8
	v_sub_nc_u32_e64 v3, s9, 4 clamp
	s_delay_alu instid0(VALU_DEP_1) | instskip(NEXT) | instid1(VALU_DEP_1)
	v_readfirstlane_b32 s9, v3
	s_lshl_b32 s10, s8, s9
	s_lshl_b32 s9, s9, 23
	s_lshr_b32 s10, s10, 4
	s_delay_alu instid0(SALU_CYCLE_1) | instskip(SKIP_2) | instid1(SALU_CYCLE_1)
	s_sub_i32 s9, s10, s9
	s_and_b32 s10, s11, 0x7f800000
	s_add_i32 s9, s9, 0x3c000000
	s_or_b32 s9, s9, s10
	s_cmp_lg_u32 s8, 0
	s_cselect_b32 s8, s9, 0
	s_delay_alu instid0(SALU_CYCLE_1) | instskip(NEXT) | instid1(SALU_CYCLE_1)
	s_or_b32 s0, s8, s0
	v_cvt_i32_f32_e32 v3, s0
	global_store_b16 v[0:1], v3, off
.LBB134_652:
	s_mov_b32 s0, 0
.LBB134_653:
	s_delay_alu instid0(SALU_CYCLE_1)
	s_and_not1_b32 vcc_lo, exec_lo, s0
	s_cbranch_vccnz .LBB134_658
; %bb.654:
	v_cmp_lt_i16_e32 vcc_lo, 0, v10
	s_mov_b32 s0, -1
	s_cbranch_vccz .LBB134_656
; %bb.655:
	s_lshl_b32 s0, s7, 24
	s_delay_alu instid0(SALU_CYCLE_1)
	s_and_b32 s8, s0, 0x7f000000
	s_and_b32 s0, s0, 0x80000000
	s_clz_i32_u32 s9, s8
	s_add_i32 s11, s8, 0x1000000
	s_min_u32 s9, s9, 32
	s_ashr_i32 s11, s11, 8
	v_sub_nc_u32_e64 v3, s9, 4 clamp
	s_delay_alu instid0(VALU_DEP_1) | instskip(NEXT) | instid1(VALU_DEP_1)
	v_readfirstlane_b32 s9, v3
	s_lshl_b32 s10, s8, s9
	s_lshl_b32 s9, s9, 23
	s_lshr_b32 s10, s10, 4
	s_delay_alu instid0(SALU_CYCLE_1) | instskip(SKIP_2) | instid1(SALU_CYCLE_1)
	s_sub_i32 s9, s10, s9
	s_and_b32 s10, s11, 0x7f800000
	s_add_i32 s9, s9, 0x3c000000
	s_or_b32 s9, s9, s10
	s_cmp_lg_u32 s8, 0
	s_cselect_b32 s8, s9, 0
	s_delay_alu instid0(SALU_CYCLE_1) | instskip(NEXT) | instid1(SALU_CYCLE_1)
	s_or_b32 s0, s8, s0
	v_cvt_i32_f32_e32 v3, s0
	s_mov_b32 s0, 0
	global_store_b8 v[0:1], v3, off
.LBB134_656:
	s_and_not1_b32 vcc_lo, exec_lo, s0
	s_cbranch_vccnz .LBB134_658
; %bb.657:
	s_lshl_b32 s0, s7, 24
	s_delay_alu instid0(SALU_CYCLE_1)
	s_and_b32 s8, s0, 0x7f000000
	s_and_b32 s0, s0, 0x80000000
	s_clz_i32_u32 s9, s8
	s_add_i32 s10, s8, 0x1000000
	s_min_u32 s9, s9, 32
	s_ashr_i32 s10, s10, 8
	v_sub_nc_u32_e64 v3, s9, 4 clamp
	s_and_b32 s10, s10, 0x7f800000
	s_delay_alu instid0(VALU_DEP_1) | instskip(NEXT) | instid1(VALU_DEP_1)
	v_readfirstlane_b32 s9, v3
	s_lshl_b32 s11, s8, s9
	s_lshl_b32 s9, s9, 23
	s_lshr_b32 s11, s11, 4
	s_delay_alu instid0(SALU_CYCLE_1) | instskip(NEXT) | instid1(SALU_CYCLE_1)
	s_sub_i32 s9, s11, s9
	s_add_i32 s9, s9, 0x3c000000
	s_delay_alu instid0(SALU_CYCLE_1) | instskip(SKIP_2) | instid1(SALU_CYCLE_1)
	s_or_b32 s9, s9, s10
	s_cmp_lg_u32 s8, 0
	s_cselect_b32 s8, s9, 0
	s_or_b32 s0, s8, s0
	s_delay_alu instid0(SALU_CYCLE_1) | instskip(NEXT) | instid1(VALU_DEP_1)
	v_trunc_f32_e32 v3, s0
	v_mul_f32_e64 v4, 0x2f800000, |v3|
	s_delay_alu instid0(VALU_DEP_1) | instskip(NEXT) | instid1(VALU_DEP_1)
	v_floor_f32_e32 v4, v4
	v_fma_f32 v4, 0xcf800000, v4, |v3|
	v_ashrrev_i32_e32 v3, 31, v3
	s_delay_alu instid0(VALU_DEP_2) | instskip(NEXT) | instid1(VALU_DEP_1)
	v_cvt_u32_f32_e32 v4, v4
	v_xor_b32_e32 v4, v4, v3
	s_delay_alu instid0(VALU_DEP_1)
	v_sub_nc_u32_e32 v3, v4, v3
	global_store_b8 v[0:1], v3, off
.LBB134_658:
	s_branch .LBB134_757
.LBB134_659:
	s_mov_b32 s0, 0
	s_mov_b32 s4, 0
                                        ; implicit-def: $vgpr10
                                        ; implicit-def: $vgpr0_vgpr1
.LBB134_660:
	s_and_not1_b32 s1, s1, exec_lo
	s_and_b32 s5, s3, exec_lo
	s_and_b32 s0, s0, exec_lo
	;; [unrolled: 1-line block ×3, first 2 shown]
	s_or_b32 s1, s1, s5
.LBB134_661:
	s_or_b32 exec_lo, exec_lo, s2
	s_and_saveexec_b32 s2, s1
	s_cbranch_execz .LBB134_664
; %bb.662:
	; divergent unreachable
	s_or_b32 exec_lo, exec_lo, s2
	s_and_saveexec_b32 s1, s3
	s_delay_alu instid0(SALU_CYCLE_1)
	s_xor_b32 s1, exec_lo, s1
	s_cbranch_execnz .LBB134_665
.LBB134_663:
	s_or_b32 exec_lo, exec_lo, s1
	s_and_saveexec_b32 s1, s0
	s_cbranch_execnz .LBB134_666
	s_branch .LBB134_703
.LBB134_664:
	s_or_b32 exec_lo, exec_lo, s2
	s_and_saveexec_b32 s1, s3
	s_delay_alu instid0(SALU_CYCLE_1)
	s_xor_b32 s1, exec_lo, s1
	s_cbranch_execz .LBB134_663
.LBB134_665:
	s_lshl_b32 s2, s7, 24
	s_delay_alu instid0(SALU_CYCLE_1) | instskip(NEXT) | instid1(SALU_CYCLE_1)
	s_and_b32 s2, s2, 0x7f000000
	s_clz_i32_u32 s3, s2
	s_add_i32 s4, s2, 0x1000000
	s_min_u32 s3, s3, 32
	s_ashr_i32 s4, s4, 8
	v_sub_nc_u32_e64 v2, s3, 4 clamp
	s_and_b32 s4, s4, 0x7f800000
	s_delay_alu instid0(VALU_DEP_1) | instskip(NEXT) | instid1(VALU_DEP_1)
	v_readfirstlane_b32 s3, v2
	s_lshl_b32 s5, s2, s3
	s_lshl_b32 s3, s3, 23
	s_lshr_b32 s5, s5, 4
	s_delay_alu instid0(SALU_CYCLE_1) | instskip(NEXT) | instid1(SALU_CYCLE_1)
	s_sub_i32 s3, s5, s3
	s_add_i32 s3, s3, 0x3c000000
	s_cmp_lg_u32 s2, 0
	s_cselect_b32 s2, -1, 0
	s_and_b32 s3, s3, 0x7ff00000
	s_delay_alu instid0(SALU_CYCLE_1) | instskip(NEXT) | instid1(SALU_CYCLE_1)
	s_or_b32 s3, s3, s4
	s_cmp_lg_u32 s3, 0
	s_cselect_b32 s3, -1, 0
	s_delay_alu instid0(SALU_CYCLE_1) | instskip(NEXT) | instid1(SALU_CYCLE_1)
	s_and_b32 s2, s2, s3
	v_cndmask_b32_e64 v2, 0, 1, s2
	global_store_b8 v[0:1], v2, off
	s_or_b32 exec_lo, exec_lo, s1
	s_and_saveexec_b32 s1, s0
	s_cbranch_execz .LBB134_703
.LBB134_666:
	v_cmp_gt_i16_e32 vcc_lo, 5, v10
	s_mov_b32 s0, -1
	s_cbranch_vccnz .LBB134_687
; %bb.667:
	v_cmp_gt_i16_e32 vcc_lo, 8, v10
	s_cbranch_vccnz .LBB134_677
; %bb.668:
	v_cmp_gt_i16_e32 vcc_lo, 9, v10
	s_cbranch_vccnz .LBB134_674
; %bb.669:
	v_cmp_lt_i16_e32 vcc_lo, 9, v10
	s_cbranch_vccz .LBB134_671
; %bb.670:
	s_lshl_b32 s0, s7, 24
	v_mov_b32_e32 v4, 0
	s_and_b32 s1, s0, 0x7f000000
	s_and_b32 s0, s0, 0x80000000
	s_clz_i32_u32 s2, s1
	s_add_i32 s4, s1, 0x1000000
	s_min_u32 s2, s2, 32
	s_ashr_i32 s4, s4, 8
	v_sub_nc_u32_e64 v2, s2, 4 clamp
	v_mov_b32_e32 v5, v4
	s_delay_alu instid0(VALU_DEP_2) | instskip(NEXT) | instid1(VALU_DEP_1)
	v_readfirstlane_b32 s2, v2
	s_lshl_b32 s3, s1, s2
	s_lshl_b32 s2, s2, 23
	s_lshr_b32 s3, s3, 4
	s_delay_alu instid0(SALU_CYCLE_1) | instskip(SKIP_2) | instid1(SALU_CYCLE_1)
	s_sub_i32 s2, s3, s2
	s_and_b32 s3, s4, 0x7f800000
	s_add_i32 s2, s2, 0x3c000000
	s_or_b32 s2, s2, s3
	s_cmp_lg_u32 s1, 0
	s_cselect_b32 s1, s2, 0
	s_delay_alu instid0(SALU_CYCLE_1) | instskip(NEXT) | instid1(SALU_CYCLE_1)
	s_or_b32 s0, s1, s0
	v_cvt_f64_f32_e32 v[2:3], s0
	s_mov_b32 s0, 0
	global_store_b128 v[0:1], v[2:5], off
.LBB134_671:
	s_and_not1_b32 vcc_lo, exec_lo, s0
	s_cbranch_vccnz .LBB134_673
; %bb.672:
	s_lshl_b32 s0, s7, 24
	v_mov_b32_e32 v3, 0
	s_and_b32 s1, s0, 0x7f000000
	s_and_b32 s0, s0, 0x80000000
	s_clz_i32_u32 s2, s1
	s_add_i32 s3, s1, 0x1000000
	s_min_u32 s2, s2, 32
	s_ashr_i32 s3, s3, 8
	v_sub_nc_u32_e64 v2, s2, 4 clamp
	s_and_b32 s3, s3, 0x7f800000
	s_delay_alu instid0(VALU_DEP_1) | instskip(NEXT) | instid1(VALU_DEP_1)
	v_readfirstlane_b32 s2, v2
	s_lshl_b32 s4, s1, s2
	s_lshl_b32 s2, s2, 23
	s_lshr_b32 s4, s4, 4
	s_delay_alu instid0(SALU_CYCLE_1) | instskip(NEXT) | instid1(SALU_CYCLE_1)
	s_sub_i32 s2, s4, s2
	s_add_i32 s2, s2, 0x3c000000
	s_delay_alu instid0(SALU_CYCLE_1) | instskip(SKIP_2) | instid1(SALU_CYCLE_1)
	s_or_b32 s2, s2, s3
	s_cmp_lg_u32 s1, 0
	s_cselect_b32 s1, s2, 0
	s_or_b32 s0, s1, s0
	s_delay_alu instid0(SALU_CYCLE_1)
	v_mov_b32_e32 v2, s0
	global_store_b64 v[0:1], v[2:3], off
.LBB134_673:
	s_mov_b32 s0, 0
.LBB134_674:
	s_delay_alu instid0(SALU_CYCLE_1)
	s_and_not1_b32 vcc_lo, exec_lo, s0
	s_cbranch_vccnz .LBB134_676
; %bb.675:
	s_lshl_b32 s0, s7, 24
	s_delay_alu instid0(SALU_CYCLE_1)
	s_and_b32 s1, s0, 0x7f000000
	s_and_b32 s0, s0, 0x80000000
	s_clz_i32_u32 s2, s1
	s_add_i32 s4, s1, 0x1000000
	s_min_u32 s2, s2, 32
	s_ashr_i32 s4, s4, 8
	v_sub_nc_u32_e64 v2, s2, 4 clamp
	s_delay_alu instid0(VALU_DEP_1) | instskip(NEXT) | instid1(VALU_DEP_1)
	v_readfirstlane_b32 s2, v2
	s_lshl_b32 s3, s1, s2
	s_lshl_b32 s2, s2, 23
	s_lshr_b32 s3, s3, 4
	s_delay_alu instid0(SALU_CYCLE_1) | instskip(SKIP_2) | instid1(SALU_CYCLE_1)
	s_sub_i32 s2, s3, s2
	s_and_b32 s3, s4, 0x7f800000
	s_add_i32 s2, s2, 0x3c000000
	s_or_b32 s2, s2, s3
	s_cmp_lg_u32 s1, 0
	s_cselect_b32 s1, s2, 0
	s_delay_alu instid0(SALU_CYCLE_1) | instskip(NEXT) | instid1(SALU_CYCLE_1)
	s_or_b32 s0, s1, s0
	v_cvt_f16_f32_e32 v2, s0
	s_delay_alu instid0(VALU_DEP_1)
	v_and_b32_e32 v2, 0xffff, v2
	global_store_b32 v[0:1], v2, off
.LBB134_676:
	s_mov_b32 s0, 0
.LBB134_677:
	s_delay_alu instid0(SALU_CYCLE_1)
	s_and_not1_b32 vcc_lo, exec_lo, s0
	s_cbranch_vccnz .LBB134_686
; %bb.678:
	v_cmp_gt_i16_e32 vcc_lo, 6, v10
	s_mov_b32 s0, -1
	s_cbranch_vccnz .LBB134_684
; %bb.679:
	v_cmp_lt_i16_e32 vcc_lo, 6, v10
	s_cbranch_vccz .LBB134_681
; %bb.680:
	s_lshl_b32 s0, s7, 24
	s_delay_alu instid0(SALU_CYCLE_1)
	s_and_b32 s1, s0, 0x7f000000
	s_and_b32 s0, s0, 0x80000000
	s_clz_i32_u32 s2, s1
	s_add_i32 s4, s1, 0x1000000
	s_min_u32 s2, s2, 32
	s_ashr_i32 s4, s4, 8
	v_sub_nc_u32_e64 v2, s2, 4 clamp
	s_delay_alu instid0(VALU_DEP_1) | instskip(NEXT) | instid1(VALU_DEP_1)
	v_readfirstlane_b32 s2, v2
	s_lshl_b32 s3, s1, s2
	s_lshl_b32 s2, s2, 23
	s_lshr_b32 s3, s3, 4
	s_delay_alu instid0(SALU_CYCLE_1) | instskip(SKIP_2) | instid1(SALU_CYCLE_1)
	s_sub_i32 s2, s3, s2
	s_and_b32 s3, s4, 0x7f800000
	s_add_i32 s2, s2, 0x3c000000
	s_or_b32 s2, s2, s3
	s_cmp_lg_u32 s1, 0
	s_cselect_b32 s1, s2, 0
	s_delay_alu instid0(SALU_CYCLE_1) | instskip(NEXT) | instid1(SALU_CYCLE_1)
	s_or_b32 s0, s1, s0
	v_cvt_f64_f32_e32 v[2:3], s0
	s_mov_b32 s0, 0
	global_store_b64 v[0:1], v[2:3], off
.LBB134_681:
	s_and_not1_b32 vcc_lo, exec_lo, s0
	s_cbranch_vccnz .LBB134_683
; %bb.682:
	s_lshl_b32 s0, s7, 24
	s_delay_alu instid0(SALU_CYCLE_1)
	s_and_b32 s1, s0, 0x7f000000
	s_and_b32 s0, s0, 0x80000000
	s_clz_i32_u32 s2, s1
	s_add_i32 s4, s1, 0x1000000
	s_min_u32 s2, s2, 32
	s_ashr_i32 s4, s4, 8
	v_sub_nc_u32_e64 v2, s2, 4 clamp
	s_delay_alu instid0(VALU_DEP_1) | instskip(NEXT) | instid1(VALU_DEP_1)
	v_readfirstlane_b32 s2, v2
	s_lshl_b32 s3, s1, s2
	s_lshl_b32 s2, s2, 23
	s_lshr_b32 s3, s3, 4
	s_delay_alu instid0(SALU_CYCLE_1) | instskip(SKIP_2) | instid1(SALU_CYCLE_1)
	s_sub_i32 s2, s3, s2
	s_and_b32 s3, s4, 0x7f800000
	s_add_i32 s2, s2, 0x3c000000
	s_or_b32 s2, s2, s3
	s_cmp_lg_u32 s1, 0
	s_cselect_b32 s1, s2, 0
	s_delay_alu instid0(SALU_CYCLE_1) | instskip(NEXT) | instid1(SALU_CYCLE_1)
	s_or_b32 s0, s1, s0
	v_mov_b32_e32 v2, s0
	global_store_b32 v[0:1], v2, off
.LBB134_683:
	s_mov_b32 s0, 0
.LBB134_684:
	s_delay_alu instid0(SALU_CYCLE_1)
	s_and_not1_b32 vcc_lo, exec_lo, s0
	s_cbranch_vccnz .LBB134_686
; %bb.685:
	s_lshl_b32 s0, s7, 24
	s_delay_alu instid0(SALU_CYCLE_1)
	s_and_b32 s1, s0, 0x7f000000
	s_and_b32 s0, s0, 0x80000000
	s_clz_i32_u32 s2, s1
	s_add_i32 s4, s1, 0x1000000
	s_min_u32 s2, s2, 32
	s_ashr_i32 s4, s4, 8
	v_sub_nc_u32_e64 v2, s2, 4 clamp
	s_delay_alu instid0(VALU_DEP_1) | instskip(NEXT) | instid1(VALU_DEP_1)
	v_readfirstlane_b32 s2, v2
	s_lshl_b32 s3, s1, s2
	s_lshl_b32 s2, s2, 23
	s_lshr_b32 s3, s3, 4
	s_delay_alu instid0(SALU_CYCLE_1) | instskip(SKIP_2) | instid1(SALU_CYCLE_1)
	s_sub_i32 s2, s3, s2
	s_and_b32 s3, s4, 0x7f800000
	s_add_i32 s2, s2, 0x3c000000
	s_or_b32 s2, s2, s3
	s_cmp_lg_u32 s1, 0
	s_cselect_b32 s1, s2, 0
	s_delay_alu instid0(SALU_CYCLE_1) | instskip(NEXT) | instid1(SALU_CYCLE_1)
	s_or_b32 s0, s1, s0
	v_cvt_f16_f32_e32 v2, s0
	global_store_b16 v[0:1], v2, off
.LBB134_686:
	s_mov_b32 s0, 0
.LBB134_687:
	s_delay_alu instid0(SALU_CYCLE_1)
	s_and_not1_b32 vcc_lo, exec_lo, s0
	s_cbranch_vccnz .LBB134_703
; %bb.688:
	v_cmp_gt_i16_e32 vcc_lo, 2, v10
	s_mov_b32 s0, -1
	s_cbranch_vccnz .LBB134_698
; %bb.689:
	v_cmp_gt_i16_e32 vcc_lo, 3, v10
	s_cbranch_vccnz .LBB134_695
; %bb.690:
	v_cmp_lt_i16_e32 vcc_lo, 3, v10
	s_cbranch_vccz .LBB134_692
; %bb.691:
	s_lshl_b32 s0, s7, 24
	s_delay_alu instid0(SALU_CYCLE_1)
	s_and_b32 s1, s0, 0x7f000000
	s_and_b32 s0, s0, 0x80000000
	s_clz_i32_u32 s2, s1
	s_add_i32 s3, s1, 0x1000000
	s_min_u32 s2, s2, 32
	s_ashr_i32 s3, s3, 8
	v_sub_nc_u32_e64 v2, s2, 4 clamp
	s_and_b32 s3, s3, 0x7f800000
	s_delay_alu instid0(VALU_DEP_1) | instskip(NEXT) | instid1(VALU_DEP_1)
	v_readfirstlane_b32 s2, v2
	s_lshl_b32 s4, s1, s2
	s_lshl_b32 s2, s2, 23
	s_lshr_b32 s4, s4, 4
	s_delay_alu instid0(SALU_CYCLE_1) | instskip(NEXT) | instid1(SALU_CYCLE_1)
	s_sub_i32 s2, s4, s2
	s_add_i32 s2, s2, 0x3c000000
	s_delay_alu instid0(SALU_CYCLE_1) | instskip(SKIP_2) | instid1(SALU_CYCLE_1)
	s_or_b32 s2, s2, s3
	s_cmp_lg_u32 s1, 0
	s_cselect_b32 s1, s2, 0
	s_or_b32 s0, s1, s0
	s_delay_alu instid0(SALU_CYCLE_1) | instskip(SKIP_1) | instid1(VALU_DEP_1)
	v_trunc_f32_e32 v2, s0
	s_mov_b32 s0, 0
	v_mul_f32_e64 v3, 0x2f800000, |v2|
	v_ashrrev_i32_e32 v5, 31, v2
	s_delay_alu instid0(VALU_DEP_2) | instskip(NEXT) | instid1(VALU_DEP_1)
	v_floor_f32_e32 v3, v3
	v_fma_f32 v4, 0xcf800000, v3, |v2|
	v_cvt_u32_f32_e32 v3, v3
	s_delay_alu instid0(VALU_DEP_2) | instskip(NEXT) | instid1(VALU_DEP_2)
	v_cvt_u32_f32_e32 v2, v4
	v_xor_b32_e32 v3, v3, v5
	s_delay_alu instid0(VALU_DEP_2) | instskip(NEXT) | instid1(VALU_DEP_1)
	v_xor_b32_e32 v2, v2, v5
	v_sub_co_u32 v2, vcc_lo, v2, v5
	s_delay_alu instid0(VALU_DEP_3)
	v_sub_co_ci_u32_e32 v3, vcc_lo, v3, v5, vcc_lo
	global_store_b64 v[0:1], v[2:3], off
.LBB134_692:
	s_and_not1_b32 vcc_lo, exec_lo, s0
	s_cbranch_vccnz .LBB134_694
; %bb.693:
	s_lshl_b32 s0, s7, 24
	s_delay_alu instid0(SALU_CYCLE_1)
	s_and_b32 s1, s0, 0x7f000000
	s_and_b32 s0, s0, 0x80000000
	s_clz_i32_u32 s2, s1
	s_add_i32 s4, s1, 0x1000000
	s_min_u32 s2, s2, 32
	s_ashr_i32 s4, s4, 8
	v_sub_nc_u32_e64 v2, s2, 4 clamp
	s_delay_alu instid0(VALU_DEP_1) | instskip(NEXT) | instid1(VALU_DEP_1)
	v_readfirstlane_b32 s2, v2
	s_lshl_b32 s3, s1, s2
	s_lshl_b32 s2, s2, 23
	s_lshr_b32 s3, s3, 4
	s_delay_alu instid0(SALU_CYCLE_1) | instskip(SKIP_2) | instid1(SALU_CYCLE_1)
	s_sub_i32 s2, s3, s2
	s_and_b32 s3, s4, 0x7f800000
	s_add_i32 s2, s2, 0x3c000000
	s_or_b32 s2, s2, s3
	s_cmp_lg_u32 s1, 0
	s_cselect_b32 s1, s2, 0
	s_delay_alu instid0(SALU_CYCLE_1) | instskip(NEXT) | instid1(SALU_CYCLE_1)
	s_or_b32 s0, s1, s0
	v_cvt_i32_f32_e32 v2, s0
	global_store_b32 v[0:1], v2, off
.LBB134_694:
	s_mov_b32 s0, 0
.LBB134_695:
	s_delay_alu instid0(SALU_CYCLE_1)
	s_and_not1_b32 vcc_lo, exec_lo, s0
	s_cbranch_vccnz .LBB134_697
; %bb.696:
	s_lshl_b32 s0, s7, 24
	s_delay_alu instid0(SALU_CYCLE_1)
	s_and_b32 s1, s0, 0x7f000000
	s_and_b32 s0, s0, 0x80000000
	s_clz_i32_u32 s2, s1
	s_add_i32 s4, s1, 0x1000000
	s_min_u32 s2, s2, 32
	s_ashr_i32 s4, s4, 8
	v_sub_nc_u32_e64 v2, s2, 4 clamp
	s_delay_alu instid0(VALU_DEP_1) | instskip(NEXT) | instid1(VALU_DEP_1)
	v_readfirstlane_b32 s2, v2
	s_lshl_b32 s3, s1, s2
	s_lshl_b32 s2, s2, 23
	s_lshr_b32 s3, s3, 4
	s_delay_alu instid0(SALU_CYCLE_1) | instskip(SKIP_2) | instid1(SALU_CYCLE_1)
	s_sub_i32 s2, s3, s2
	s_and_b32 s3, s4, 0x7f800000
	s_add_i32 s2, s2, 0x3c000000
	s_or_b32 s2, s2, s3
	s_cmp_lg_u32 s1, 0
	s_cselect_b32 s1, s2, 0
	s_delay_alu instid0(SALU_CYCLE_1) | instskip(NEXT) | instid1(SALU_CYCLE_1)
	s_or_b32 s0, s1, s0
	v_cvt_i32_f32_e32 v2, s0
	global_store_b16 v[0:1], v2, off
.LBB134_697:
	s_mov_b32 s0, 0
.LBB134_698:
	s_delay_alu instid0(SALU_CYCLE_1)
	s_and_not1_b32 vcc_lo, exec_lo, s0
	s_cbranch_vccnz .LBB134_703
; %bb.699:
	v_cmp_lt_i16_e32 vcc_lo, 0, v10
	s_mov_b32 s0, -1
	s_cbranch_vccz .LBB134_701
; %bb.700:
	s_lshl_b32 s0, s7, 24
	s_delay_alu instid0(SALU_CYCLE_1)
	s_and_b32 s1, s0, 0x7f000000
	s_and_b32 s0, s0, 0x80000000
	s_clz_i32_u32 s2, s1
	s_add_i32 s4, s1, 0x1000000
	s_min_u32 s2, s2, 32
	s_ashr_i32 s4, s4, 8
	v_sub_nc_u32_e64 v2, s2, 4 clamp
	s_delay_alu instid0(VALU_DEP_1) | instskip(NEXT) | instid1(VALU_DEP_1)
	v_readfirstlane_b32 s2, v2
	s_lshl_b32 s3, s1, s2
	s_lshl_b32 s2, s2, 23
	s_lshr_b32 s3, s3, 4
	s_delay_alu instid0(SALU_CYCLE_1) | instskip(SKIP_2) | instid1(SALU_CYCLE_1)
	s_sub_i32 s2, s3, s2
	s_and_b32 s3, s4, 0x7f800000
	s_add_i32 s2, s2, 0x3c000000
	s_or_b32 s2, s2, s3
	s_cmp_lg_u32 s1, 0
	s_cselect_b32 s1, s2, 0
	s_delay_alu instid0(SALU_CYCLE_1) | instskip(NEXT) | instid1(SALU_CYCLE_1)
	s_or_b32 s0, s1, s0
	v_cvt_i32_f32_e32 v2, s0
	s_mov_b32 s0, 0
	global_store_b8 v[0:1], v2, off
.LBB134_701:
	s_and_not1_b32 vcc_lo, exec_lo, s0
	s_cbranch_vccnz .LBB134_703
; %bb.702:
	s_lshl_b32 s0, s7, 24
	s_delay_alu instid0(SALU_CYCLE_1)
	s_and_b32 s1, s0, 0x7f000000
	s_and_b32 s0, s0, 0x80000000
	s_clz_i32_u32 s2, s1
	s_add_i32 s3, s1, 0x1000000
	s_min_u32 s2, s2, 32
	s_ashr_i32 s3, s3, 8
	v_sub_nc_u32_e64 v2, s2, 4 clamp
	s_and_b32 s3, s3, 0x7f800000
	s_delay_alu instid0(VALU_DEP_1) | instskip(NEXT) | instid1(VALU_DEP_1)
	v_readfirstlane_b32 s2, v2
	s_lshl_b32 s4, s1, s2
	s_lshl_b32 s2, s2, 23
	s_lshr_b32 s4, s4, 4
	s_delay_alu instid0(SALU_CYCLE_1) | instskip(NEXT) | instid1(SALU_CYCLE_1)
	s_sub_i32 s2, s4, s2
	s_add_i32 s2, s2, 0x3c000000
	s_delay_alu instid0(SALU_CYCLE_1) | instskip(SKIP_2) | instid1(SALU_CYCLE_1)
	s_or_b32 s2, s2, s3
	s_cmp_lg_u32 s1, 0
	s_cselect_b32 s1, s2, 0
	s_or_b32 s0, s1, s0
	s_delay_alu instid0(SALU_CYCLE_1) | instskip(NEXT) | instid1(VALU_DEP_1)
	v_trunc_f32_e32 v2, s0
	v_mul_f32_e64 v3, 0x2f800000, |v2|
	s_delay_alu instid0(VALU_DEP_1) | instskip(NEXT) | instid1(VALU_DEP_1)
	v_floor_f32_e32 v3, v3
	v_fma_f32 v3, 0xcf800000, v3, |v2|
	v_ashrrev_i32_e32 v2, 31, v2
	s_delay_alu instid0(VALU_DEP_2) | instskip(NEXT) | instid1(VALU_DEP_1)
	v_cvt_u32_f32_e32 v3, v3
	v_xor_b32_e32 v3, v3, v2
	s_delay_alu instid0(VALU_DEP_1)
	v_sub_nc_u32_e32 v2, v3, v2
	global_store_b8 v[0:1], v2, off
	s_nop 0
	s_sendmsg sendmsg(MSG_DEALLOC_VGPRS)
	s_endpgm
.LBB134_703:
	s_nop 0
	s_sendmsg sendmsg(MSG_DEALLOC_VGPRS)
	s_endpgm
.LBB134_704:
	s_cbranch_execnz .LBB134_706
; %bb.705:
	s_or_b32 s3, s3, exec_lo
	s_cbranch_execz .LBB134_589
	s_branch .LBB134_590
.LBB134_706:
	s_trap 2
	s_sendmsg_rtn_b32 s0, sendmsg(MSG_RTN_GET_DOORBELL)
	s_mov_b32 ttmp2, m0
	s_waitcnt lgkmcnt(0)
	s_and_b32 s0, s0, 0x3ff
	s_delay_alu instid0(SALU_CYCLE_1) | instskip(NEXT) | instid1(SALU_CYCLE_1)
	s_bitset1_b32 s0, 10
	s_mov_b32 m0, s0
	s_sendmsg sendmsg(MSG_INTERRUPT)
	s_mov_b32 m0, ttmp2
.LBB134_707:                            ; =>This Inner Loop Header: Depth=1
	s_sethalt 5
	s_branch .LBB134_707
.LBB134_708:
	s_mov_b32 s11, -1
                                        ; implicit-def: $sgpr12
.LBB134_709:
	v_mov_b32_e32 v3, s12
	s_and_not1_b32 vcc_lo, exec_lo, s11
                                        ; implicit-def: $sgpr11
	s_cbranch_vccnz .LBB134_711
; %bb.710:
	v_add_f32_e64 v3, 0x46000000, |s9|
	s_mov_b32 s11, 0
	s_delay_alu instid0(VALU_DEP_1) | instskip(NEXT) | instid1(VALU_DEP_1)
	v_and_b32_e32 v3, 0xff, v3
	v_cmp_ne_u32_e64 s10, 0, v3
.LBB134_711:
	v_mov_b32_e32 v4, s11
	s_delay_alu instid0(VALU_DEP_2)
	s_and_not1_b32 vcc_lo, exec_lo, s10
	s_cbranch_vccnz .LBB134_713
; %bb.712:
	s_lshr_b32 s9, s9, 24
	s_delay_alu instid0(SALU_CYCLE_1) | instskip(NEXT) | instid1(SALU_CYCLE_1)
	s_and_b32 s9, s9, 0x80
	v_or_b32_e32 v4, s9, v3
.LBB134_713:
	global_store_b8 v[0:1], v4, off
.LBB134_714:
	s_mov_b32 s9, -1
.LBB134_715:
	s_mov_b32 s10, 0
.LBB134_716:
	s_delay_alu instid0(SALU_CYCLE_1)
	s_and_b32 vcc_lo, exec_lo, s10
	s_cbranch_vccz .LBB134_752
; %bb.717:
	v_cmp_lt_i16_e32 vcc_lo, 22, v10
	s_mov_b32 s8, -1
	s_cbranch_vccz .LBB134_745
; %bb.718:
	v_cmp_gt_i16_e32 vcc_lo, 24, v10
	s_cbranch_vccnz .LBB134_732
; %bb.719:
	v_cmp_lt_i16_e32 vcc_lo, 24, v10
	s_cbranch_vccz .LBB134_729
; %bb.720:
	s_lshl_b32 s8, s7, 24
	v_mov_b32_e32 v4, 0x80
	s_and_b32 s9, s8, 0x7f000000
	s_and_b32 s8, s8, 0x80000000
	s_clz_i32_u32 s10, s9
	s_add_i32 s11, s9, 0x1000000
	s_min_u32 s10, s10, 32
	s_ashr_i32 s11, s11, 8
	v_sub_nc_u32_e64 v3, s10, 4 clamp
	s_and_b32 s11, s11, 0x7f800000
	s_delay_alu instid0(VALU_DEP_1) | instskip(NEXT) | instid1(VALU_DEP_1)
	v_readfirstlane_b32 s10, v3
	s_lshl_b32 s12, s9, s10
	s_lshl_b32 s10, s10, 23
	s_lshr_b32 s12, s12, 4
	s_delay_alu instid0(SALU_CYCLE_1) | instskip(NEXT) | instid1(SALU_CYCLE_1)
	s_sub_i32 s10, s12, s10
	s_add_i32 s10, s10, 0x3c000000
	s_delay_alu instid0(SALU_CYCLE_1) | instskip(SKIP_2) | instid1(SALU_CYCLE_1)
	s_or_b32 s10, s10, s11
	s_cmp_lg_u32 s9, 0
	s_cselect_b32 s10, s10, 0
	s_or_b32 s9, s10, s8
	s_mov_b32 s8, 0
	s_and_b32 s11, s9, 0x7fffffff
	s_delay_alu instid0(SALU_CYCLE_1)
	s_cmp_gt_u32 s11, 0x477fffff
	s_cbranch_scc1 .LBB134_728
; %bb.721:
	s_cmp_gt_u32 s11, 0x37ffffff
	s_cbranch_scc0 .LBB134_723
; %bb.722:
	s_bfe_u32 s10, s10, 0x10015
	s_mov_b32 s11, 0
	s_add_i32 s10, s9, s10
	s_delay_alu instid0(SALU_CYCLE_1) | instskip(NEXT) | instid1(SALU_CYCLE_1)
	s_add_i32 s10, s10, 0x88fffff
	s_lshr_b32 s12, s10, 21
	s_mov_b32 s10, -1
	s_branch .LBB134_724
.LBB134_723:
	s_mov_b32 s11, -1
	s_mov_b32 s10, 0
                                        ; implicit-def: $sgpr12
.LBB134_724:
	v_mov_b32_e32 v3, s12
	s_and_not1_b32 vcc_lo, exec_lo, s11
                                        ; implicit-def: $sgpr11
	s_cbranch_vccnz .LBB134_726
; %bb.725:
	v_add_f32_e64 v3, 0x42800000, |s9|
	s_mov_b32 s11, 0
	s_delay_alu instid0(VALU_DEP_1) | instskip(NEXT) | instid1(VALU_DEP_1)
	v_and_b32_e32 v3, 0xff, v3
	v_cmp_ne_u32_e64 s10, 0, v3
.LBB134_726:
	v_mov_b32_e32 v4, s11
	s_delay_alu instid0(VALU_DEP_2)
	s_and_not1_b32 vcc_lo, exec_lo, s10
	s_cbranch_vccnz .LBB134_728
; %bb.727:
	s_lshr_b32 s9, s9, 24
	s_delay_alu instid0(SALU_CYCLE_1) | instskip(NEXT) | instid1(SALU_CYCLE_1)
	s_and_b32 s9, s9, 0x80
	v_or_b32_e32 v4, s9, v3
.LBB134_728:
	global_store_b8 v[0:1], v4, off
.LBB134_729:
	s_and_b32 vcc_lo, exec_lo, s8
	s_cbranch_vccz .LBB134_731
; %bb.730:
	v_mov_b32_e32 v3, s7
	global_store_b8 v[0:1], v3, off
.LBB134_731:
	s_mov_b32 s8, 0
.LBB134_732:
	s_delay_alu instid0(SALU_CYCLE_1)
	s_and_not1_b32 vcc_lo, exec_lo, s8
	s_cbranch_vccnz .LBB134_744
; %bb.733:
	s_lshl_b32 s8, s7, 24
	s_delay_alu instid0(SALU_CYCLE_1)
	s_and_b32 s9, s8, 0x7f000000
	s_and_b32 s8, s8, 0x80000000
	s_clz_i32_u32 s10, s9
	s_add_i32 s12, s9, 0x1000000
	s_min_u32 s10, s10, 32
	s_ashr_i32 s12, s12, 8
	v_sub_nc_u32_e64 v3, s10, 4 clamp
	s_delay_alu instid0(VALU_DEP_1) | instskip(NEXT) | instid1(VALU_DEP_1)
	v_readfirstlane_b32 s10, v3
	s_lshl_b32 s11, s9, s10
	s_lshl_b32 s10, s10, 23
	s_lshr_b32 s11, s11, 4
	s_delay_alu instid0(SALU_CYCLE_1) | instskip(SKIP_2) | instid1(SALU_CYCLE_1)
	s_sub_i32 s10, s11, s10
	s_and_b32 s11, s12, 0x7f800000
	s_add_i32 s10, s10, 0x3c000000
	s_or_b32 s10, s10, s11
	s_cmp_lg_u32 s9, 0
	s_cselect_b32 s10, s10, 0
	s_delay_alu instid0(SALU_CYCLE_1) | instskip(NEXT) | instid1(SALU_CYCLE_1)
	s_or_b32 s8, s10, s8
	s_and_b32 s9, s8, 0x7fffffff
	s_delay_alu instid0(SALU_CYCLE_1)
	s_cmp_lt_u32 s9, 0x47800000
	s_cbranch_scc0 .LBB134_736
; %bb.734:
	s_cmp_gt_u32 s9, 0x387fffff
	s_cbranch_scc0 .LBB134_737
; %bb.735:
	s_bfe_u32 s10, s10, 0x10015
	s_delay_alu instid0(SALU_CYCLE_1) | instskip(NEXT) | instid1(SALU_CYCLE_1)
	s_add_i32 s10, s8, s10
	s_add_i32 s10, s10, 0x80fffff
	s_delay_alu instid0(SALU_CYCLE_1)
	s_lshr_b32 s11, s10, 21
	s_mov_b32 s10, 0
	s_branch .LBB134_738
.LBB134_736:
	s_mov_b32 s10, -1
                                        ; implicit-def: $vgpr3
	s_branch .LBB134_741
.LBB134_737:
	s_mov_b32 s10, -1
                                        ; implicit-def: $sgpr11
.LBB134_738:
	v_mov_b32_e32 v3, s11
	s_and_not1_b32 vcc_lo, exec_lo, s10
	s_cbranch_vccnz .LBB134_740
; %bb.739:
	v_add_f32_e64 v3, 0x43000000, |s8|
.LBB134_740:
	s_mov_b32 s10, 0
.LBB134_741:
	s_delay_alu instid0(SALU_CYCLE_1)
	s_and_not1_b32 vcc_lo, exec_lo, s10
	s_cbranch_vccnz .LBB134_743
; %bb.742:
	s_cmp_gt_u32 s9, 0x7f800000
	s_movk_i32 s9, 0x7f
	s_delay_alu instid0(SALU_CYCLE_1) | instskip(NEXT) | instid1(SALU_CYCLE_1)
	s_cselect_b32 s9, s9, 0x7c
	v_mov_b32_e32 v3, s9
.LBB134_743:
	s_lshr_b32 s8, s8, 24
	s_delay_alu instid0(SALU_CYCLE_1)
	s_and_b32 s8, s8, 0x80
	s_delay_alu instid0(VALU_DEP_1) | instid1(SALU_CYCLE_1)
	v_or_b32_e32 v3, s8, v3
	global_store_b8 v[0:1], v3, off
.LBB134_744:
	s_mov_b32 s8, 0
	s_mov_b32 s9, -1
.LBB134_745:
	s_and_not1_b32 vcc_lo, exec_lo, s8
	s_mov_b32 s8, 0
	s_cbranch_vccnz .LBB134_752
; %bb.746:
	v_cmp_lt_i16_e32 vcc_lo, 14, v10
	s_mov_b32 s8, -1
	s_cbranch_vccz .LBB134_750
; %bb.747:
	v_cmp_eq_u16_e32 vcc_lo, 15, v10
	s_mov_b32 s0, -1
	s_cbranch_vccz .LBB134_749
; %bb.748:
	s_lshl_b32 s0, s7, 24
	s_delay_alu instid0(SALU_CYCLE_1)
	s_and_b32 s8, s0, 0x7f000000
	s_and_b32 s0, s0, 0x80000000
	s_clz_i32_u32 s9, s8
	s_add_i32 s10, s8, 0x1000000
	s_min_u32 s9, s9, 32
	s_ashr_i32 s10, s10, 8
	v_sub_nc_u32_e64 v3, s9, 4 clamp
	s_and_b32 s10, s10, 0x7f800000
	s_delay_alu instid0(VALU_DEP_1) | instskip(NEXT) | instid1(VALU_DEP_1)
	v_readfirstlane_b32 s9, v3
	s_lshl_b32 s11, s8, s9
	s_lshl_b32 s9, s9, 23
	s_lshr_b32 s11, s11, 4
	s_delay_alu instid0(SALU_CYCLE_1) | instskip(NEXT) | instid1(SALU_CYCLE_1)
	s_sub_i32 s9, s11, s9
	s_add_i32 s9, s9, 0x3c000000
	s_delay_alu instid0(SALU_CYCLE_1)
	s_or_b32 s9, s9, s10
	s_cmp_lg_u32 s8, 0
	s_cselect_b32 s8, s9, 0
	s_mov_b32 s9, -1
	s_or_b32 s0, s8, s0
	s_bfe_u32 s8, s8, 0x10010
	s_delay_alu instid0(SALU_CYCLE_1) | instskip(SKIP_2) | instid1(SALU_CYCLE_1)
	s_add_i32 s8, s0, s8
	v_cmp_o_f32_e64 s0, s0, s0
	s_addk_i32 s8, 0x7fff
	s_lshr_b32 s8, s8, 16
	s_delay_alu instid0(VALU_DEP_1) | instskip(SKIP_1) | instid1(SALU_CYCLE_1)
	s_and_b32 s0, s0, exec_lo
	s_cselect_b32 s0, s8, 0x7fc0
	v_mov_b32_e32 v3, s0
	s_mov_b32 s0, 0
	global_store_b16 v[0:1], v3, off
.LBB134_749:
	s_mov_b32 s8, 0
.LBB134_750:
	s_delay_alu instid0(SALU_CYCLE_1)
	s_and_b32 vcc_lo, exec_lo, s8
	s_mov_b32 s8, 0
	s_cbranch_vccz .LBB134_752
; %bb.751:
	v_cmp_ne_u16_e64 s0, 11, v10
	s_mov_b32 s8, -1
.LBB134_752:
	s_delay_alu instid0(VALU_DEP_1)
	s_and_b32 vcc_lo, exec_lo, s0
	s_cbranch_vccnz .LBB134_787
; %bb.753:
	s_and_not1_b32 vcc_lo, exec_lo, s8
	s_cbranch_vccnz .LBB134_755
.LBB134_754:
	s_lshl_b32 s0, s7, 24
	s_delay_alu instid0(SALU_CYCLE_1) | instskip(NEXT) | instid1(SALU_CYCLE_1)
	s_and_b32 s0, s0, 0x7f000000
	s_clz_i32_u32 s8, s0
	s_add_i32 s9, s0, 0x1000000
	s_min_u32 s8, s8, 32
	s_ashr_i32 s9, s9, 8
	v_sub_nc_u32_e64 v3, s8, 4 clamp
	s_and_b32 s9, s9, 0x7f800000
	s_delay_alu instid0(VALU_DEP_1) | instskip(NEXT) | instid1(VALU_DEP_1)
	v_readfirstlane_b32 s8, v3
	s_lshl_b32 s10, s0, s8
	s_lshl_b32 s8, s8, 23
	s_lshr_b32 s10, s10, 4
	s_delay_alu instid0(SALU_CYCLE_1) | instskip(NEXT) | instid1(SALU_CYCLE_1)
	s_sub_i32 s8, s10, s8
	s_add_i32 s8, s8, 0x3c000000
	s_cmp_lg_u32 s0, 0
	s_cselect_b32 s0, -1, 0
	s_and_b32 s8, s8, 0x7ff00000
	s_delay_alu instid0(SALU_CYCLE_1) | instskip(SKIP_3) | instid1(SALU_CYCLE_1)
	s_or_b32 s8, s8, s9
	s_mov_b32 s9, -1
	s_cmp_lg_u32 s8, 0
	s_cselect_b32 s8, -1, 0
	s_and_b32 s0, s0, s8
	s_delay_alu instid0(SALU_CYCLE_1)
	v_cndmask_b32_e64 v3, 0, 1, s0
	global_store_b8 v[0:1], v3, off
.LBB134_755:
.LBB134_756:
	s_and_not1_b32 vcc_lo, exec_lo, s9
	s_cbranch_vccnz .LBB134_659
.LBB134_757:
	v_add_nc_u32_e32 v0, s6, v2
	v_cmp_gt_i16_e32 vcc_lo, 11, v10
	s_delay_alu instid0(VALU_DEP_2) | instskip(SKIP_1) | instid1(VALU_DEP_1)
	v_ashrrev_i32_e32 v1, 31, v0
	v_add_co_u32 v0, s0, s4, v0
	v_add_co_ci_u32_e64 v1, s0, s5, v1, s0
	s_cbranch_vccnz .LBB134_786
; %bb.758:
	v_cmp_lt_i16_e32 vcc_lo, 25, v10
	s_mov_b32 s5, -1
	s_mov_b32 s4, 0
	s_mov_b32 s0, 0
	s_cbranch_vccz .LBB134_798
; %bb.759:
	v_cmp_lt_i16_e32 vcc_lo, 28, v10
	s_cbranch_vccz .LBB134_775
; %bb.760:
	v_cmp_lt_i16_e32 vcc_lo, 43, v10
	;; [unrolled: 3-line block ×3, first 2 shown]
	s_cbranch_vccz .LBB134_765
; %bb.762:
	v_cmp_eq_u16_e32 vcc_lo, 46, v10
	s_mov_b32 s0, -1
	s_cbranch_vccz .LBB134_764
; %bb.763:
	s_lshl_b32 s0, s7, 24
	s_delay_alu instid0(SALU_CYCLE_1)
	s_and_b32 s5, s0, 0x7f000000
	s_and_b32 s0, s0, 0x80000000
	s_clz_i32_u32 s6, s5
	s_add_i32 s8, s5, 0x1000000
	s_min_u32 s6, s6, 32
	s_ashr_i32 s8, s8, 8
	v_sub_nc_u32_e64 v2, s6, 4 clamp
	s_and_b32 s8, s8, 0x7f800000
	s_delay_alu instid0(VALU_DEP_1) | instskip(NEXT) | instid1(VALU_DEP_1)
	v_readfirstlane_b32 s6, v2
	s_lshl_b32 s9, s5, s6
	s_lshl_b32 s6, s6, 23
	s_lshr_b32 s9, s9, 4
	s_delay_alu instid0(SALU_CYCLE_1) | instskip(NEXT) | instid1(SALU_CYCLE_1)
	s_sub_i32 s6, s9, s6
	s_add_i32 s6, s6, 0x3c000000
	s_delay_alu instid0(SALU_CYCLE_1) | instskip(SKIP_2) | instid1(SALU_CYCLE_1)
	s_or_b32 s6, s6, s8
	s_cmp_lg_u32 s5, 0
	s_cselect_b32 s5, s6, 0
	s_or_b32 s0, s5, s0
	s_bfe_u32 s5, s5, 0x10010
	s_delay_alu instid0(SALU_CYCLE_1) | instskip(SKIP_2) | instid1(SALU_CYCLE_1)
	s_add_i32 s5, s0, s5
	v_cmp_o_f32_e64 s0, s0, s0
	s_addk_i32 s5, 0x7fff
	s_lshr_b32 s5, s5, 16
	s_delay_alu instid0(VALU_DEP_1) | instskip(SKIP_1) | instid1(SALU_CYCLE_1)
	s_and_b32 s0, s0, exec_lo
	s_cselect_b32 s0, s5, 0x7fc0
	v_mov_b32_e32 v2, s0
	s_mov_b32 s0, 0
	global_store_b32 v[0:1], v2, off
.LBB134_764:
	s_mov_b32 s5, 0
.LBB134_765:
	s_delay_alu instid0(SALU_CYCLE_1)
	s_and_b32 vcc_lo, exec_lo, s5
	s_cbranch_vccz .LBB134_770
; %bb.766:
	v_cmp_eq_u16_e32 vcc_lo, 44, v10
	s_mov_b32 s0, -1
	s_cbranch_vccz .LBB134_770
; %bb.767:
	s_lshl_b32 s0, s7, 24
	s_delay_alu instid0(SALU_CYCLE_1) | instskip(NEXT) | instid1(SALU_CYCLE_1)
	s_and_b32 s0, s0, 0x7f000000
	s_clz_i32_u32 s5, s0
	s_add_i32 s6, s0, 0x1000000
	s_min_u32 s5, s5, 32
	s_ashr_i32 s6, s6, 8
	v_sub_nc_u32_e64 v2, s5, 4 clamp
	s_and_b32 s6, s6, 0x7f800000
	s_delay_alu instid0(VALU_DEP_1) | instskip(SKIP_1) | instid1(VALU_DEP_2)
	v_readfirstlane_b32 s5, v2
	v_mov_b32_e32 v2, 0xff
	s_lshl_b32 s8, s0, s5
	s_lshl_b32 s5, s5, 23
	s_lshr_b32 s8, s8, 4
	s_delay_alu instid0(SALU_CYCLE_1) | instskip(NEXT) | instid1(SALU_CYCLE_1)
	s_sub_i32 s5, s8, s5
	s_add_i32 s5, s5, 0x3c000000
	s_delay_alu instid0(SALU_CYCLE_1) | instskip(SKIP_3) | instid1(SALU_CYCLE_1)
	s_or_b32 s5, s5, s6
	s_cmp_lg_u32 s0, 0
	s_mov_b32 s0, 0
	s_cselect_b32 s6, s5, 0
	s_lshr_b32 s5, s6, 23
	s_delay_alu instid0(SALU_CYCLE_1)
	s_cmpk_eq_i32 s5, 0xff
	s_cbranch_scc1 .LBB134_769
; %bb.768:
	s_bitcmp1_b32 s6, 22
	s_cselect_b32 s8, -1, 0
	s_and_b32 s6, s6, 0x3fffff
	s_delay_alu instid0(SALU_CYCLE_1) | instskip(NEXT) | instid1(SALU_CYCLE_1)
	s_or_b32 s6, s5, s6
	s_cmp_lg_u32 s6, 0
	s_cselect_b32 s6, -1, 0
	s_delay_alu instid0(SALU_CYCLE_1) | instskip(NEXT) | instid1(SALU_CYCLE_1)
	s_and_b32 s6, s8, s6
	v_cndmask_b32_e64 v2, 0, 1, s6
	s_delay_alu instid0(VALU_DEP_1)
	v_add_nc_u32_e32 v2, s5, v2
.LBB134_769:
	global_store_b8 v[0:1], v2, off
.LBB134_770:
	s_mov_b32 s5, 0
.LBB134_771:
	s_delay_alu instid0(SALU_CYCLE_1)
	s_and_b32 vcc_lo, exec_lo, s5
	s_cbranch_vccz .LBB134_774
; %bb.772:
	v_cmp_eq_u16_e32 vcc_lo, 29, v10
	s_mov_b32 s0, -1
	s_cbranch_vccz .LBB134_774
; %bb.773:
	s_lshl_b32 s0, s7, 24
	s_delay_alu instid0(SALU_CYCLE_1)
	s_and_b32 s5, s0, 0x7f000000
	s_and_b32 s0, s0, 0x80000000
	s_clz_i32_u32 s6, s5
	s_add_i32 s8, s5, 0x1000000
	s_min_u32 s6, s6, 32
	s_ashr_i32 s8, s8, 8
	v_sub_nc_u32_e64 v2, s6, 4 clamp
	s_and_b32 s8, s8, 0x7f800000
	s_delay_alu instid0(VALU_DEP_1) | instskip(NEXT) | instid1(VALU_DEP_1)
	v_readfirstlane_b32 s6, v2
	s_lshl_b32 s9, s5, s6
	s_lshl_b32 s6, s6, 23
	s_lshr_b32 s9, s9, 4
	s_delay_alu instid0(SALU_CYCLE_1) | instskip(NEXT) | instid1(SALU_CYCLE_1)
	s_sub_i32 s6, s9, s6
	s_add_i32 s6, s6, 0x3c000000
	s_delay_alu instid0(SALU_CYCLE_1) | instskip(SKIP_2) | instid1(SALU_CYCLE_1)
	s_or_b32 s6, s6, s8
	s_cmp_lg_u32 s5, 0
	s_cselect_b32 s5, s6, 0
	s_or_b32 s0, s5, s0
	s_delay_alu instid0(SALU_CYCLE_1) | instskip(SKIP_1) | instid1(VALU_DEP_1)
	v_trunc_f32_e32 v2, s0
	s_mov_b32 s0, 0
	v_mul_f32_e32 v3, 0x2f800000, v2
	s_delay_alu instid0(VALU_DEP_1) | instskip(NEXT) | instid1(VALU_DEP_1)
	v_floor_f32_e32 v3, v3
	v_fmamk_f32 v2, v3, 0xcf800000, v2
	v_cvt_u32_f32_e32 v3, v3
	s_delay_alu instid0(VALU_DEP_2)
	v_cvt_u32_f32_e32 v2, v2
	global_store_b64 v[0:1], v[2:3], off
.LBB134_774:
	s_mov_b32 s5, 0
.LBB134_775:
	s_delay_alu instid0(SALU_CYCLE_1)
	s_and_b32 vcc_lo, exec_lo, s5
	s_cbranch_vccz .LBB134_797
; %bb.776:
	v_cmp_gt_i16_e32 vcc_lo, 27, v10
	s_mov_b32 s5, -1
	s_cbranch_vccnz .LBB134_782
; %bb.777:
	v_cmp_lt_i16_e32 vcc_lo, 27, v10
	s_cbranch_vccz .LBB134_779
; %bb.778:
	s_lshl_b32 s5, s7, 24
	s_delay_alu instid0(SALU_CYCLE_1)
	s_and_b32 s6, s5, 0x7f000000
	s_and_b32 s5, s5, 0x80000000
	s_clz_i32_u32 s8, s6
	s_add_i32 s10, s6, 0x1000000
	s_min_u32 s8, s8, 32
	s_ashr_i32 s10, s10, 8
	v_sub_nc_u32_e64 v2, s8, 4 clamp
	s_delay_alu instid0(VALU_DEP_1) | instskip(NEXT) | instid1(VALU_DEP_1)
	v_readfirstlane_b32 s8, v2
	s_lshl_b32 s9, s6, s8
	s_lshl_b32 s8, s8, 23
	s_lshr_b32 s9, s9, 4
	s_delay_alu instid0(SALU_CYCLE_1) | instskip(SKIP_2) | instid1(SALU_CYCLE_1)
	s_sub_i32 s8, s9, s8
	s_and_b32 s9, s10, 0x7f800000
	s_add_i32 s8, s8, 0x3c000000
	s_or_b32 s8, s8, s9
	s_cmp_lg_u32 s6, 0
	s_cselect_b32 s6, s8, 0
	s_delay_alu instid0(SALU_CYCLE_1) | instskip(NEXT) | instid1(SALU_CYCLE_1)
	s_or_b32 s5, s6, s5
	v_cvt_u32_f32_e32 v2, s5
	s_mov_b32 s5, 0
	global_store_b32 v[0:1], v2, off
.LBB134_779:
	s_and_not1_b32 vcc_lo, exec_lo, s5
	s_cbranch_vccnz .LBB134_781
; %bb.780:
	s_lshl_b32 s5, s7, 24
	s_delay_alu instid0(SALU_CYCLE_1)
	s_and_b32 s6, s5, 0x7f000000
	s_and_b32 s5, s5, 0x80000000
	s_clz_i32_u32 s8, s6
	s_add_i32 s10, s6, 0x1000000
	s_min_u32 s8, s8, 32
	s_ashr_i32 s10, s10, 8
	v_sub_nc_u32_e64 v2, s8, 4 clamp
	s_delay_alu instid0(VALU_DEP_1) | instskip(NEXT) | instid1(VALU_DEP_1)
	v_readfirstlane_b32 s8, v2
	s_lshl_b32 s9, s6, s8
	s_lshl_b32 s8, s8, 23
	s_lshr_b32 s9, s9, 4
	s_delay_alu instid0(SALU_CYCLE_1) | instskip(SKIP_2) | instid1(SALU_CYCLE_1)
	s_sub_i32 s8, s9, s8
	s_and_b32 s9, s10, 0x7f800000
	s_add_i32 s8, s8, 0x3c000000
	s_or_b32 s8, s8, s9
	s_cmp_lg_u32 s6, 0
	s_cselect_b32 s6, s8, 0
	s_delay_alu instid0(SALU_CYCLE_1) | instskip(NEXT) | instid1(SALU_CYCLE_1)
	s_or_b32 s5, s6, s5
	v_cvt_u32_f32_e32 v2, s5
	global_store_b16 v[0:1], v2, off
.LBB134_781:
	s_mov_b32 s5, 0
.LBB134_782:
	s_delay_alu instid0(SALU_CYCLE_1)
	s_and_not1_b32 vcc_lo, exec_lo, s5
	s_cbranch_vccnz .LBB134_797
; %bb.783:
	s_lshl_b32 s5, s7, 24
	v_mov_b32_e32 v3, 0x80
	s_and_b32 s6, s5, 0x7f000000
	s_and_b32 s5, s5, 0x80000000
	s_clz_i32_u32 s8, s6
	s_add_i32 s9, s6, 0x1000000
	s_min_u32 s8, s8, 32
	s_ashr_i32 s9, s9, 8
	v_sub_nc_u32_e64 v2, s8, 4 clamp
	s_and_b32 s9, s9, 0x7f800000
	s_delay_alu instid0(VALU_DEP_1) | instskip(NEXT) | instid1(VALU_DEP_1)
	v_readfirstlane_b32 s8, v2
	s_lshl_b32 s10, s6, s8
	s_lshl_b32 s8, s8, 23
	s_lshr_b32 s10, s10, 4
	s_delay_alu instid0(SALU_CYCLE_1) | instskip(NEXT) | instid1(SALU_CYCLE_1)
	s_sub_i32 s8, s10, s8
	s_add_i32 s8, s8, 0x3c000000
	s_delay_alu instid0(SALU_CYCLE_1) | instskip(SKIP_3) | instid1(SALU_CYCLE_1)
	s_or_b32 s8, s8, s9
	s_cmp_lg_u32 s6, 0
	s_mov_b32 s6, 0
	s_cselect_b32 s8, s8, 0
	s_or_b32 s5, s8, s5
	s_delay_alu instid0(SALU_CYCLE_1) | instskip(NEXT) | instid1(SALU_CYCLE_1)
	s_and_b32 s9, s5, 0x7fffffff
	s_cmp_gt_u32 s9, 0x437fffff
	s_cbranch_scc1 .LBB134_796
; %bb.784:
	s_cmp_gt_u32 s9, 0x3bffffff
	s_cbranch_scc0 .LBB134_791
; %bb.785:
	s_bfe_u32 s6, s8, 0x10014
	s_mov_b32 s8, 0
	s_add_i32 s6, s5, s6
	s_delay_alu instid0(SALU_CYCLE_1) | instskip(NEXT) | instid1(SALU_CYCLE_1)
	s_add_i32 s6, s6, 0x487ffff
	s_lshr_b32 s9, s6, 20
	s_mov_b32 s6, -1
	s_branch .LBB134_792
.LBB134_786:
	s_mov_b32 s4, 0
	s_mov_b32 s0, -1
	s_branch .LBB134_660
.LBB134_787:
	s_cbranch_execnz .LBB134_789
; %bb.788:
	s_or_b32 s3, s3, exec_lo
	s_cbranch_execz .LBB134_754
	s_branch .LBB134_755
.LBB134_789:
	s_trap 2
	s_sendmsg_rtn_b32 s0, sendmsg(MSG_RTN_GET_DOORBELL)
	s_mov_b32 ttmp2, m0
	s_waitcnt lgkmcnt(0)
	s_and_b32 s0, s0, 0x3ff
	s_delay_alu instid0(SALU_CYCLE_1) | instskip(NEXT) | instid1(SALU_CYCLE_1)
	s_bitset1_b32 s0, 10
	s_mov_b32 m0, s0
	s_sendmsg sendmsg(MSG_INTERRUPT)
	s_mov_b32 m0, ttmp2
.LBB134_790:                            ; =>This Inner Loop Header: Depth=1
	s_sethalt 5
	s_branch .LBB134_790
.LBB134_791:
	s_mov_b32 s8, -1
                                        ; implicit-def: $sgpr9
.LBB134_792:
	v_mov_b32_e32 v2, s9
	s_and_not1_b32 vcc_lo, exec_lo, s8
                                        ; implicit-def: $sgpr8
	s_cbranch_vccnz .LBB134_794
; %bb.793:
	v_add_f32_e64 v2, 0x46000000, |s5|
	s_mov_b32 s8, 0
	s_delay_alu instid0(VALU_DEP_1) | instskip(NEXT) | instid1(VALU_DEP_1)
	v_and_b32_e32 v2, 0xff, v2
	v_cmp_ne_u32_e64 s6, 0, v2
.LBB134_794:
	v_mov_b32_e32 v3, s8
	s_delay_alu instid0(VALU_DEP_2)
	s_and_not1_b32 vcc_lo, exec_lo, s6
	s_cbranch_vccnz .LBB134_796
; %bb.795:
	s_lshr_b32 s5, s5, 24
	s_delay_alu instid0(SALU_CYCLE_1) | instskip(NEXT) | instid1(SALU_CYCLE_1)
	s_and_b32 s5, s5, 0x80
	v_or_b32_e32 v3, s5, v2
.LBB134_796:
	global_store_b8 v[0:1], v3, off
.LBB134_797:
	s_mov_b32 s5, 0
.LBB134_798:
	s_delay_alu instid0(SALU_CYCLE_1)
	s_and_b32 vcc_lo, exec_lo, s5
	s_cbranch_vccz .LBB134_886
; %bb.799:
	v_cmp_lt_i16_e32 vcc_lo, 22, v10
	s_mov_b32 s4, -1
	s_cbranch_vccz .LBB134_879
; %bb.800:
	v_cmp_gt_i16_e32 vcc_lo, 24, v10
	s_cbranch_vccnz .LBB134_866
; %bb.801:
	v_cmp_lt_i16_e32 vcc_lo, 24, v10
	s_cbranch_vccz .LBB134_863
; %bb.802:
	s_lshl_b32 s4, s7, 24
	v_mov_b32_e32 v3, 0x80
	s_and_b32 s5, s4, 0x7f000000
	s_and_b32 s4, s4, 0x80000000
	s_clz_i32_u32 s6, s5
	s_add_i32 s8, s5, 0x1000000
	s_min_u32 s6, s6, 32
	s_ashr_i32 s8, s8, 8
	v_sub_nc_u32_e64 v2, s6, 4 clamp
	s_and_b32 s8, s8, 0x7f800000
	s_delay_alu instid0(VALU_DEP_1) | instskip(NEXT) | instid1(VALU_DEP_1)
	v_readfirstlane_b32 s6, v2
	s_lshl_b32 s9, s5, s6
	s_lshl_b32 s6, s6, 23
	s_lshr_b32 s9, s9, 4
	s_delay_alu instid0(SALU_CYCLE_1) | instskip(NEXT) | instid1(SALU_CYCLE_1)
	s_sub_i32 s6, s9, s6
	s_add_i32 s6, s6, 0x3c000000
	s_delay_alu instid0(SALU_CYCLE_1) | instskip(SKIP_2) | instid1(SALU_CYCLE_1)
	s_or_b32 s6, s6, s8
	s_cmp_lg_u32 s5, 0
	s_cselect_b32 s6, s6, 0
	s_or_b32 s5, s6, s4
	s_mov_b32 s4, 0
	s_and_b32 s8, s5, 0x7fffffff
	s_delay_alu instid0(SALU_CYCLE_1)
	s_cmp_gt_u32 s8, 0x477fffff
	s_cbranch_scc1 .LBB134_862
; %bb.803:
	s_cmp_gt_u32 s8, 0x37ffffff
	s_cbranch_scc0 .LBB134_857
; %bb.804:
	s_bfe_u32 s6, s6, 0x10015
	s_mov_b32 s8, 0
	s_add_i32 s6, s5, s6
	s_delay_alu instid0(SALU_CYCLE_1) | instskip(NEXT) | instid1(SALU_CYCLE_1)
	s_add_i32 s6, s6, 0x88fffff
	s_lshr_b32 s9, s6, 21
	s_mov_b32 s6, -1
	s_branch .LBB134_858
.LBB134_805:
	s_mov_b32 s31, 0
.LBB134_806:
	s_delay_alu instid0(SALU_CYCLE_1)
	s_and_b32 vcc_lo, exec_lo, s31
	s_cbranch_vccz .LBB134_809
; %bb.807:
	v_cmp_eq_u16_e32 vcc_lo, 44, v10
	s_mov_b32 s0, -1
	s_cbranch_vccz .LBB134_809
; %bb.808:
	v_cndmask_b32_e64 v2, v19, 0xff, s24
	s_mov_b32 s0, 0
	s_mov_b32 s31, 0
	global_store_b8 v[8:9], v2, off
	s_branch .LBB134_810
.LBB134_809:
	s_mov_b32 s31, 0
.LBB134_810:
	s_delay_alu instid0(SALU_CYCLE_1)
	s_and_b32 vcc_lo, exec_lo, s31
	s_cbranch_vccz .LBB134_813
; %bb.811:
	v_cmp_eq_u16_e32 vcc_lo, 29, v10
	s_mov_b32 s0, -1
	s_cbranch_vccz .LBB134_813
; %bb.812:
	s_mov_b32 s0, 0
	global_store_b64 v[8:9], v[6:7], off
.LBB134_813:
	s_mov_b32 s31, 0
.LBB134_814:
	s_delay_alu instid0(SALU_CYCLE_1)
	s_and_b32 vcc_lo, exec_lo, s31
	s_cbranch_vccz .LBB134_826
; %bb.815:
	v_cmp_gt_i16_e32 vcc_lo, 27, v10
	s_mov_b32 s24, -1
	s_cbranch_vccnz .LBB134_821
; %bb.816:
	v_cmp_lt_i16_e32 vcc_lo, 27, v10
	s_cbranch_vccz .LBB134_818
; %bb.817:
	s_mov_b32 s24, 0
	global_store_b32 v[8:9], v17, off
.LBB134_818:
	s_and_not1_b32 vcc_lo, exec_lo, s24
	s_cbranch_vccnz .LBB134_820
; %bb.819:
	global_store_b16 v[8:9], v17, off
.LBB134_820:
	s_mov_b32 s24, 0
.LBB134_821:
	s_delay_alu instid0(SALU_CYCLE_1)
	s_and_not1_b32 vcc_lo, exec_lo, s24
	s_cbranch_vccnz .LBB134_826
; %bb.822:
	v_mov_b32_e32 v2, 0x80
	s_and_not1_b32 vcc_lo, exec_lo, s20
	s_cbranch_vccnz .LBB134_825
; %bb.823:
	v_mov_b32_e32 v2, 0
	s_or_b32 s20, s19, s22
	s_delay_alu instid0(SALU_CYCLE_1)
	s_and_not1_b32 vcc_lo, exec_lo, s20
	s_cbranch_vccnz .LBB134_825
; %bb.824:
	v_cndmask_b32_e64 v2, v16, s21, s19
	s_delay_alu instid0(VALU_DEP_1)
	v_or_b32_e32 v2, s8, v2
.LBB134_825:
	global_store_b8 v[8:9], v2, off
.LBB134_826:
	s_mov_b32 s31, 0
.LBB134_827:
	s_delay_alu instid0(SALU_CYCLE_1)
	s_and_b32 vcc_lo, exec_lo, s31
	s_mov_b32 s19, 0
	s_cbranch_vccz .LBB134_848
; %bb.828:
	v_cmp_lt_i16_e32 vcc_lo, 22, v10
	s_mov_b32 s20, -1
	s_cbranch_vccz .LBB134_841
; %bb.829:
	v_cmp_gt_i16_e32 vcc_lo, 24, v10
	s_cbranch_vccnz .LBB134_838
; %bb.830:
	v_cmp_lt_i16_e32 vcc_lo, 24, v10
	s_cbranch_vccz .LBB134_835
; %bb.831:
	v_mov_b32_e32 v2, 0x80
	s_and_not1_b32 vcc_lo, exec_lo, s17
	s_cbranch_vccnz .LBB134_834
; %bb.832:
	v_mov_b32_e32 v2, 0
	s_or_b32 s17, s15, s18
	s_delay_alu instid0(SALU_CYCLE_1)
	s_and_not1_b32 vcc_lo, exec_lo, s17
	s_cbranch_vccnz .LBB134_834
; %bb.833:
	v_cndmask_b32_e64 v2, v15, s16, s15
	s_delay_alu instid0(VALU_DEP_1)
	v_or_b32_e32 v2, s8, v2
.LBB134_834:
	s_mov_b32 s20, 0
	global_store_b8 v[8:9], v2, off
.LBB134_835:
	s_and_b32 vcc_lo, exec_lo, s20
	s_cbranch_vccz .LBB134_837
; %bb.836:
	v_mov_b32_e32 v2, s7
	global_store_b8 v[8:9], v2, off
.LBB134_837:
	s_mov_b32 s20, 0
.LBB134_838:
	s_delay_alu instid0(SALU_CYCLE_1)
	s_and_not1_b32 vcc_lo, exec_lo, s20
	s_cbranch_vccnz .LBB134_840
; %bb.839:
	s_and_b32 s12, s12, exec_lo
	s_cselect_b32 s9, s9, s13
	s_and_b32 s11, s11, exec_lo
	s_cselect_b32 s9, s14, s9
	s_delay_alu instid0(SALU_CYCLE_1) | instskip(NEXT) | instid1(SALU_CYCLE_1)
	s_or_b32 s8, s9, s8
	v_mov_b32_e32 v2, s8
	global_store_b8 v[8:9], v2, off
.LBB134_840:
	s_mov_b32 s20, 0
.LBB134_841:
	s_delay_alu instid0(SALU_CYCLE_1)
	s_and_not1_b32 vcc_lo, exec_lo, s20
	s_mov_b32 s8, 0
	s_cbranch_vccnz .LBB134_849
; %bb.842:
	v_cmp_lt_i16_e32 vcc_lo, 14, v10
	s_mov_b32 s8, -1
	s_cbranch_vccz .LBB134_846
; %bb.843:
	v_cmp_eq_u16_e32 vcc_lo, 15, v10
	s_mov_b32 s0, -1
	s_cbranch_vccz .LBB134_845
; %bb.844:
	v_mov_b32_e32 v2, s10
	s_mov_b32 s0, 0
	global_store_b16 v[8:9], v2, off
.LBB134_845:
	s_mov_b32 s8, 0
.LBB134_846:
	s_delay_alu instid0(SALU_CYCLE_1)
	s_and_b32 vcc_lo, exec_lo, s8
	s_mov_b32 s8, 0
	s_cbranch_vccz .LBB134_849
; %bb.847:
	v_cmp_ne_u16_e32 vcc_lo, 11, v10
	s_and_not1_b32 s0, s0, exec_lo
	s_mov_b32 s8, -1
	s_and_b32 s9, vcc_lo, exec_lo
	s_delay_alu instid0(SALU_CYCLE_1)
	s_or_b32 s0, s0, s9
	s_branch .LBB134_849
.LBB134_848:
	s_mov_b32 s8, 0
.LBB134_849:
	s_and_not1_b32 s9, s30, exec_lo
	s_and_b32 s10, s0, exec_lo
	s_and_b32 s31, s19, exec_lo
	;; [unrolled: 1-line block ×3, first 2 shown]
	s_or_b32 s33, s9, s10
.LBB134_850:
	s_or_b32 exec_lo, exec_lo, s23
	s_delay_alu instid0(SALU_CYCLE_1)
	s_and_not1_b32 s8, s30, exec_lo
	s_and_b32 s9, s33, exec_lo
	s_and_b32 s31, s31, exec_lo
	;; [unrolled: 1-line block ×3, first 2 shown]
	s_or_b32 s30, s8, s9
.LBB134_851:
	s_or_b32 exec_lo, exec_lo, s29
	s_delay_alu instid0(SALU_CYCLE_1)
	s_and_not1_b32 s8, s27, exec_lo
	s_and_b32 s9, s30, exec_lo
	s_and_b32 s29, s31, exec_lo
	;; [unrolled: 1-line block ×3, first 2 shown]
	s_or_b32 s27, s8, s9
.LBB134_852:
	s_or_b32 exec_lo, exec_lo, s28
	s_delay_alu instid0(SALU_CYCLE_1)
	s_and_not1_b32 s8, s25, exec_lo
	s_and_b32 s9, s27, exec_lo
	s_and_b32 s28, s29, exec_lo
	;; [unrolled: 1-line block ×3, first 2 shown]
	s_or_b32 s25, s8, s9
	s_or_b32 exec_lo, exec_lo, s26
	s_mov_b32 s0, 0
	s_and_saveexec_b32 s8, s25
	s_cbranch_execz .LBB134_110
.LBB134_853:
	s_cbranch_execnz .LBB134_855
; %bb.854:
	s_mov_b32 s0, exec_lo
	s_and_not1_b32 s27, s27, exec_lo
	s_or_b32 exec_lo, exec_lo, s8
	s_and_saveexec_b32 s8, s27
	s_delay_alu instid0(SALU_CYCLE_1)
	s_xor_b32 s8, exec_lo, s8
	s_cbranch_execnz .LBB134_111
	s_branch .LBB134_112
.LBB134_855:
	s_trap 2
	s_sendmsg_rtn_b32 s0, sendmsg(MSG_RTN_GET_DOORBELL)
	s_mov_b32 ttmp2, m0
	s_waitcnt lgkmcnt(0)
	s_and_b32 s0, s0, 0x3ff
	s_delay_alu instid0(SALU_CYCLE_1) | instskip(NEXT) | instid1(SALU_CYCLE_1)
	s_bitset1_b32 s0, 10
	s_mov_b32 m0, s0
	s_sendmsg sendmsg(MSG_INTERRUPT)
	s_mov_b32 m0, ttmp2
.LBB134_856:                            ; =>This Inner Loop Header: Depth=1
	s_sethalt 5
	s_branch .LBB134_856
.LBB134_857:
	s_mov_b32 s8, -1
	s_mov_b32 s6, 0
                                        ; implicit-def: $sgpr9
.LBB134_858:
	v_mov_b32_e32 v2, s9
	s_and_not1_b32 vcc_lo, exec_lo, s8
                                        ; implicit-def: $sgpr8
	s_cbranch_vccnz .LBB134_860
; %bb.859:
	v_add_f32_e64 v2, 0x42800000, |s5|
	s_mov_b32 s8, 0
	s_delay_alu instid0(VALU_DEP_1) | instskip(NEXT) | instid1(VALU_DEP_1)
	v_and_b32_e32 v2, 0xff, v2
	v_cmp_ne_u32_e64 s6, 0, v2
.LBB134_860:
	v_mov_b32_e32 v3, s8
	s_delay_alu instid0(VALU_DEP_2)
	s_and_not1_b32 vcc_lo, exec_lo, s6
	s_cbranch_vccnz .LBB134_862
; %bb.861:
	s_lshr_b32 s5, s5, 24
	s_delay_alu instid0(SALU_CYCLE_1) | instskip(NEXT) | instid1(SALU_CYCLE_1)
	s_and_b32 s5, s5, 0x80
	v_or_b32_e32 v3, s5, v2
.LBB134_862:
	global_store_b8 v[0:1], v3, off
.LBB134_863:
	s_and_b32 vcc_lo, exec_lo, s4
	s_cbranch_vccz .LBB134_865
; %bb.864:
	v_mov_b32_e32 v2, s7
	global_store_b8 v[0:1], v2, off
.LBB134_865:
	s_mov_b32 s4, 0
.LBB134_866:
	s_delay_alu instid0(SALU_CYCLE_1)
	s_and_not1_b32 vcc_lo, exec_lo, s4
	s_cbranch_vccnz .LBB134_878
; %bb.867:
	s_lshl_b32 s4, s7, 24
	s_delay_alu instid0(SALU_CYCLE_1)
	s_and_b32 s5, s4, 0x7f000000
	s_and_b32 s4, s4, 0x80000000
	s_clz_i32_u32 s6, s5
	s_add_i32 s9, s5, 0x1000000
	s_min_u32 s6, s6, 32
	s_ashr_i32 s9, s9, 8
	v_sub_nc_u32_e64 v2, s6, 4 clamp
	s_delay_alu instid0(VALU_DEP_1) | instskip(NEXT) | instid1(VALU_DEP_1)
	v_readfirstlane_b32 s6, v2
	s_lshl_b32 s8, s5, s6
	s_lshl_b32 s6, s6, 23
	s_lshr_b32 s8, s8, 4
	s_delay_alu instid0(SALU_CYCLE_1) | instskip(SKIP_2) | instid1(SALU_CYCLE_1)
	s_sub_i32 s6, s8, s6
	s_and_b32 s8, s9, 0x7f800000
	s_add_i32 s6, s6, 0x3c000000
	s_or_b32 s6, s6, s8
	s_cmp_lg_u32 s5, 0
	s_cselect_b32 s6, s6, 0
	s_delay_alu instid0(SALU_CYCLE_1) | instskip(NEXT) | instid1(SALU_CYCLE_1)
	s_or_b32 s4, s6, s4
	s_and_b32 s5, s4, 0x7fffffff
	s_delay_alu instid0(SALU_CYCLE_1)
	s_cmp_lt_u32 s5, 0x47800000
	s_cbranch_scc0 .LBB134_870
; %bb.868:
	s_cmp_gt_u32 s5, 0x387fffff
	s_cbranch_scc0 .LBB134_871
; %bb.869:
	s_bfe_u32 s6, s6, 0x10015
	s_delay_alu instid0(SALU_CYCLE_1) | instskip(NEXT) | instid1(SALU_CYCLE_1)
	s_add_i32 s6, s4, s6
	s_add_i32 s6, s6, 0x80fffff
	s_delay_alu instid0(SALU_CYCLE_1)
	s_lshr_b32 s8, s6, 21
	s_mov_b32 s6, 0
	s_branch .LBB134_872
.LBB134_870:
	s_mov_b32 s6, -1
                                        ; implicit-def: $vgpr2
	s_branch .LBB134_875
.LBB134_871:
	s_mov_b32 s6, -1
                                        ; implicit-def: $sgpr8
.LBB134_872:
	v_mov_b32_e32 v2, s8
	s_and_not1_b32 vcc_lo, exec_lo, s6
	s_cbranch_vccnz .LBB134_874
; %bb.873:
	v_add_f32_e64 v2, 0x43000000, |s4|
.LBB134_874:
	s_mov_b32 s6, 0
.LBB134_875:
	s_delay_alu instid0(SALU_CYCLE_1)
	s_and_not1_b32 vcc_lo, exec_lo, s6
	s_cbranch_vccnz .LBB134_877
; %bb.876:
	s_cmp_gt_u32 s5, 0x7f800000
	s_movk_i32 s5, 0x7f
	s_delay_alu instid0(SALU_CYCLE_1) | instskip(NEXT) | instid1(SALU_CYCLE_1)
	s_cselect_b32 s5, s5, 0x7c
	v_mov_b32_e32 v2, s5
.LBB134_877:
	s_lshr_b32 s4, s4, 24
	s_delay_alu instid0(SALU_CYCLE_1)
	s_and_b32 s4, s4, 0x80
	s_delay_alu instid0(VALU_DEP_1) | instid1(SALU_CYCLE_1)
	v_or_b32_e32 v2, s4, v2
	global_store_b8 v[0:1], v2, off
.LBB134_878:
	s_mov_b32 s4, 0
.LBB134_879:
	s_delay_alu instid0(SALU_CYCLE_1)
	s_and_not1_b32 vcc_lo, exec_lo, s4
	s_mov_b32 s4, 0
	s_cbranch_vccnz .LBB134_886
; %bb.880:
	v_cmp_lt_i16_e32 vcc_lo, 14, v10
	s_mov_b32 s4, -1
	s_cbranch_vccz .LBB134_884
; %bb.881:
	v_cmp_eq_u16_e32 vcc_lo, 15, v10
	s_mov_b32 s0, -1
	s_cbranch_vccz .LBB134_883
; %bb.882:
	s_lshl_b32 s0, s7, 24
	s_delay_alu instid0(SALU_CYCLE_1)
	s_and_b32 s4, s0, 0x7f000000
	s_and_b32 s0, s0, 0x80000000
	s_clz_i32_u32 s5, s4
	s_add_i32 s6, s4, 0x1000000
	s_min_u32 s5, s5, 32
	s_ashr_i32 s6, s6, 8
	v_sub_nc_u32_e64 v2, s5, 4 clamp
	s_and_b32 s6, s6, 0x7f800000
	s_delay_alu instid0(VALU_DEP_1) | instskip(NEXT) | instid1(VALU_DEP_1)
	v_readfirstlane_b32 s5, v2
	s_lshl_b32 s8, s4, s5
	s_lshl_b32 s5, s5, 23
	s_lshr_b32 s8, s8, 4
	s_delay_alu instid0(SALU_CYCLE_1) | instskip(NEXT) | instid1(SALU_CYCLE_1)
	s_sub_i32 s5, s8, s5
	s_add_i32 s5, s5, 0x3c000000
	s_delay_alu instid0(SALU_CYCLE_1) | instskip(SKIP_2) | instid1(SALU_CYCLE_1)
	s_or_b32 s5, s5, s6
	s_cmp_lg_u32 s4, 0
	s_cselect_b32 s4, s5, 0
	s_or_b32 s0, s4, s0
	s_bfe_u32 s4, s4, 0x10010
	s_delay_alu instid0(SALU_CYCLE_1) | instskip(SKIP_2) | instid1(SALU_CYCLE_1)
	s_add_i32 s4, s0, s4
	v_cmp_o_f32_e64 s0, s0, s0
	s_addk_i32 s4, 0x7fff
	s_lshr_b32 s4, s4, 16
	s_delay_alu instid0(VALU_DEP_1) | instskip(SKIP_1) | instid1(SALU_CYCLE_1)
	s_and_b32 s0, s0, exec_lo
	s_cselect_b32 s0, s4, 0x7fc0
	v_mov_b32_e32 v2, s0
	s_mov_b32 s0, 0
	global_store_b16 v[0:1], v2, off
.LBB134_883:
	s_mov_b32 s4, 0
.LBB134_884:
	s_delay_alu instid0(SALU_CYCLE_1)
	s_and_b32 vcc_lo, exec_lo, s4
	s_mov_b32 s4, 0
	s_cbranch_vccz .LBB134_886
; %bb.885:
	v_cmp_ne_u16_e64 s0, 11, v10
	s_mov_b32 s4, -1
.LBB134_886:
	s_delay_alu instid0(VALU_DEP_1)
	s_and_b32 vcc_lo, exec_lo, s0
	s_cbranch_vccnz .LBB134_888
.LBB134_887:
	s_mov_b32 s0, 0
	s_branch .LBB134_660
.LBB134_888:
	s_cbranch_execnz .LBB134_890
; %bb.889:
	s_mov_b32 s4, 0
	s_or_b32 s3, s3, exec_lo
	s_branch .LBB134_887
.LBB134_890:
	s_trap 2
	s_sendmsg_rtn_b32 s0, sendmsg(MSG_RTN_GET_DOORBELL)
	s_mov_b32 ttmp2, m0
	s_waitcnt lgkmcnt(0)
	s_and_b32 s0, s0, 0x3ff
	s_delay_alu instid0(SALU_CYCLE_1) | instskip(NEXT) | instid1(SALU_CYCLE_1)
	s_bitset1_b32 s0, 10
	s_mov_b32 m0, s0
	s_sendmsg sendmsg(MSG_INTERRUPT)
	s_mov_b32 m0, ttmp2
.LBB134_891:                            ; =>This Inner Loop Header: Depth=1
	s_sethalt 5
	s_branch .LBB134_891
	.section	.rodata,"a",@progbits
	.p2align	6, 0x0
	.amdhsa_kernel _ZN2at6native32elementwise_kernel_manual_unrollILi128ELi4EZNS0_15gpu_kernel_implINS0_11FillFunctorIN3c1013Float8_e4m3fnEEEEEvRNS_18TensorIteratorBaseERKT_EUlibE_EEviT1_
		.amdhsa_group_segment_fixed_size 0
		.amdhsa_private_segment_fixed_size 0
		.amdhsa_kernarg_size 24
		.amdhsa_user_sgpr_count 15
		.amdhsa_user_sgpr_dispatch_ptr 0
		.amdhsa_user_sgpr_queue_ptr 0
		.amdhsa_user_sgpr_kernarg_segment_ptr 1
		.amdhsa_user_sgpr_dispatch_id 0
		.amdhsa_user_sgpr_private_segment_size 0
		.amdhsa_wavefront_size32 1
		.amdhsa_uses_dynamic_stack 0
		.amdhsa_enable_private_segment 0
		.amdhsa_system_sgpr_workgroup_id_x 1
		.amdhsa_system_sgpr_workgroup_id_y 0
		.amdhsa_system_sgpr_workgroup_id_z 0
		.amdhsa_system_sgpr_workgroup_info 0
		.amdhsa_system_vgpr_workitem_id 0
		.amdhsa_next_free_vgpr 20
		.amdhsa_next_free_sgpr 34
		.amdhsa_reserve_vcc 1
		.amdhsa_float_round_mode_32 0
		.amdhsa_float_round_mode_16_64 0
		.amdhsa_float_denorm_mode_32 3
		.amdhsa_float_denorm_mode_16_64 3
		.amdhsa_dx10_clamp 1
		.amdhsa_ieee_mode 1
		.amdhsa_fp16_overflow 0
		.amdhsa_workgroup_processor_mode 1
		.amdhsa_memory_ordered 1
		.amdhsa_forward_progress 0
		.amdhsa_shared_vgpr_count 0
		.amdhsa_exception_fp_ieee_invalid_op 0
		.amdhsa_exception_fp_denorm_src 0
		.amdhsa_exception_fp_ieee_div_zero 0
		.amdhsa_exception_fp_ieee_overflow 0
		.amdhsa_exception_fp_ieee_underflow 0
		.amdhsa_exception_fp_ieee_inexact 0
		.amdhsa_exception_int_div_zero 0
	.end_amdhsa_kernel
	.section	.text._ZN2at6native32elementwise_kernel_manual_unrollILi128ELi4EZNS0_15gpu_kernel_implINS0_11FillFunctorIN3c1013Float8_e4m3fnEEEEEvRNS_18TensorIteratorBaseERKT_EUlibE_EEviT1_,"axG",@progbits,_ZN2at6native32elementwise_kernel_manual_unrollILi128ELi4EZNS0_15gpu_kernel_implINS0_11FillFunctorIN3c1013Float8_e4m3fnEEEEEvRNS_18TensorIteratorBaseERKT_EUlibE_EEviT1_,comdat
.Lfunc_end134:
	.size	_ZN2at6native32elementwise_kernel_manual_unrollILi128ELi4EZNS0_15gpu_kernel_implINS0_11FillFunctorIN3c1013Float8_e4m3fnEEEEEvRNS_18TensorIteratorBaseERKT_EUlibE_EEviT1_, .Lfunc_end134-_ZN2at6native32elementwise_kernel_manual_unrollILi128ELi4EZNS0_15gpu_kernel_implINS0_11FillFunctorIN3c1013Float8_e4m3fnEEEEEvRNS_18TensorIteratorBaseERKT_EUlibE_EEviT1_
                                        ; -- End function
	.section	.AMDGPU.csdata,"",@progbits
; Kernel info:
; codeLenInByte = 22960
; NumSgprs: 36
; NumVgprs: 20
; ScratchSize: 0
; MemoryBound: 0
; FloatMode: 240
; IeeeMode: 1
; LDSByteSize: 0 bytes/workgroup (compile time only)
; SGPRBlocks: 4
; VGPRBlocks: 2
; NumSGPRsForWavesPerEU: 36
; NumVGPRsForWavesPerEU: 20
; Occupancy: 16
; WaveLimiterHint : 0
; COMPUTE_PGM_RSRC2:SCRATCH_EN: 0
; COMPUTE_PGM_RSRC2:USER_SGPR: 15
; COMPUTE_PGM_RSRC2:TRAP_HANDLER: 0
; COMPUTE_PGM_RSRC2:TGID_X_EN: 1
; COMPUTE_PGM_RSRC2:TGID_Y_EN: 0
; COMPUTE_PGM_RSRC2:TGID_Z_EN: 0
; COMPUTE_PGM_RSRC2:TIDIG_COMP_CNT: 0
	.section	.text._ZN2at6native32elementwise_kernel_manual_unrollILi128ELi4EZNS0_15gpu_kernel_implINS0_11FillFunctorIN3c1013Float8_e4m3fnEEEEEvRNS_18TensorIteratorBaseERKT_EUlibE0_EEviT1_,"axG",@progbits,_ZN2at6native32elementwise_kernel_manual_unrollILi128ELi4EZNS0_15gpu_kernel_implINS0_11FillFunctorIN3c1013Float8_e4m3fnEEEEEvRNS_18TensorIteratorBaseERKT_EUlibE0_EEviT1_,comdat
	.protected	_ZN2at6native32elementwise_kernel_manual_unrollILi128ELi4EZNS0_15gpu_kernel_implINS0_11FillFunctorIN3c1013Float8_e4m3fnEEEEEvRNS_18TensorIteratorBaseERKT_EUlibE0_EEviT1_ ; -- Begin function _ZN2at6native32elementwise_kernel_manual_unrollILi128ELi4EZNS0_15gpu_kernel_implINS0_11FillFunctorIN3c1013Float8_e4m3fnEEEEEvRNS_18TensorIteratorBaseERKT_EUlibE0_EEviT1_
	.globl	_ZN2at6native32elementwise_kernel_manual_unrollILi128ELi4EZNS0_15gpu_kernel_implINS0_11FillFunctorIN3c1013Float8_e4m3fnEEEEEvRNS_18TensorIteratorBaseERKT_EUlibE0_EEviT1_
	.p2align	8
	.type	_ZN2at6native32elementwise_kernel_manual_unrollILi128ELi4EZNS0_15gpu_kernel_implINS0_11FillFunctorIN3c1013Float8_e4m3fnEEEEEvRNS_18TensorIteratorBaseERKT_EUlibE0_EEviT1_,@function
_ZN2at6native32elementwise_kernel_manual_unrollILi128ELi4EZNS0_15gpu_kernel_implINS0_11FillFunctorIN3c1013Float8_e4m3fnEEEEEvRNS_18TensorIteratorBaseERKT_EUlibE0_EEviT1_: ; @_ZN2at6native32elementwise_kernel_manual_unrollILi128ELi4EZNS0_15gpu_kernel_implINS0_11FillFunctorIN3c1013Float8_e4m3fnEEEEEvRNS_18TensorIteratorBaseERKT_EUlibE0_EEviT1_
; %bb.0:
	s_clause 0x1
	s_load_b32 s18, s[0:1], 0x8
	s_load_b32 s43, s[0:1], 0x0
	v_lshl_or_b32 v13, s15, 9, v0
	s_or_b32 s0, s0, 8
	s_mov_b32 s14, -1
	s_mov_b32 s20, 0
	s_mov_b32 s6, 0
	v_or_b32_e32 v4, 0x180, v13
	s_mov_b32 s2, exec_lo
	s_waitcnt lgkmcnt(0)
	s_add_i32 s19, s18, -1
	s_delay_alu instid0(SALU_CYCLE_1)
	s_cmp_gt_u32 s19, 1
	s_cselect_b32 s21, -1, 0
	v_cmpx_le_i32_e64 s43, v4
	s_xor_b32 s22, exec_lo, s2
	s_cbranch_execz .LBB135_159
; %bb.1:
	s_load_b32 s24, s[0:1], 0x110
	s_cmp_lg_u32 s18, 0
	s_movk_i32 s26, 0x7f
	s_cselect_b32 s45, -1, 0
	s_add_u32 s12, s0, 0xc4
	s_addc_u32 s13, s1, 0
	s_min_u32 s44, s19, 15
	s_cmp_gt_u32 s18, 1
	s_cselect_b32 s42, -1, 0
	s_waitcnt lgkmcnt(0)
	s_lshl_b32 s4, s24, 24
	v_lshrrev_b16 v10, 8, s24
	s_and_b32 s5, s4, 0x7f000000
	s_and_b32 s17, s4, 0x80000000
	s_clz_i32_u32 s2, s5
	s_add_i32 s7, s5, 0x1000000
	s_min_u32 s2, s2, 32
	s_ashr_i32 s7, s7, 8
	v_sub_nc_u32_e64 v0, s2, 4 clamp
	s_and_b32 s15, s7, 0x7f800000
	s_clause 0x1
	s_load_b64 s[8:9], s[0:1], 0xc4
	s_load_b64 s[2:3], s[0:1], 0x108
	v_readfirstlane_b32 s6, v0
	s_delay_alu instid0(VALU_DEP_1) | instskip(SKIP_2) | instid1(SALU_CYCLE_1)
	s_lshl_b32 s10, s5, s6
	s_lshl_b32 s6, s6, 23
	s_lshr_b32 s10, s10, 4
	s_sub_i32 s6, s10, s6
	s_delay_alu instid0(SALU_CYCLE_1) | instskip(NEXT) | instid1(SALU_CYCLE_1)
	s_add_i32 s16, s6, 0x3c000000
	s_or_b32 s23, s16, s15
	s_cmp_lg_u32 s5, 0
	s_clause 0x1
	s_load_b128 s[4:7], s[0:1], 0x4
	s_load_b64 s[10:11], s[0:1], 0x14
	s_cselect_b32 s46, -1, 0
	s_delay_alu instid0(SALU_CYCLE_1) | instskip(SKIP_1) | instid1(SALU_CYCLE_1)
	s_and_b32 s25, s46, exec_lo
	s_cselect_b32 s47, s23, 0
	s_or_b32 s23, s47, s17
	s_lshr_b32 s17, s47, 23
	v_add_f32_e64 v17, 0x46000000, |s23|
	s_cmpk_eq_i32 s17, 0xff
	v_add_f32_e64 v16, 0x42800000, |s23|
	s_cselect_b32 s41, -1, 0
	s_bitcmp1_b32 s47, 22
	v_cvt_f64_f32_e32 v[0:1], s23
	s_cselect_b32 s25, -1, 0
	s_and_b32 s27, s47, 0x3fffff
	v_readfirstlane_b32 s30, v16
	s_or_b32 s27, s17, s27
	v_trunc_f32_e32 v2, s23
	s_cmp_lg_u32 s27, 0
	v_add_f32_e64 v3, 0x43000000, |s23|
	s_cselect_b32 s27, -1, 0
	s_and_b32 s31, s23, 0x7fffffff
	s_and_b32 s29, s25, s27
	s_cmp_lt_u32 s31, 0x43800000
	v_readfirstlane_b32 s25, v17
	s_cselect_b32 s38, -1, 0
	s_cmp_gt_u32 s31, 0x3bffffff
	v_mul_f32_e32 v4, 0x2f800000, v2
	s_cselect_b32 s37, -1, 0
	s_bfe_u32 s27, s47, 0x10014
	s_and_b32 s25, s25, 0xff
	s_add_i32 s27, s23, s27
	v_cndmask_b32_e64 v6, 0, 1, s29
	s_add_i32 s27, s27, 0x487ffff
	v_floor_f32_e32 v4, v4
	s_lshr_b32 s39, s27, 20
	s_cmp_lg_u32 s25, 0
	v_readfirstlane_b32 s27, v3
	s_cselect_b32 s40, -1, 0
	s_lshr_b32 s25, s23, 24
	v_mul_f32_e64 v3, 0x2f800000, |v2|
	s_and_b32 s25, s25, 0x80
	s_cmp_gt_u32 s31, 0x477fffff
	v_ashrrev_i32_e32 v5, 31, v2
	s_cselect_b32 s28, -1, 0
	s_cmp_lt_u32 s31, 0x47800000
	v_floor_f32_e32 v3, v3
	s_cselect_b32 s35, -1, 0
	s_cmp_gt_u32 s31, 0x37ffffff
	v_dual_fmamk_f32 v8, v4, 0xcf800000, v2 :: v_dual_add_nc_u32 v19, s17, v6
	s_cselect_b32 s33, -1, 0
	s_bfe_u32 s34, s47, 0x10015
	s_and_b32 s30, s30, 0xff
	s_add_i32 s49, s23, s34
	v_fma_f32 v2, 0xcf800000, v3, |v2|
	s_add_i32 s34, s49, 0x88fffff
	v_cmp_o_f32_e64 s48, s23, s23
	s_lshr_b32 s34, s34, 21
	s_cmp_lg_u32 s30, 0
	v_cvt_u32_f32_e32 v2, v2
	s_cselect_b32 s36, -1, 0
	s_cmp_lt_u32 s31, 0x38800000
	v_cvt_u32_f32_e32 v3, v3
	s_cselect_b32 s29, -1, 0
	s_add_i32 s49, s49, 0x80fffff
	v_xor_b32_e32 v2, v2, v5
	s_lshr_b32 s30, s49, 21
	s_cmp_gt_u32 s31, 0x7f800000
	v_cvt_f16_f32_e32 v12, s23
	s_cselect_b32 s31, s26, 0x7c
	s_bfe_u32 s26, s47, 0x10010
	v_xor_b32_e32 v3, v3, v5
	s_add_i32 s26, s23, s26
	v_cvt_u32_f32_e32 v7, v4
	s_addk_i32 s26, 0x7fff
	v_sub_co_u32 v4, vcc_lo, v2, v5
	s_lshr_b32 s17, s26, 16
	s_and_b32 s26, s48, exec_lo
	s_cselect_b32 s26, s17, 0x7fc0
	s_and_b32 s16, s16, 0x7ff00000
	v_cvt_u32_f32_e32 v18, s23
	s_or_b32 s15, s16, s15
	v_cvt_i32_f32_e32 v11, s23
	s_cmp_lg_u32 s15, 0
	v_and_b32_e32 v14, 0xffff, v12
	s_cselect_b32 s15, -1, 0
	v_cvt_u32_f32_e32 v6, v8
	s_and_b32 s15, s46, s15
	v_sub_co_ci_u32_e32 v5, vcc_lo, v3, v5, vcc_lo
	v_cndmask_b32_e64 v15, 0, 1, s15
	s_mov_b32 s48, 0
	s_mov_b32 s46, 0
	s_mov_b32 s47, exec_lo
	v_cmpx_gt_i32_e64 s43, v13
	s_cbranch_execz .LBB135_110
; %bb.2:
	s_and_not1_b32 vcc_lo, exec_lo, s21
	s_cbranch_vccnz .LBB135_7
; %bb.3:
	v_mov_b32_e32 v2, 0
	s_and_not1_b32 vcc_lo, exec_lo, s45
	s_cbranch_vccnz .LBB135_12
; %bb.4:
	s_add_i32 s49, s44, 1
	s_cmp_eq_u32 s19, 2
	s_cbranch_scc1 .LBB135_8
; %bb.5:
	v_dual_mov_b32 v2, 0 :: v_dual_mov_b32 v3, v13
	s_and_b32 s46, s49, 28
	s_mov_b32 s50, 0
	s_mov_b64 s[14:15], s[0:1]
	s_mov_b64 s[16:17], s[12:13]
.LBB135_6:                              ; =>This Inner Loop Header: Depth=1
	s_clause 0x1
	s_load_b256 s[52:59], s[14:15], 0x4
	s_load_b128 s[60:63], s[14:15], 0x24
	s_load_b128 s[64:67], s[16:17], 0x0
	s_add_u32 s14, s14, 48
	s_addc_u32 s15, s15, 0
	s_add_i32 s50, s50, 4
	s_add_u32 s16, s16, 16
	s_addc_u32 s17, s17, 0
	s_cmp_lg_u32 s46, s50
	s_waitcnt lgkmcnt(0)
	v_mul_hi_u32 v8, s53, v3
	s_delay_alu instid0(VALU_DEP_1) | instskip(NEXT) | instid1(VALU_DEP_1)
	v_add_nc_u32_e32 v8, v3, v8
	v_lshrrev_b32_e32 v8, s54, v8
	s_delay_alu instid0(VALU_DEP_1) | instskip(SKIP_1) | instid1(VALU_DEP_2)
	v_mul_hi_u32 v9, s56, v8
	v_mul_lo_u32 v22, v8, s52
	v_add_nc_u32_e32 v9, v8, v9
	s_delay_alu instid0(VALU_DEP_2) | instskip(NEXT) | instid1(VALU_DEP_2)
	v_sub_nc_u32_e32 v22, v3, v22
	v_lshrrev_b32_e32 v9, s57, v9
	s_delay_alu instid0(VALU_DEP_2) | instskip(NEXT) | instid1(VALU_DEP_2)
	v_mul_lo_u32 v22, v22, s64
	v_mul_hi_u32 v20, s59, v9
	v_mul_lo_u32 v23, v9, s55
	s_delay_alu instid0(VALU_DEP_2) | instskip(NEXT) | instid1(VALU_DEP_2)
	v_add_nc_u32_e32 v20, v9, v20
	v_sub_nc_u32_e32 v8, v8, v23
	s_delay_alu instid0(VALU_DEP_2) | instskip(NEXT) | instid1(VALU_DEP_2)
	v_lshrrev_b32_e32 v20, s60, v20
	v_mul_lo_u32 v8, v8, s65
	s_delay_alu instid0(VALU_DEP_2) | instskip(NEXT) | instid1(VALU_DEP_2)
	v_mul_hi_u32 v21, s62, v20
	v_add3_u32 v2, v22, v2, v8
	s_delay_alu instid0(VALU_DEP_2) | instskip(NEXT) | instid1(VALU_DEP_1)
	v_add_nc_u32_e32 v21, v20, v21
	v_lshrrev_b32_e32 v3, s63, v21
	v_mul_lo_u32 v21, v20, s58
	s_delay_alu instid0(VALU_DEP_2) | instskip(NEXT) | instid1(VALU_DEP_2)
	v_mul_lo_u32 v24, v3, s61
	v_sub_nc_u32_e32 v9, v9, v21
	s_delay_alu instid0(VALU_DEP_2) | instskip(NEXT) | instid1(VALU_DEP_2)
	v_sub_nc_u32_e32 v20, v20, v24
	v_mul_lo_u32 v9, v9, s66
	s_delay_alu instid0(VALU_DEP_2) | instskip(NEXT) | instid1(VALU_DEP_1)
	v_mul_lo_u32 v20, v20, s67
	v_add3_u32 v2, v9, v2, v20
	s_cbranch_scc1 .LBB135_6
	s_branch .LBB135_9
.LBB135_7:
                                        ; implicit-def: $vgpr2
	s_and_not1_b32 vcc_lo, exec_lo, s14
	s_cbranch_vccz .LBB135_13
	s_branch .LBB135_15
.LBB135_8:
	v_mov_b32_e32 v3, v13
.LBB135_9:
	s_and_b32 s49, s49, 3
	s_delay_alu instid0(SALU_CYCLE_1)
	s_cmp_eq_u32 s49, 0
	s_cbranch_scc1 .LBB135_12
; %bb.10:
	s_lshl_b32 s14, s46, 2
	s_mul_i32 s16, s46, 12
	s_add_u32 s14, s14, s0
	s_addc_u32 s15, s1, 0
	s_add_u32 s14, s14, 0xc4
	s_addc_u32 s15, s15, 0
	;; [unrolled: 2-line block ×3, first 2 shown]
	.p2align	6
.LBB135_11:                             ; =>This Inner Loop Header: Depth=1
	s_clause 0x1
	s_load_b64 s[50:51], s[16:17], 0x4
	s_load_b32 s46, s[16:17], 0xc
	s_add_u32 s16, s16, 12
	s_addc_u32 s17, s17, 0
	s_waitcnt lgkmcnt(0)
	v_mul_hi_u32 v8, s51, v3
	s_load_b32 s51, s[14:15], 0x0
	s_add_u32 s14, s14, 4
	s_addc_u32 s15, s15, 0
	s_add_i32 s49, s49, -1
	s_delay_alu instid0(SALU_CYCLE_1) | instskip(NEXT) | instid1(VALU_DEP_1)
	s_cmp_lg_u32 s49, 0
	v_add_nc_u32_e32 v8, v3, v8
	s_delay_alu instid0(VALU_DEP_1) | instskip(NEXT) | instid1(VALU_DEP_1)
	v_lshrrev_b32_e32 v20, s46, v8
	v_mul_lo_u32 v8, v20, s50
	s_delay_alu instid0(VALU_DEP_1) | instskip(SKIP_1) | instid1(VALU_DEP_1)
	v_sub_nc_u32_e32 v3, v3, v8
	s_waitcnt lgkmcnt(0)
	v_mad_u64_u32 v[8:9], null, v3, s51, v[2:3]
	v_mov_b32_e32 v3, v20
	s_delay_alu instid0(VALU_DEP_2)
	v_mov_b32_e32 v2, v8
	s_cbranch_scc1 .LBB135_11
.LBB135_12:
	s_cbranch_execnz .LBB135_15
.LBB135_13:
	s_waitcnt lgkmcnt(0)
	v_mul_hi_u32 v2, s5, v13
	s_and_not1_b32 vcc_lo, exec_lo, s42
	s_delay_alu instid0(VALU_DEP_1) | instskip(NEXT) | instid1(VALU_DEP_1)
	v_add_nc_u32_e32 v2, v13, v2
	v_lshrrev_b32_e32 v3, s6, v2
	s_delay_alu instid0(VALU_DEP_1) | instskip(NEXT) | instid1(VALU_DEP_1)
	v_mul_lo_u32 v2, v3, s4
	v_sub_nc_u32_e32 v2, v13, v2
	s_delay_alu instid0(VALU_DEP_1)
	v_mul_lo_u32 v2, v2, s8
	s_cbranch_vccnz .LBB135_15
; %bb.14:
	v_mul_hi_u32 v8, s10, v3
	s_delay_alu instid0(VALU_DEP_1) | instskip(NEXT) | instid1(VALU_DEP_1)
	v_add_nc_u32_e32 v8, v3, v8
	v_lshrrev_b32_e32 v8, s11, v8
	s_delay_alu instid0(VALU_DEP_1) | instskip(NEXT) | instid1(VALU_DEP_1)
	v_mul_lo_u32 v8, v8, s7
	v_sub_nc_u32_e32 v3, v3, v8
	s_delay_alu instid0(VALU_DEP_1) | instskip(NEXT) | instid1(VALU_DEP_1)
	v_mad_u64_u32 v[8:9], null, v3, s9, v[2:3]
	v_mov_b32_e32 v2, v8
.LBB135_15:
	v_cmp_gt_i16_e32 vcc_lo, 11, v10
	s_waitcnt lgkmcnt(0)
	s_delay_alu instid0(VALU_DEP_2) | instskip(NEXT) | instid1(VALU_DEP_1)
	v_add_co_u32 v8, s15, s2, v2
	v_add_co_ci_u32_e64 v9, null, s3, 0, s15
	s_mov_b32 s14, 0
	s_mov_b32 s16, -1
	s_mov_b32 s15, 0
	s_cbranch_vccnz .LBB135_69
; %bb.16:
	v_cmp_lt_i16_e32 vcc_lo, 25, v10
	s_cbranch_vccz .LBB135_44
; %bb.17:
	v_cmp_lt_i16_e32 vcc_lo, 28, v10
	s_cbranch_vccz .LBB135_30
	;; [unrolled: 3-line block ×4, first 2 shown]
; %bb.20:
	v_cmp_eq_u16_e32 vcc_lo, 46, v10
	s_mov_b32 s16, 0
	s_mov_b32 s14, -1
	s_cbranch_vccz .LBB135_22
; %bb.21:
	v_mov_b32_e32 v2, s26
	s_mov_b32 s15, -1
	s_mov_b32 s14, 0
	global_store_b32 v[8:9], v2, off
.LBB135_22:
	s_and_b32 vcc_lo, exec_lo, s16
	s_cbranch_vccz .LBB135_25
; %bb.23:
	v_cmp_eq_u16_e32 vcc_lo, 44, v10
	s_mov_b32 s14, -1
	s_cbranch_vccz .LBB135_25
; %bb.24:
	v_cndmask_b32_e64 v2, v19, 0xff, s41
	s_mov_b32 s15, -1
	s_mov_b32 s14, 0
	global_store_b8 v[8:9], v2, off
.LBB135_25:
	s_mov_b32 s16, 0
.LBB135_26:
	s_delay_alu instid0(SALU_CYCLE_1)
	s_and_b32 vcc_lo, exec_lo, s16
	s_cbranch_vccz .LBB135_29
; %bb.27:
	v_cmp_eq_u16_e32 vcc_lo, 29, v10
	s_mov_b32 s14, -1
	s_cbranch_vccz .LBB135_29
; %bb.28:
	s_mov_b32 s15, -1
	s_mov_b32 s14, 0
	global_store_b64 v[8:9], v[6:7], off
.LBB135_29:
	s_mov_b32 s16, 0
.LBB135_30:
	s_delay_alu instid0(SALU_CYCLE_1)
	s_and_b32 vcc_lo, exec_lo, s16
	s_cbranch_vccz .LBB135_43
; %bb.31:
	v_cmp_gt_i16_e32 vcc_lo, 27, v10
	s_mov_b32 s15, -1
	s_cbranch_vccnz .LBB135_37
; %bb.32:
	v_cmp_lt_i16_e32 vcc_lo, 27, v10
	s_cbranch_vccz .LBB135_34
; %bb.33:
	s_mov_b32 s15, 0
	global_store_b32 v[8:9], v18, off
.LBB135_34:
	s_and_not1_b32 vcc_lo, exec_lo, s15
	s_cbranch_vccnz .LBB135_36
; %bb.35:
	global_store_b16 v[8:9], v18, off
.LBB135_36:
	s_mov_b32 s15, 0
.LBB135_37:
	s_delay_alu instid0(SALU_CYCLE_1)
	s_and_not1_b32 vcc_lo, exec_lo, s15
	s_cbranch_vccnz .LBB135_42
; %bb.38:
	v_mov_b32_e32 v2, 0x80
	s_and_not1_b32 vcc_lo, exec_lo, s38
	s_cbranch_vccnz .LBB135_41
; %bb.39:
	v_mov_b32_e32 v2, 0
	s_or_b32 s15, s37, s40
	s_delay_alu instid0(SALU_CYCLE_1)
	s_and_not1_b32 vcc_lo, exec_lo, s15
	s_cbranch_vccnz .LBB135_41
; %bb.40:
	v_cndmask_b32_e64 v2, v17, s39, s37
	s_delay_alu instid0(VALU_DEP_1)
	v_or_b32_e32 v2, s25, v2
.LBB135_41:
	global_store_b8 v[8:9], v2, off
.LBB135_42:
	s_mov_b32 s15, -1
.LBB135_43:
	s_mov_b32 s16, 0
.LBB135_44:
	s_delay_alu instid0(SALU_CYCLE_1)
	s_and_b32 vcc_lo, exec_lo, s16
	s_cbranch_vccz .LBB135_66
; %bb.45:
	v_cmp_lt_i16_e32 vcc_lo, 22, v10
	s_mov_b32 s16, -1
	s_cbranch_vccz .LBB135_58
; %bb.46:
	v_cmp_gt_i16_e32 vcc_lo, 24, v10
	s_mov_b32 s15, -1
	s_cbranch_vccnz .LBB135_55
; %bb.47:
	v_cmp_lt_i16_e32 vcc_lo, 24, v10
	s_cbranch_vccz .LBB135_52
; %bb.48:
	v_mov_b32_e32 v2, 0x80
	s_and_not1_b32 vcc_lo, exec_lo, s35
	s_cbranch_vccnz .LBB135_51
; %bb.49:
	v_mov_b32_e32 v2, 0
	s_or_b32 s15, s33, s36
	s_delay_alu instid0(SALU_CYCLE_1)
	s_and_not1_b32 vcc_lo, exec_lo, s15
	s_cbranch_vccnz .LBB135_51
; %bb.50:
	v_cndmask_b32_e64 v2, v16, s34, s33
	s_delay_alu instid0(VALU_DEP_1)
	v_or_b32_e32 v2, s25, v2
.LBB135_51:
	s_mov_b32 s15, 0
	global_store_b8 v[8:9], v2, off
.LBB135_52:
	s_and_b32 vcc_lo, exec_lo, s15
	s_cbranch_vccz .LBB135_54
; %bb.53:
	v_mov_b32_e32 v2, s24
	global_store_b8 v[8:9], v2, off
.LBB135_54:
	s_mov_b32 s15, 0
.LBB135_55:
	s_delay_alu instid0(SALU_CYCLE_1)
	s_and_not1_b32 vcc_lo, exec_lo, s15
	s_cbranch_vccnz .LBB135_57
; %bb.56:
	s_and_b32 s15, s29, exec_lo
	s_cselect_b32 s15, s27, s30
	s_and_b32 s16, s28, exec_lo
	s_cselect_b32 s15, s31, s15
	s_delay_alu instid0(SALU_CYCLE_1) | instskip(NEXT) | instid1(SALU_CYCLE_1)
	s_or_b32 s15, s15, s25
	v_mov_b32_e32 v2, s15
	global_store_b8 v[8:9], v2, off
.LBB135_57:
	s_mov_b32 s16, 0
	s_mov_b32 s15, -1
.LBB135_58:
	s_and_not1_b32 vcc_lo, exec_lo, s16
	s_cbranch_vccnz .LBB135_66
; %bb.59:
	v_cmp_lt_i16_e32 vcc_lo, 14, v10
	s_mov_b32 s16, -1
	s_cbranch_vccz .LBB135_63
; %bb.60:
	v_cmp_eq_u16_e32 vcc_lo, 15, v10
	s_mov_b32 s14, -1
	s_cbranch_vccz .LBB135_62
; %bb.61:
	v_mov_b32_e32 v2, s26
	s_mov_b32 s15, -1
	s_mov_b32 s14, 0
	global_store_b16 v[8:9], v2, off
.LBB135_62:
	s_mov_b32 s16, 0
.LBB135_63:
	s_delay_alu instid0(SALU_CYCLE_1)
	s_and_b32 vcc_lo, exec_lo, s16
	s_cbranch_vccz .LBB135_66
; %bb.64:
	v_cmp_eq_u16_e32 vcc_lo, 11, v10
	s_mov_b32 s14, -1
	s_cbranch_vccz .LBB135_66
; %bb.65:
	s_mov_b32 s15, -1
	s_mov_b32 s14, 0
	global_store_b8 v[8:9], v15, off
.LBB135_66:
.LBB135_67:
	s_and_not1_b32 vcc_lo, exec_lo, s15
	s_cbranch_vccnz .LBB135_108
.LBB135_68:
	v_add_nc_u32_e32 v13, 0x80, v13
	s_mov_b32 s15, -1
	s_branch .LBB135_109
.LBB135_69:
	s_and_b32 vcc_lo, exec_lo, s16
	s_cbranch_vccz .LBB135_67
; %bb.70:
	v_cmp_gt_i16_e32 vcc_lo, 5, v10
	s_mov_b32 s15, -1
	s_cbranch_vccnz .LBB135_91
; %bb.71:
	v_cmp_gt_i16_e32 vcc_lo, 8, v10
	s_cbranch_vccnz .LBB135_81
; %bb.72:
	v_cmp_gt_i16_e32 vcc_lo, 9, v10
	s_cbranch_vccnz .LBB135_78
; %bb.73:
	v_cmp_lt_i16_e32 vcc_lo, 9, v10
	s_cbranch_vccz .LBB135_75
; %bb.74:
	v_mov_b32_e32 v2, 0
	s_mov_b32 s15, 0
	s_delay_alu instid0(VALU_DEP_1)
	v_mov_b32_e32 v3, v2
	global_store_b128 v[8:9], v[0:3], off
.LBB135_75:
	s_and_not1_b32 vcc_lo, exec_lo, s15
	s_cbranch_vccnz .LBB135_77
; %bb.76:
	v_dual_mov_b32 v2, s23 :: v_dual_mov_b32 v3, 0
	global_store_b64 v[8:9], v[2:3], off
.LBB135_77:
	s_mov_b32 s15, 0
.LBB135_78:
	s_delay_alu instid0(SALU_CYCLE_1)
	s_and_not1_b32 vcc_lo, exec_lo, s15
	s_cbranch_vccnz .LBB135_80
; %bb.79:
	global_store_b32 v[8:9], v14, off
.LBB135_80:
	s_mov_b32 s15, 0
.LBB135_81:
	s_delay_alu instid0(SALU_CYCLE_1)
	s_and_not1_b32 vcc_lo, exec_lo, s15
	s_cbranch_vccnz .LBB135_90
; %bb.82:
	v_cmp_gt_i16_e32 vcc_lo, 6, v10
	s_mov_b32 s15, -1
	s_cbranch_vccnz .LBB135_88
; %bb.83:
	v_cmp_lt_i16_e32 vcc_lo, 6, v10
	s_cbranch_vccz .LBB135_85
; %bb.84:
	s_mov_b32 s15, 0
	global_store_b64 v[8:9], v[0:1], off
.LBB135_85:
	s_and_not1_b32 vcc_lo, exec_lo, s15
	s_cbranch_vccnz .LBB135_87
; %bb.86:
	v_mov_b32_e32 v2, s23
	global_store_b32 v[8:9], v2, off
.LBB135_87:
	s_mov_b32 s15, 0
.LBB135_88:
	s_delay_alu instid0(SALU_CYCLE_1)
	s_and_not1_b32 vcc_lo, exec_lo, s15
	s_cbranch_vccnz .LBB135_90
; %bb.89:
	global_store_b16 v[8:9], v12, off
.LBB135_90:
	s_mov_b32 s15, 0
.LBB135_91:
	s_delay_alu instid0(SALU_CYCLE_1)
	s_and_not1_b32 vcc_lo, exec_lo, s15
	s_cbranch_vccnz .LBB135_107
; %bb.92:
	v_cmp_gt_i16_e32 vcc_lo, 2, v10
	s_mov_b32 s15, -1
	s_cbranch_vccnz .LBB135_102
; %bb.93:
	v_cmp_gt_i16_e32 vcc_lo, 3, v10
	s_cbranch_vccnz .LBB135_99
; %bb.94:
	v_cmp_lt_i16_e32 vcc_lo, 3, v10
	s_cbranch_vccz .LBB135_96
; %bb.95:
	s_mov_b32 s15, 0
	global_store_b64 v[8:9], v[4:5], off
.LBB135_96:
	s_and_not1_b32 vcc_lo, exec_lo, s15
	s_cbranch_vccnz .LBB135_98
; %bb.97:
	global_store_b32 v[8:9], v11, off
.LBB135_98:
	s_mov_b32 s15, 0
.LBB135_99:
	s_delay_alu instid0(SALU_CYCLE_1)
	s_and_not1_b32 vcc_lo, exec_lo, s15
	s_cbranch_vccnz .LBB135_101
; %bb.100:
	global_store_b16 v[8:9], v11, off
.LBB135_101:
	s_mov_b32 s15, 0
.LBB135_102:
	s_delay_alu instid0(SALU_CYCLE_1)
	s_and_not1_b32 vcc_lo, exec_lo, s15
	s_cbranch_vccnz .LBB135_107
; %bb.103:
	v_cmp_lt_i16_e32 vcc_lo, 0, v10
	s_mov_b32 s15, -1
	s_cbranch_vccz .LBB135_105
; %bb.104:
	s_mov_b32 s15, 0
	global_store_b8 v[8:9], v11, off
.LBB135_105:
	s_and_not1_b32 vcc_lo, exec_lo, s15
	s_cbranch_vccnz .LBB135_107
; %bb.106:
	global_store_b8 v[8:9], v4, off
.LBB135_107:
	s_branch .LBB135_68
.LBB135_108:
	s_mov_b32 s15, 0
                                        ; implicit-def: $vgpr13
.LBB135_109:
	s_and_b32 s46, s14, exec_lo
	s_or_not1_b32 s14, s15, exec_lo
.LBB135_110:
	s_or_b32 exec_lo, exec_lo, s47
	s_mov_b32 s15, 0
                                        ; implicit-def: $vgpr8_vgpr9
	s_and_saveexec_b32 s47, s14
	s_cbranch_execz .LBB135_117
; %bb.111:
	s_mov_b32 s16, -1
	s_mov_b32 s48, s46
	s_mov_b32 s49, exec_lo
	v_cmpx_gt_i32_e64 s43, v13
	s_cbranch_execz .LBB135_362
; %bb.112:
	s_and_not1_b32 vcc_lo, exec_lo, s21
	s_cbranch_vccnz .LBB135_240
; %bb.113:
	v_mov_b32_e32 v2, 0
	s_and_not1_b32 vcc_lo, exec_lo, s45
	s_cbranch_vccnz .LBB135_245
; %bb.114:
	s_add_i32 s50, s44, 1
	s_cmp_eq_u32 s19, 2
	s_mov_b32 s48, 0
	s_cbranch_scc1 .LBB135_241
; %bb.115:
	v_dual_mov_b32 v2, 0 :: v_dual_mov_b32 v3, v13
	s_and_b32 s48, s50, 28
	s_mov_b32 s51, 0
	s_mov_b64 s[14:15], s[0:1]
	s_mov_b64 s[16:17], s[12:13]
.LBB135_116:                            ; =>This Inner Loop Header: Depth=1
	s_clause 0x1
	s_load_b256 s[52:59], s[14:15], 0x4
	s_load_b128 s[60:63], s[14:15], 0x24
	s_load_b128 s[64:67], s[16:17], 0x0
	s_add_u32 s14, s14, 48
	s_addc_u32 s15, s15, 0
	s_add_i32 s51, s51, 4
	s_add_u32 s16, s16, 16
	s_addc_u32 s17, s17, 0
	s_cmp_eq_u32 s48, s51
	s_waitcnt lgkmcnt(0)
	v_mul_hi_u32 v8, s53, v3
	s_delay_alu instid0(VALU_DEP_1) | instskip(NEXT) | instid1(VALU_DEP_1)
	v_add_nc_u32_e32 v8, v3, v8
	v_lshrrev_b32_e32 v8, s54, v8
	s_delay_alu instid0(VALU_DEP_1) | instskip(SKIP_1) | instid1(VALU_DEP_2)
	v_mul_hi_u32 v9, s56, v8
	v_mul_lo_u32 v22, v8, s52
	v_add_nc_u32_e32 v9, v8, v9
	s_delay_alu instid0(VALU_DEP_2) | instskip(NEXT) | instid1(VALU_DEP_2)
	v_sub_nc_u32_e32 v22, v3, v22
	v_lshrrev_b32_e32 v9, s57, v9
	s_delay_alu instid0(VALU_DEP_2) | instskip(NEXT) | instid1(VALU_DEP_2)
	v_mul_lo_u32 v22, v22, s64
	v_mul_hi_u32 v20, s59, v9
	v_mul_lo_u32 v23, v9, s55
	s_delay_alu instid0(VALU_DEP_2) | instskip(NEXT) | instid1(VALU_DEP_2)
	v_add_nc_u32_e32 v20, v9, v20
	v_sub_nc_u32_e32 v8, v8, v23
	s_delay_alu instid0(VALU_DEP_2) | instskip(NEXT) | instid1(VALU_DEP_2)
	v_lshrrev_b32_e32 v20, s60, v20
	v_mul_lo_u32 v8, v8, s65
	s_delay_alu instid0(VALU_DEP_2) | instskip(NEXT) | instid1(VALU_DEP_2)
	v_mul_hi_u32 v21, s62, v20
	v_add3_u32 v2, v22, v2, v8
	s_delay_alu instid0(VALU_DEP_2) | instskip(NEXT) | instid1(VALU_DEP_1)
	v_add_nc_u32_e32 v21, v20, v21
	v_lshrrev_b32_e32 v3, s63, v21
	v_mul_lo_u32 v21, v20, s58
	s_delay_alu instid0(VALU_DEP_2) | instskip(NEXT) | instid1(VALU_DEP_2)
	v_mul_lo_u32 v24, v3, s61
	v_sub_nc_u32_e32 v9, v9, v21
	s_delay_alu instid0(VALU_DEP_2) | instskip(NEXT) | instid1(VALU_DEP_2)
	v_sub_nc_u32_e32 v20, v20, v24
	v_mul_lo_u32 v9, v9, s66
	s_delay_alu instid0(VALU_DEP_2) | instskip(NEXT) | instid1(VALU_DEP_1)
	v_mul_lo_u32 v20, v20, s67
	v_add3_u32 v2, v9, v2, v20
	s_cbranch_scc0 .LBB135_116
	s_branch .LBB135_242
.LBB135_117:
	s_or_b32 exec_lo, exec_lo, s47
	s_waitcnt lgkmcnt(0)
	s_mov_b32 s2, 0
	s_and_saveexec_b32 s3, s46
	s_cbranch_execnz .LBB135_667
.LBB135_118:
	s_or_b32 exec_lo, exec_lo, s3
	s_and_saveexec_b32 s3, s48
	s_delay_alu instid0(SALU_CYCLE_1)
	s_xor_b32 s3, exec_lo, s3
	s_cbranch_execz .LBB135_120
.LBB135_119:
	global_store_b8 v[8:9], v15, off
.LBB135_120:
	s_or_b32 exec_lo, exec_lo, s3
	s_and_saveexec_b32 s3, s15
	s_delay_alu instid0(SALU_CYCLE_1)
	s_xor_b32 s3, exec_lo, s3
	s_cbranch_execz .LBB135_158
; %bb.121:
	v_cmp_gt_i16_e32 vcc_lo, 5, v10
	s_mov_b32 s4, -1
	s_cbranch_vccnz .LBB135_142
; %bb.122:
	v_cmp_gt_i16_e32 vcc_lo, 8, v10
	s_cbranch_vccnz .LBB135_132
; %bb.123:
	v_cmp_gt_i16_e32 vcc_lo, 9, v10
	s_cbranch_vccnz .LBB135_129
; %bb.124:
	v_cmp_lt_i16_e32 vcc_lo, 9, v10
	s_cbranch_vccz .LBB135_126
; %bb.125:
	v_mov_b32_e32 v2, 0
	s_mov_b32 s4, 0
	s_delay_alu instid0(VALU_DEP_1)
	v_mov_b32_e32 v3, v2
	global_store_b128 v[8:9], v[0:3], off
.LBB135_126:
	s_and_not1_b32 vcc_lo, exec_lo, s4
	s_cbranch_vccnz .LBB135_128
; %bb.127:
	v_dual_mov_b32 v2, s23 :: v_dual_mov_b32 v3, 0
	global_store_b64 v[8:9], v[2:3], off
.LBB135_128:
	s_mov_b32 s4, 0
.LBB135_129:
	s_delay_alu instid0(SALU_CYCLE_1)
	s_and_not1_b32 vcc_lo, exec_lo, s4
	s_cbranch_vccnz .LBB135_131
; %bb.130:
	global_store_b32 v[8:9], v14, off
.LBB135_131:
	s_mov_b32 s4, 0
.LBB135_132:
	s_delay_alu instid0(SALU_CYCLE_1)
	s_and_not1_b32 vcc_lo, exec_lo, s4
	s_cbranch_vccnz .LBB135_141
; %bb.133:
	v_cmp_gt_i16_e32 vcc_lo, 6, v10
	s_mov_b32 s4, -1
	s_cbranch_vccnz .LBB135_139
; %bb.134:
	v_cmp_lt_i16_e32 vcc_lo, 6, v10
	s_cbranch_vccz .LBB135_136
; %bb.135:
	s_mov_b32 s4, 0
	global_store_b64 v[8:9], v[0:1], off
.LBB135_136:
	s_and_not1_b32 vcc_lo, exec_lo, s4
	s_cbranch_vccnz .LBB135_138
; %bb.137:
	v_mov_b32_e32 v0, s23
	global_store_b32 v[8:9], v0, off
.LBB135_138:
	s_mov_b32 s4, 0
.LBB135_139:
	s_delay_alu instid0(SALU_CYCLE_1)
	s_and_not1_b32 vcc_lo, exec_lo, s4
	s_cbranch_vccnz .LBB135_141
; %bb.140:
	global_store_b16 v[8:9], v12, off
.LBB135_141:
	s_mov_b32 s4, 0
.LBB135_142:
	s_delay_alu instid0(SALU_CYCLE_1)
	s_and_not1_b32 vcc_lo, exec_lo, s4
	s_cbranch_vccnz .LBB135_158
; %bb.143:
	v_cmp_gt_i16_e32 vcc_lo, 2, v10
	s_mov_b32 s4, -1
	s_cbranch_vccnz .LBB135_153
; %bb.144:
	v_cmp_gt_i16_e32 vcc_lo, 3, v10
	s_cbranch_vccnz .LBB135_150
; %bb.145:
	v_cmp_lt_i16_e32 vcc_lo, 3, v10
	s_cbranch_vccz .LBB135_147
; %bb.146:
	s_mov_b32 s4, 0
	global_store_b64 v[8:9], v[4:5], off
.LBB135_147:
	s_and_not1_b32 vcc_lo, exec_lo, s4
	s_cbranch_vccnz .LBB135_149
; %bb.148:
	global_store_b32 v[8:9], v11, off
.LBB135_149:
	s_mov_b32 s4, 0
.LBB135_150:
	s_delay_alu instid0(SALU_CYCLE_1)
	s_and_not1_b32 vcc_lo, exec_lo, s4
	s_cbranch_vccnz .LBB135_152
; %bb.151:
	global_store_b16 v[8:9], v11, off
.LBB135_152:
	s_mov_b32 s4, 0
.LBB135_153:
	s_delay_alu instid0(SALU_CYCLE_1)
	s_and_not1_b32 vcc_lo, exec_lo, s4
	s_cbranch_vccnz .LBB135_158
; %bb.154:
	v_cmp_lt_i16_e32 vcc_lo, 0, v10
	s_mov_b32 s4, -1
	s_cbranch_vccz .LBB135_156
; %bb.155:
	s_mov_b32 s4, 0
	global_store_b8 v[8:9], v11, off
.LBB135_156:
	s_and_not1_b32 vcc_lo, exec_lo, s4
	s_cbranch_vccnz .LBB135_158
; %bb.157:
	global_store_b8 v[8:9], v4, off
.LBB135_158:
	s_or_b32 exec_lo, exec_lo, s3
	s_delay_alu instid0(SALU_CYCLE_1)
	s_and_b32 s6, s2, exec_lo
                                        ; implicit-def: $vgpr4
                                        ; implicit-def: $vgpr13
.LBB135_159:
	s_or_saveexec_b32 s7, s22
	s_mov_b32 s5, 0
                                        ; implicit-def: $vgpr5
                                        ; implicit-def: $vgpr0_vgpr1
                                        ; implicit-def: $sgpr2
	s_xor_b32 exec_lo, exec_lo, s7
	s_cbranch_execz .LBB135_895
; %bb.160:
	v_cndmask_b32_e64 v0, 0, 1, s21
	s_and_not1_b32 vcc_lo, exec_lo, s21
	s_cbranch_vccnz .LBB135_166
; %bb.161:
	v_mov_b32_e32 v3, 0
	s_cmp_eq_u32 s18, 0
	s_mov_b32 s8, 0
	s_cbranch_scc1 .LBB135_170
; %bb.162:
	s_min_u32 s9, s19, 15
	v_mov_b32_e32 v3, 0
	s_add_i32 s9, s9, 1
	s_cmp_eq_u32 s19, 2
	s_mov_b32 s10, 0
	s_cbranch_scc1 .LBB135_167
; %bb.163:
	v_mov_b32_e32 v3, 0
	v_mov_b32_e32 v1, v13
	s_add_u32 s2, s0, 0xc4
	s_addc_u32 s3, s1, 0
	s_and_b32 s10, s9, 28
	s_mov_b32 s11, 0
	s_mov_b64 s[4:5], s[0:1]
.LBB135_164:                            ; =>This Inner Loop Header: Depth=1
	s_clause 0x1
	s_load_b256 s[20:27], s[4:5], 0x4
	s_load_b128 s[12:15], s[4:5], 0x24
	s_load_b128 s[28:31], s[2:3], 0x0
	s_add_u32 s4, s4, 48
	s_addc_u32 s5, s5, 0
	s_add_i32 s11, s11, 4
	s_add_u32 s2, s2, 16
	s_addc_u32 s3, s3, 0
	s_cmp_lg_u32 s10, s11
	s_waitcnt lgkmcnt(0)
	v_mul_hi_u32 v2, s21, v1
	s_delay_alu instid0(VALU_DEP_1) | instskip(NEXT) | instid1(VALU_DEP_1)
	v_add_nc_u32_e32 v2, v1, v2
	v_lshrrev_b32_e32 v2, s22, v2
	s_delay_alu instid0(VALU_DEP_1) | instskip(SKIP_1) | instid1(VALU_DEP_2)
	v_mul_hi_u32 v5, s24, v2
	v_mul_lo_u32 v8, v2, s20
	v_add_nc_u32_e32 v5, v2, v5
	s_delay_alu instid0(VALU_DEP_2) | instskip(NEXT) | instid1(VALU_DEP_2)
	v_sub_nc_u32_e32 v8, v1, v8
	v_lshrrev_b32_e32 v5, s25, v5
	s_delay_alu instid0(VALU_DEP_2) | instskip(NEXT) | instid1(VALU_DEP_2)
	v_mul_lo_u32 v8, v8, s28
	v_mul_hi_u32 v6, s27, v5
	v_mul_lo_u32 v9, v5, s23
	s_delay_alu instid0(VALU_DEP_2) | instskip(NEXT) | instid1(VALU_DEP_2)
	v_add_nc_u32_e32 v6, v5, v6
	v_sub_nc_u32_e32 v2, v2, v9
	s_delay_alu instid0(VALU_DEP_2) | instskip(NEXT) | instid1(VALU_DEP_2)
	v_lshrrev_b32_e32 v6, s12, v6
	v_mul_lo_u32 v2, v2, s29
	s_delay_alu instid0(VALU_DEP_2) | instskip(NEXT) | instid1(VALU_DEP_2)
	v_mul_hi_u32 v7, s14, v6
	v_add3_u32 v2, v8, v3, v2
	s_delay_alu instid0(VALU_DEP_2) | instskip(NEXT) | instid1(VALU_DEP_1)
	v_add_nc_u32_e32 v7, v6, v7
	v_lshrrev_b32_e32 v1, s15, v7
	v_mul_lo_u32 v7, v6, s26
	s_delay_alu instid0(VALU_DEP_2) | instskip(NEXT) | instid1(VALU_DEP_2)
	v_mul_lo_u32 v10, v1, s13
	v_sub_nc_u32_e32 v5, v5, v7
	s_delay_alu instid0(VALU_DEP_2) | instskip(NEXT) | instid1(VALU_DEP_2)
	v_sub_nc_u32_e32 v6, v6, v10
	v_mul_lo_u32 v5, v5, s30
	s_delay_alu instid0(VALU_DEP_2) | instskip(NEXT) | instid1(VALU_DEP_1)
	v_mul_lo_u32 v6, v6, s31
	v_add3_u32 v3, v5, v2, v6
	s_cbranch_scc1 .LBB135_164
; %bb.165:
	s_and_b32 s9, s9, 3
	s_delay_alu instid0(SALU_CYCLE_1)
	s_cmp_eq_u32 s9, 0
	s_cbranch_scc0 .LBB135_168
	s_branch .LBB135_170
.LBB135_166:
	s_mov_b32 s8, -1
                                        ; implicit-def: $vgpr3
	s_branch .LBB135_170
.LBB135_167:
	v_mov_b32_e32 v1, v13
	s_and_b32 s9, s9, 3
	s_delay_alu instid0(SALU_CYCLE_1)
	s_cmp_eq_u32 s9, 0
	s_cbranch_scc1 .LBB135_170
.LBB135_168:
	s_lshl_b32 s2, s10, 2
	s_mul_i32 s4, s10, 12
	s_add_u32 s2, s2, s0
	s_addc_u32 s3, 0, s1
	s_add_u32 s2, s2, 0xc4
	s_addc_u32 s3, s3, 0
	;; [unrolled: 2-line block ×3, first 2 shown]
	.p2align	6
.LBB135_169:                            ; =>This Inner Loop Header: Depth=1
	s_clause 0x1
	s_load_b64 s[10:11], s[4:5], 0x4
	s_load_b32 s12, s[4:5], 0xc
	s_add_u32 s4, s4, 12
	s_addc_u32 s5, s5, 0
	s_waitcnt lgkmcnt(0)
	v_mul_hi_u32 v2, s11, v1
	s_load_b32 s11, s[2:3], 0x0
	s_add_u32 s2, s2, 4
	s_addc_u32 s3, s3, 0
	s_add_i32 s9, s9, -1
	s_delay_alu instid0(SALU_CYCLE_1) | instskip(NEXT) | instid1(VALU_DEP_1)
	s_cmp_lg_u32 s9, 0
	v_add_nc_u32_e32 v2, v1, v2
	s_delay_alu instid0(VALU_DEP_1) | instskip(NEXT) | instid1(VALU_DEP_1)
	v_lshrrev_b32_e32 v2, s12, v2
	v_mul_lo_u32 v5, v2, s10
	s_delay_alu instid0(VALU_DEP_1) | instskip(SKIP_1) | instid1(VALU_DEP_1)
	v_sub_nc_u32_e32 v1, v1, v5
	s_waitcnt lgkmcnt(0)
	v_mad_u64_u32 v[5:6], null, v1, s11, v[3:4]
	v_mov_b32_e32 v1, v2
	s_delay_alu instid0(VALU_DEP_2)
	v_mov_b32_e32 v3, v5
	s_cbranch_scc1 .LBB135_169
.LBB135_170:
	s_and_not1_b32 vcc_lo, exec_lo, s8
	s_cbranch_vccnz .LBB135_173
; %bb.171:
	s_clause 0x1
	s_load_b128 s[8:11], s[0:1], 0x4
	s_load_b32 s2, s[0:1], 0xc4
	s_cmp_lt_u32 s18, 2
	s_waitcnt lgkmcnt(0)
	v_mul_hi_u32 v1, s9, v13
	s_delay_alu instid0(VALU_DEP_1) | instskip(NEXT) | instid1(VALU_DEP_1)
	v_add_nc_u32_e32 v1, v13, v1
	v_lshrrev_b32_e32 v1, s10, v1
	s_delay_alu instid0(VALU_DEP_1) | instskip(NEXT) | instid1(VALU_DEP_1)
	v_mul_lo_u32 v2, v1, s8
	v_sub_nc_u32_e32 v2, v13, v2
	s_delay_alu instid0(VALU_DEP_1)
	v_mul_lo_u32 v3, v2, s2
	s_cbranch_scc1 .LBB135_173
; %bb.172:
	s_clause 0x1
	s_load_b128 s[8:11], s[0:1], 0x10
	s_load_b32 s2, s[0:1], 0xc8
	s_waitcnt lgkmcnt(0)
	v_mul_hi_u32 v2, s9, v1
	s_delay_alu instid0(VALU_DEP_1) | instskip(NEXT) | instid1(VALU_DEP_1)
	v_add_nc_u32_e32 v2, v1, v2
	v_lshrrev_b32_e32 v2, s10, v2
	s_delay_alu instid0(VALU_DEP_1) | instskip(NEXT) | instid1(VALU_DEP_1)
	v_mul_lo_u32 v2, v2, s8
	v_sub_nc_u32_e32 v5, v1, v2
	s_delay_alu instid0(VALU_DEP_1) | instskip(NEXT) | instid1(VALU_DEP_1)
	v_mad_u64_u32 v[1:2], null, v5, s2, v[3:4]
	v_mov_b32_e32 v3, v1
.LBB135_173:
	v_cmp_ne_u32_e32 vcc_lo, 1, v0
	v_add_nc_u32_e32 v1, 0x80, v13
	s_cbranch_vccnz .LBB135_179
; %bb.174:
	v_mov_b32_e32 v2, 0
	s_cmp_eq_u32 s18, 0
	s_mov_b32 s8, 0
	s_cbranch_scc1 .LBB135_183
; %bb.175:
	s_min_u32 s9, s19, 15
	v_mov_b32_e32 v2, 0
	s_add_i32 s9, s9, 1
	s_cmp_eq_u32 s19, 2
	s_mov_b32 s10, 0
	s_cbranch_scc1 .LBB135_180
; %bb.176:
	v_dual_mov_b32 v2, 0 :: v_dual_mov_b32 v5, v1
	s_add_u32 s2, s0, 0xc4
	s_addc_u32 s3, s1, 0
	s_and_b32 s10, s9, 28
	s_mov_b32 s11, 0
	s_mov_b64 s[4:5], s[0:1]
.LBB135_177:                            ; =>This Inner Loop Header: Depth=1
	s_clause 0x1
	s_load_b256 s[20:27], s[4:5], 0x4
	s_load_b128 s[12:15], s[4:5], 0x24
	s_load_b128 s[28:31], s[2:3], 0x0
	s_add_u32 s4, s4, 48
	s_addc_u32 s5, s5, 0
	s_add_i32 s11, s11, 4
	s_add_u32 s2, s2, 16
	s_addc_u32 s3, s3, 0
	s_cmp_lg_u32 s10, s11
	s_waitcnt lgkmcnt(0)
	v_mul_hi_u32 v6, s21, v5
	s_delay_alu instid0(VALU_DEP_1) | instskip(NEXT) | instid1(VALU_DEP_1)
	v_add_nc_u32_e32 v6, v5, v6
	v_lshrrev_b32_e32 v6, s22, v6
	s_delay_alu instid0(VALU_DEP_1) | instskip(SKIP_1) | instid1(VALU_DEP_2)
	v_mul_hi_u32 v7, s24, v6
	v_mul_lo_u32 v10, v6, s20
	v_add_nc_u32_e32 v7, v6, v7
	s_delay_alu instid0(VALU_DEP_2) | instskip(NEXT) | instid1(VALU_DEP_2)
	v_sub_nc_u32_e32 v10, v5, v10
	v_lshrrev_b32_e32 v7, s25, v7
	s_delay_alu instid0(VALU_DEP_2) | instskip(NEXT) | instid1(VALU_DEP_2)
	v_mul_lo_u32 v10, v10, s28
	v_mul_hi_u32 v8, s27, v7
	v_mul_lo_u32 v11, v7, s23
	s_delay_alu instid0(VALU_DEP_2) | instskip(NEXT) | instid1(VALU_DEP_2)
	v_add_nc_u32_e32 v8, v7, v8
	v_sub_nc_u32_e32 v6, v6, v11
	s_delay_alu instid0(VALU_DEP_2) | instskip(NEXT) | instid1(VALU_DEP_2)
	v_lshrrev_b32_e32 v8, s12, v8
	v_mul_lo_u32 v6, v6, s29
	s_delay_alu instid0(VALU_DEP_2) | instskip(NEXT) | instid1(VALU_DEP_2)
	v_mul_hi_u32 v9, s14, v8
	v_add3_u32 v2, v10, v2, v6
	s_delay_alu instid0(VALU_DEP_2) | instskip(NEXT) | instid1(VALU_DEP_1)
	v_add_nc_u32_e32 v9, v8, v9
	v_lshrrev_b32_e32 v5, s15, v9
	v_mul_lo_u32 v9, v8, s26
	s_delay_alu instid0(VALU_DEP_2) | instskip(NEXT) | instid1(VALU_DEP_2)
	v_mul_lo_u32 v12, v5, s13
	v_sub_nc_u32_e32 v7, v7, v9
	s_delay_alu instid0(VALU_DEP_2) | instskip(NEXT) | instid1(VALU_DEP_2)
	v_sub_nc_u32_e32 v8, v8, v12
	v_mul_lo_u32 v7, v7, s30
	s_delay_alu instid0(VALU_DEP_2) | instskip(NEXT) | instid1(VALU_DEP_1)
	v_mul_lo_u32 v8, v8, s31
	v_add3_u32 v2, v7, v2, v8
	s_cbranch_scc1 .LBB135_177
; %bb.178:
	s_and_b32 s9, s9, 3
	s_delay_alu instid0(SALU_CYCLE_1)
	s_cmp_eq_u32 s9, 0
	s_cbranch_scc0 .LBB135_181
	s_branch .LBB135_183
.LBB135_179:
	s_mov_b32 s8, -1
                                        ; implicit-def: $vgpr2
	s_branch .LBB135_183
.LBB135_180:
	v_mov_b32_e32 v5, v1
	s_and_b32 s9, s9, 3
	s_delay_alu instid0(SALU_CYCLE_1)
	s_cmp_eq_u32 s9, 0
	s_cbranch_scc1 .LBB135_183
.LBB135_181:
	s_lshl_b32 s2, s10, 2
	s_mul_i32 s4, s10, 12
	s_add_u32 s2, s2, s0
	s_addc_u32 s3, 0, s1
	s_add_u32 s2, s2, 0xc4
	s_addc_u32 s3, s3, 0
	;; [unrolled: 2-line block ×3, first 2 shown]
	.p2align	6
.LBB135_182:                            ; =>This Inner Loop Header: Depth=1
	s_clause 0x1
	s_load_b64 s[10:11], s[4:5], 0x4
	s_load_b32 s12, s[4:5], 0xc
	s_add_u32 s4, s4, 12
	s_addc_u32 s5, s5, 0
	s_waitcnt lgkmcnt(0)
	v_mul_hi_u32 v6, s11, v5
	s_load_b32 s11, s[2:3], 0x0
	s_add_u32 s2, s2, 4
	s_addc_u32 s3, s3, 0
	s_add_i32 s9, s9, -1
	s_delay_alu instid0(SALU_CYCLE_1) | instskip(NEXT) | instid1(VALU_DEP_1)
	s_cmp_lg_u32 s9, 0
	v_add_nc_u32_e32 v6, v5, v6
	s_delay_alu instid0(VALU_DEP_1) | instskip(NEXT) | instid1(VALU_DEP_1)
	v_lshrrev_b32_e32 v8, s12, v6
	v_mul_lo_u32 v6, v8, s10
	s_delay_alu instid0(VALU_DEP_1) | instskip(SKIP_1) | instid1(VALU_DEP_1)
	v_sub_nc_u32_e32 v5, v5, v6
	s_waitcnt lgkmcnt(0)
	v_mad_u64_u32 v[6:7], null, v5, s11, v[2:3]
	s_delay_alu instid0(VALU_DEP_1)
	v_dual_mov_b32 v5, v8 :: v_dual_mov_b32 v2, v6
	s_cbranch_scc1 .LBB135_182
.LBB135_183:
	s_and_not1_b32 vcc_lo, exec_lo, s8
	s_cbranch_vccnz .LBB135_186
; %bb.184:
	s_clause 0x1
	s_load_b128 s[8:11], s[0:1], 0x4
	s_load_b32 s2, s[0:1], 0xc4
	s_cmp_lt_u32 s18, 2
	s_waitcnt lgkmcnt(0)
	v_mul_hi_u32 v2, s9, v1
	s_delay_alu instid0(VALU_DEP_1) | instskip(NEXT) | instid1(VALU_DEP_1)
	v_add_nc_u32_e32 v2, v1, v2
	v_lshrrev_b32_e32 v5, s10, v2
	s_delay_alu instid0(VALU_DEP_1) | instskip(NEXT) | instid1(VALU_DEP_1)
	v_mul_lo_u32 v2, v5, s8
	v_sub_nc_u32_e32 v1, v1, v2
	s_delay_alu instid0(VALU_DEP_1)
	v_mul_lo_u32 v2, v1, s2
	s_cbranch_scc1 .LBB135_186
; %bb.185:
	s_clause 0x1
	s_load_b128 s[8:11], s[0:1], 0x10
	s_load_b32 s2, s[0:1], 0xc8
	s_waitcnt lgkmcnt(0)
	v_mul_hi_u32 v1, s9, v5
	s_delay_alu instid0(VALU_DEP_1) | instskip(NEXT) | instid1(VALU_DEP_1)
	v_add_nc_u32_e32 v1, v5, v1
	v_lshrrev_b32_e32 v1, s10, v1
	s_delay_alu instid0(VALU_DEP_1) | instskip(NEXT) | instid1(VALU_DEP_1)
	v_mul_lo_u32 v1, v1, s8
	v_sub_nc_u32_e32 v1, v5, v1
	s_delay_alu instid0(VALU_DEP_1) | instskip(NEXT) | instid1(VALU_DEP_1)
	v_mad_u64_u32 v[5:6], null, v1, s2, v[2:3]
	v_mov_b32_e32 v2, v5
.LBB135_186:
	v_cmp_ne_u32_e32 vcc_lo, 1, v0
	v_add_nc_u32_e32 v5, 0x100, v13
	s_cbranch_vccnz .LBB135_192
; %bb.187:
	v_mov_b32_e32 v1, 0
	s_cmp_eq_u32 s18, 0
	s_mov_b32 s8, 0
	s_cbranch_scc1 .LBB135_196
; %bb.188:
	s_min_u32 s9, s19, 15
	v_mov_b32_e32 v1, 0
	s_add_i32 s9, s9, 1
	s_cmp_eq_u32 s19, 2
	s_mov_b32 s10, 0
	s_cbranch_scc1 .LBB135_193
; %bb.189:
	v_dual_mov_b32 v1, 0 :: v_dual_mov_b32 v6, v5
	s_add_u32 s2, s0, 0xc4
	s_addc_u32 s3, s1, 0
	s_and_b32 s10, s9, 28
	s_mov_b32 s11, 0
	s_mov_b64 s[4:5], s[0:1]
.LBB135_190:                            ; =>This Inner Loop Header: Depth=1
	s_clause 0x1
	s_load_b256 s[20:27], s[4:5], 0x4
	s_load_b128 s[12:15], s[4:5], 0x24
	s_load_b128 s[28:31], s[2:3], 0x0
	s_add_u32 s4, s4, 48
	s_addc_u32 s5, s5, 0
	s_add_i32 s11, s11, 4
	s_add_u32 s2, s2, 16
	s_addc_u32 s3, s3, 0
	s_cmp_lg_u32 s10, s11
	s_waitcnt lgkmcnt(0)
	v_mul_hi_u32 v7, s21, v6
	s_delay_alu instid0(VALU_DEP_1) | instskip(NEXT) | instid1(VALU_DEP_1)
	v_add_nc_u32_e32 v7, v6, v7
	v_lshrrev_b32_e32 v7, s22, v7
	s_delay_alu instid0(VALU_DEP_1) | instskip(SKIP_1) | instid1(VALU_DEP_2)
	v_mul_hi_u32 v8, s24, v7
	v_mul_lo_u32 v11, v7, s20
	v_add_nc_u32_e32 v8, v7, v8
	s_delay_alu instid0(VALU_DEP_2) | instskip(NEXT) | instid1(VALU_DEP_2)
	v_sub_nc_u32_e32 v11, v6, v11
	v_lshrrev_b32_e32 v8, s25, v8
	s_delay_alu instid0(VALU_DEP_2) | instskip(NEXT) | instid1(VALU_DEP_2)
	v_mul_lo_u32 v11, v11, s28
	v_mul_hi_u32 v9, s27, v8
	v_mul_lo_u32 v12, v8, s23
	s_delay_alu instid0(VALU_DEP_2) | instskip(NEXT) | instid1(VALU_DEP_2)
	v_add_nc_u32_e32 v9, v8, v9
	v_sub_nc_u32_e32 v7, v7, v12
	s_delay_alu instid0(VALU_DEP_2) | instskip(NEXT) | instid1(VALU_DEP_2)
	v_lshrrev_b32_e32 v9, s12, v9
	v_mul_lo_u32 v7, v7, s29
	s_delay_alu instid0(VALU_DEP_2) | instskip(NEXT) | instid1(VALU_DEP_2)
	v_mul_hi_u32 v10, s14, v9
	v_add3_u32 v1, v11, v1, v7
	s_delay_alu instid0(VALU_DEP_2) | instskip(NEXT) | instid1(VALU_DEP_1)
	v_add_nc_u32_e32 v10, v9, v10
	v_lshrrev_b32_e32 v6, s15, v10
	v_mul_lo_u32 v10, v9, s26
	s_delay_alu instid0(VALU_DEP_2) | instskip(NEXT) | instid1(VALU_DEP_2)
	v_mul_lo_u32 v13, v6, s13
	v_sub_nc_u32_e32 v8, v8, v10
	s_delay_alu instid0(VALU_DEP_2) | instskip(NEXT) | instid1(VALU_DEP_2)
	v_sub_nc_u32_e32 v9, v9, v13
	v_mul_lo_u32 v8, v8, s30
	s_delay_alu instid0(VALU_DEP_2) | instskip(NEXT) | instid1(VALU_DEP_1)
	v_mul_lo_u32 v9, v9, s31
	v_add3_u32 v1, v8, v1, v9
	s_cbranch_scc1 .LBB135_190
; %bb.191:
	s_and_b32 s9, s9, 3
	s_delay_alu instid0(SALU_CYCLE_1)
	s_cmp_eq_u32 s9, 0
	s_cbranch_scc0 .LBB135_194
	s_branch .LBB135_196
.LBB135_192:
	s_mov_b32 s8, -1
                                        ; implicit-def: $vgpr1
	s_branch .LBB135_196
.LBB135_193:
	v_mov_b32_e32 v6, v5
	s_and_b32 s9, s9, 3
	s_delay_alu instid0(SALU_CYCLE_1)
	s_cmp_eq_u32 s9, 0
	s_cbranch_scc1 .LBB135_196
.LBB135_194:
	s_lshl_b32 s2, s10, 2
	s_mul_i32 s4, s10, 12
	s_add_u32 s2, s2, s0
	s_addc_u32 s3, 0, s1
	s_add_u32 s2, s2, 0xc4
	s_addc_u32 s3, s3, 0
	;; [unrolled: 2-line block ×3, first 2 shown]
	.p2align	6
.LBB135_195:                            ; =>This Inner Loop Header: Depth=1
	s_clause 0x1
	s_load_b64 s[10:11], s[4:5], 0x4
	s_load_b32 s12, s[4:5], 0xc
	s_add_u32 s4, s4, 12
	s_addc_u32 s5, s5, 0
	s_waitcnt lgkmcnt(0)
	v_mul_hi_u32 v7, s11, v6
	s_load_b32 s11, s[2:3], 0x0
	s_add_u32 s2, s2, 4
	s_addc_u32 s3, s3, 0
	s_add_i32 s9, s9, -1
	s_delay_alu instid0(SALU_CYCLE_1) | instskip(NEXT) | instid1(VALU_DEP_1)
	s_cmp_lg_u32 s9, 0
	v_add_nc_u32_e32 v7, v6, v7
	s_delay_alu instid0(VALU_DEP_1) | instskip(NEXT) | instid1(VALU_DEP_1)
	v_lshrrev_b32_e32 v9, s12, v7
	v_mul_lo_u32 v7, v9, s10
	s_delay_alu instid0(VALU_DEP_1) | instskip(SKIP_1) | instid1(VALU_DEP_1)
	v_sub_nc_u32_e32 v6, v6, v7
	s_waitcnt lgkmcnt(0)
	v_mad_u64_u32 v[7:8], null, v6, s11, v[1:2]
	s_delay_alu instid0(VALU_DEP_1)
	v_dual_mov_b32 v6, v9 :: v_dual_mov_b32 v1, v7
	s_cbranch_scc1 .LBB135_195
.LBB135_196:
	s_and_not1_b32 vcc_lo, exec_lo, s8
	s_cbranch_vccnz .LBB135_199
; %bb.197:
	s_clause 0x1
	s_load_b128 s[8:11], s[0:1], 0x4
	s_load_b32 s2, s[0:1], 0xc4
	s_cmp_lt_u32 s18, 2
	s_waitcnt lgkmcnt(0)
	v_mul_hi_u32 v1, s9, v5
	s_delay_alu instid0(VALU_DEP_1) | instskip(NEXT) | instid1(VALU_DEP_1)
	v_add_nc_u32_e32 v1, v5, v1
	v_lshrrev_b32_e32 v6, s10, v1
	s_delay_alu instid0(VALU_DEP_1) | instskip(NEXT) | instid1(VALU_DEP_1)
	v_mul_lo_u32 v1, v6, s8
	v_sub_nc_u32_e32 v1, v5, v1
	s_delay_alu instid0(VALU_DEP_1)
	v_mul_lo_u32 v1, v1, s2
	s_cbranch_scc1 .LBB135_199
; %bb.198:
	s_clause 0x1
	s_load_b128 s[8:11], s[0:1], 0x10
	s_load_b32 s2, s[0:1], 0xc8
	s_waitcnt lgkmcnt(0)
	v_mul_hi_u32 v5, s9, v6
	s_delay_alu instid0(VALU_DEP_1) | instskip(NEXT) | instid1(VALU_DEP_1)
	v_add_nc_u32_e32 v5, v6, v5
	v_lshrrev_b32_e32 v5, s10, v5
	s_delay_alu instid0(VALU_DEP_1) | instskip(NEXT) | instid1(VALU_DEP_1)
	v_mul_lo_u32 v5, v5, s8
	v_sub_nc_u32_e32 v7, v6, v5
	s_delay_alu instid0(VALU_DEP_1) | instskip(NEXT) | instid1(VALU_DEP_1)
	v_mad_u64_u32 v[5:6], null, v7, s2, v[1:2]
	v_mov_b32_e32 v1, v5
.LBB135_199:
	v_cmp_ne_u32_e32 vcc_lo, 1, v0
	s_cbranch_vccnz .LBB135_205
; %bb.200:
	v_mov_b32_e32 v0, 0
	s_cmp_eq_u32 s18, 0
	s_mov_b32 s8, 0
	s_cbranch_scc1 .LBB135_209
; %bb.201:
	s_min_u32 s9, s19, 15
	v_mov_b32_e32 v0, 0
	s_add_i32 s9, s9, 1
	s_cmp_eq_u32 s19, 2
	s_mov_b32 s10, 0
	s_cbranch_scc1 .LBB135_206
; %bb.202:
	v_dual_mov_b32 v0, 0 :: v_dual_mov_b32 v5, v4
	s_add_u32 s2, s0, 0xc4
	s_addc_u32 s3, s1, 0
	s_and_b32 s10, s9, 28
	s_mov_b32 s11, 0
	s_mov_b64 s[4:5], s[0:1]
.LBB135_203:                            ; =>This Inner Loop Header: Depth=1
	s_clause 0x1
	s_load_b256 s[20:27], s[4:5], 0x4
	s_load_b128 s[12:15], s[4:5], 0x24
	s_load_b128 s[28:31], s[2:3], 0x0
	s_add_u32 s4, s4, 48
	s_addc_u32 s5, s5, 0
	s_add_i32 s11, s11, 4
	s_add_u32 s2, s2, 16
	s_addc_u32 s3, s3, 0
	s_cmp_lg_u32 s10, s11
	s_waitcnt lgkmcnt(0)
	v_mul_hi_u32 v6, s21, v5
	s_delay_alu instid0(VALU_DEP_1) | instskip(NEXT) | instid1(VALU_DEP_1)
	v_add_nc_u32_e32 v6, v5, v6
	v_lshrrev_b32_e32 v6, s22, v6
	s_delay_alu instid0(VALU_DEP_1) | instskip(SKIP_1) | instid1(VALU_DEP_2)
	v_mul_hi_u32 v7, s24, v6
	v_mul_lo_u32 v10, v6, s20
	v_add_nc_u32_e32 v7, v6, v7
	s_delay_alu instid0(VALU_DEP_2) | instskip(NEXT) | instid1(VALU_DEP_2)
	v_sub_nc_u32_e32 v10, v5, v10
	v_lshrrev_b32_e32 v7, s25, v7
	s_delay_alu instid0(VALU_DEP_2) | instskip(NEXT) | instid1(VALU_DEP_2)
	v_mul_lo_u32 v10, v10, s28
	v_mul_hi_u32 v8, s27, v7
	v_mul_lo_u32 v11, v7, s23
	s_delay_alu instid0(VALU_DEP_2) | instskip(NEXT) | instid1(VALU_DEP_2)
	v_add_nc_u32_e32 v8, v7, v8
	v_sub_nc_u32_e32 v6, v6, v11
	s_delay_alu instid0(VALU_DEP_2) | instskip(NEXT) | instid1(VALU_DEP_2)
	v_lshrrev_b32_e32 v8, s12, v8
	v_mul_lo_u32 v6, v6, s29
	s_delay_alu instid0(VALU_DEP_2) | instskip(NEXT) | instid1(VALU_DEP_2)
	v_mul_hi_u32 v9, s14, v8
	v_add3_u32 v0, v10, v0, v6
	s_delay_alu instid0(VALU_DEP_2) | instskip(NEXT) | instid1(VALU_DEP_1)
	v_add_nc_u32_e32 v9, v8, v9
	v_lshrrev_b32_e32 v5, s15, v9
	v_mul_lo_u32 v9, v8, s26
	s_delay_alu instid0(VALU_DEP_2) | instskip(NEXT) | instid1(VALU_DEP_2)
	v_mul_lo_u32 v12, v5, s13
	v_sub_nc_u32_e32 v7, v7, v9
	s_delay_alu instid0(VALU_DEP_2) | instskip(NEXT) | instid1(VALU_DEP_2)
	v_sub_nc_u32_e32 v8, v8, v12
	v_mul_lo_u32 v7, v7, s30
	s_delay_alu instid0(VALU_DEP_2) | instskip(NEXT) | instid1(VALU_DEP_1)
	v_mul_lo_u32 v8, v8, s31
	v_add3_u32 v0, v7, v0, v8
	s_cbranch_scc1 .LBB135_203
; %bb.204:
	s_and_b32 s9, s9, 3
	s_delay_alu instid0(SALU_CYCLE_1)
	s_cmp_eq_u32 s9, 0
	s_cbranch_scc0 .LBB135_207
	s_branch .LBB135_209
.LBB135_205:
	s_mov_b32 s8, -1
                                        ; implicit-def: $vgpr0
	s_branch .LBB135_209
.LBB135_206:
	v_mov_b32_e32 v5, v4
	s_and_b32 s9, s9, 3
	s_delay_alu instid0(SALU_CYCLE_1)
	s_cmp_eq_u32 s9, 0
	s_cbranch_scc1 .LBB135_209
.LBB135_207:
	s_lshl_b32 s2, s10, 2
	s_mul_i32 s4, s10, 12
	s_add_u32 s2, s2, s0
	s_addc_u32 s3, 0, s1
	s_add_u32 s2, s2, 0xc4
	s_addc_u32 s3, s3, 0
	;; [unrolled: 2-line block ×3, first 2 shown]
	.p2align	6
.LBB135_208:                            ; =>This Inner Loop Header: Depth=1
	s_clause 0x1
	s_load_b64 s[10:11], s[4:5], 0x4
	s_load_b32 s12, s[4:5], 0xc
	s_add_u32 s4, s4, 12
	s_addc_u32 s5, s5, 0
	s_waitcnt lgkmcnt(0)
	v_mul_hi_u32 v6, s11, v5
	s_load_b32 s11, s[2:3], 0x0
	s_add_u32 s2, s2, 4
	s_addc_u32 s3, s3, 0
	s_add_i32 s9, s9, -1
	s_delay_alu instid0(SALU_CYCLE_1) | instskip(NEXT) | instid1(VALU_DEP_1)
	s_cmp_lg_u32 s9, 0
	v_add_nc_u32_e32 v6, v5, v6
	s_delay_alu instid0(VALU_DEP_1) | instskip(NEXT) | instid1(VALU_DEP_1)
	v_lshrrev_b32_e32 v8, s12, v6
	v_mul_lo_u32 v6, v8, s10
	s_delay_alu instid0(VALU_DEP_1) | instskip(SKIP_1) | instid1(VALU_DEP_1)
	v_sub_nc_u32_e32 v5, v5, v6
	s_waitcnt lgkmcnt(0)
	v_mad_u64_u32 v[6:7], null, v5, s11, v[0:1]
	s_delay_alu instid0(VALU_DEP_1)
	v_dual_mov_b32 v5, v8 :: v_dual_mov_b32 v0, v6
	s_cbranch_scc1 .LBB135_208
.LBB135_209:
	s_and_not1_b32 vcc_lo, exec_lo, s8
	s_cbranch_vccnz .LBB135_212
; %bb.210:
	s_clause 0x1
	s_load_b128 s[8:11], s[0:1], 0x4
	s_load_b32 s2, s[0:1], 0xc4
	s_cmp_lt_u32 s18, 2
	s_waitcnt lgkmcnt(0)
	v_mul_hi_u32 v0, s9, v4
	s_delay_alu instid0(VALU_DEP_1) | instskip(NEXT) | instid1(VALU_DEP_1)
	v_add_nc_u32_e32 v0, v4, v0
	v_lshrrev_b32_e32 v5, s10, v0
	s_delay_alu instid0(VALU_DEP_1) | instskip(NEXT) | instid1(VALU_DEP_1)
	v_mul_lo_u32 v0, v5, s8
	v_sub_nc_u32_e32 v0, v4, v0
	s_delay_alu instid0(VALU_DEP_1)
	v_mul_lo_u32 v0, v0, s2
	s_cbranch_scc1 .LBB135_212
; %bb.211:
	s_clause 0x1
	s_load_b128 s[8:11], s[0:1], 0x10
	s_load_b32 s2, s[0:1], 0xc8
	s_waitcnt lgkmcnt(0)
	v_mul_hi_u32 v4, s9, v5
	s_delay_alu instid0(VALU_DEP_1) | instskip(NEXT) | instid1(VALU_DEP_1)
	v_add_nc_u32_e32 v4, v5, v4
	v_lshrrev_b32_e32 v4, s10, v4
	s_delay_alu instid0(VALU_DEP_1) | instskip(NEXT) | instid1(VALU_DEP_1)
	v_mul_lo_u32 v4, v4, s8
	v_sub_nc_u32_e32 v6, v5, v4
	s_delay_alu instid0(VALU_DEP_1) | instskip(NEXT) | instid1(VALU_DEP_1)
	v_mad_u64_u32 v[4:5], null, v6, s2, v[0:1]
	v_mov_b32_e32 v0, v4
.LBB135_212:
	s_clause 0x1
	s_load_b32 s2, s[0:1], 0x110
	s_load_b64 s[0:1], s[0:1], 0x108
	s_mov_b32 s5, 0
	s_mov_b32 s4, -1
	s_waitcnt lgkmcnt(0)
	v_lshrrev_b16 v5, 8, s2
	v_add_co_u32 v3, s3, s0, v3
	s_delay_alu instid0(VALU_DEP_1) | instskip(NEXT) | instid1(VALU_DEP_3)
	v_add_co_ci_u32_e64 v4, null, s1, 0, s3
	v_cmp_gt_i16_e32 vcc_lo, 11, v5
	s_mov_b32 s3, s6
	s_cbranch_vccnz .LBB135_461
; %bb.213:
	v_cmp_lt_i16_e32 vcc_lo, 25, v5
	s_mov_b32 s8, -1
	s_mov_b32 s4, 0
	s_mov_b32 s3, 0
	s_cbranch_vccz .LBB135_306
; %bb.214:
	v_cmp_lt_i16_e32 vcc_lo, 28, v5
	s_cbranch_vccz .LBB135_229
; %bb.215:
	v_cmp_lt_i16_e32 vcc_lo, 43, v5
	;; [unrolled: 3-line block ×3, first 2 shown]
	s_cbranch_vccz .LBB135_219
; %bb.217:
	v_cmp_eq_u16_e32 vcc_lo, 46, v5
	s_mov_b32 s3, -1
	s_mov_b32 s8, 0
	s_cbranch_vccz .LBB135_219
; %bb.218:
	s_lshl_b32 s3, s2, 24
	s_delay_alu instid0(SALU_CYCLE_1)
	s_and_b32 s5, s3, 0x7f000000
	s_and_b32 s3, s3, 0x80000000
	s_clz_i32_u32 s9, s5
	s_add_i32 s10, s5, 0x1000000
	s_min_u32 s9, s9, 32
	s_ashr_i32 s10, s10, 8
	v_sub_nc_u32_e64 v6, s9, 4 clamp
	s_and_b32 s10, s10, 0x7f800000
	s_delay_alu instid0(VALU_DEP_1) | instskip(NEXT) | instid1(VALU_DEP_1)
	v_readfirstlane_b32 s9, v6
	s_lshl_b32 s11, s5, s9
	s_lshl_b32 s9, s9, 23
	s_lshr_b32 s11, s11, 4
	s_delay_alu instid0(SALU_CYCLE_1) | instskip(NEXT) | instid1(SALU_CYCLE_1)
	s_sub_i32 s9, s11, s9
	s_add_i32 s9, s9, 0x3c000000
	s_delay_alu instid0(SALU_CYCLE_1) | instskip(SKIP_2) | instid1(SALU_CYCLE_1)
	s_or_b32 s9, s9, s10
	s_cmp_lg_u32 s5, 0
	s_cselect_b32 s5, s9, 0
	s_or_b32 s3, s5, s3
	s_bfe_u32 s5, s5, 0x10010
	s_delay_alu instid0(SALU_CYCLE_1) | instskip(SKIP_2) | instid1(SALU_CYCLE_1)
	s_add_i32 s5, s3, s5
	v_cmp_o_f32_e64 s3, s3, s3
	s_addk_i32 s5, 0x7fff
	s_lshr_b32 s5, s5, 16
	s_delay_alu instid0(VALU_DEP_1)
	s_and_b32 s3, s3, exec_lo
	s_cselect_b32 s3, s5, 0x7fc0
	s_mov_b32 s5, -1
	v_mov_b32_e32 v6, s3
	s_mov_b32 s3, 0
	global_store_b32 v[3:4], v6, off
.LBB135_219:
	s_and_b32 vcc_lo, exec_lo, s8
	s_cbranch_vccz .LBB135_224
; %bb.220:
	v_cmp_eq_u16_e32 vcc_lo, 44, v5
	s_mov_b32 s3, -1
	s_cbranch_vccz .LBB135_224
; %bb.221:
	s_lshl_b32 s3, s2, 24
	s_delay_alu instid0(SALU_CYCLE_1) | instskip(NEXT) | instid1(SALU_CYCLE_1)
	s_and_b32 s3, s3, 0x7f000000
	s_clz_i32_u32 s5, s3
	s_add_i32 s8, s3, 0x1000000
	s_min_u32 s5, s5, 32
	s_ashr_i32 s8, s8, 8
	v_sub_nc_u32_e64 v6, s5, 4 clamp
	s_and_b32 s8, s8, 0x7f800000
	s_delay_alu instid0(VALU_DEP_1) | instskip(SKIP_1) | instid1(VALU_DEP_2)
	v_readfirstlane_b32 s5, v6
	v_mov_b32_e32 v6, 0xff
	s_lshl_b32 s9, s3, s5
	s_lshl_b32 s5, s5, 23
	s_lshr_b32 s9, s9, 4
	s_delay_alu instid0(SALU_CYCLE_1) | instskip(NEXT) | instid1(SALU_CYCLE_1)
	s_sub_i32 s5, s9, s5
	s_add_i32 s5, s5, 0x3c000000
	s_delay_alu instid0(SALU_CYCLE_1) | instskip(SKIP_3) | instid1(SALU_CYCLE_1)
	s_or_b32 s5, s5, s8
	s_cmp_lg_u32 s3, 0
	s_mov_b32 s3, 0
	s_cselect_b32 s8, s5, 0
	s_lshr_b32 s5, s8, 23
	s_delay_alu instid0(SALU_CYCLE_1)
	s_cmpk_eq_i32 s5, 0xff
	s_cbranch_scc1 .LBB135_223
; %bb.222:
	s_bitcmp1_b32 s8, 22
	s_cselect_b32 s9, -1, 0
	s_and_b32 s8, s8, 0x3fffff
	s_delay_alu instid0(SALU_CYCLE_1) | instskip(NEXT) | instid1(SALU_CYCLE_1)
	s_or_b32 s8, s5, s8
	s_cmp_lg_u32 s8, 0
	s_cselect_b32 s8, -1, 0
	s_delay_alu instid0(SALU_CYCLE_1) | instskip(NEXT) | instid1(SALU_CYCLE_1)
	s_and_b32 s8, s9, s8
	v_cndmask_b32_e64 v6, 0, 1, s8
	s_delay_alu instid0(VALU_DEP_1)
	v_add_nc_u32_e32 v6, s5, v6
.LBB135_223:
	s_mov_b32 s5, -1
	global_store_b8 v[3:4], v6, off
.LBB135_224:
	s_mov_b32 s8, 0
.LBB135_225:
	s_delay_alu instid0(SALU_CYCLE_1)
	s_and_b32 vcc_lo, exec_lo, s8
	s_cbranch_vccz .LBB135_228
; %bb.226:
	v_cmp_eq_u16_e32 vcc_lo, 29, v5
	s_mov_b32 s3, -1
	s_cbranch_vccz .LBB135_228
; %bb.227:
	s_lshl_b32 s3, s2, 24
	s_delay_alu instid0(SALU_CYCLE_1)
	s_and_b32 s5, s3, 0x7f000000
	s_and_b32 s3, s3, 0x80000000
	s_clz_i32_u32 s8, s5
	s_add_i32 s9, s5, 0x1000000
	s_min_u32 s8, s8, 32
	s_ashr_i32 s9, s9, 8
	v_sub_nc_u32_e64 v6, s8, 4 clamp
	s_and_b32 s9, s9, 0x7f800000
	s_delay_alu instid0(VALU_DEP_1) | instskip(NEXT) | instid1(VALU_DEP_1)
	v_readfirstlane_b32 s8, v6
	s_lshl_b32 s10, s5, s8
	s_lshl_b32 s8, s8, 23
	s_lshr_b32 s10, s10, 4
	s_delay_alu instid0(SALU_CYCLE_1) | instskip(NEXT) | instid1(SALU_CYCLE_1)
	s_sub_i32 s8, s10, s8
	s_add_i32 s8, s8, 0x3c000000
	s_delay_alu instid0(SALU_CYCLE_1) | instskip(SKIP_2) | instid1(SALU_CYCLE_1)
	s_or_b32 s8, s8, s9
	s_cmp_lg_u32 s5, 0
	s_cselect_b32 s5, s8, 0
	s_or_b32 s3, s5, s3
	s_mov_b32 s5, -1
	v_trunc_f32_e32 v6, s3
	s_mov_b32 s3, 0
	s_delay_alu instid0(VALU_DEP_1) | instskip(NEXT) | instid1(VALU_DEP_1)
	v_mul_f32_e32 v7, 0x2f800000, v6
	v_floor_f32_e32 v7, v7
	s_delay_alu instid0(VALU_DEP_1) | instskip(SKIP_1) | instid1(VALU_DEP_2)
	v_fmamk_f32 v6, v7, 0xcf800000, v6
	v_cvt_u32_f32_e32 v7, v7
	v_cvt_u32_f32_e32 v6, v6
	global_store_b64 v[3:4], v[6:7], off
.LBB135_228:
	s_mov_b32 s8, 0
.LBB135_229:
	s_delay_alu instid0(SALU_CYCLE_1)
	s_and_b32 vcc_lo, exec_lo, s8
	s_cbranch_vccz .LBB135_305
; %bb.230:
	v_cmp_gt_i16_e32 vcc_lo, 27, v5
	s_mov_b32 s5, -1
	s_cbranch_vccnz .LBB135_236
; %bb.231:
	v_cmp_lt_i16_e32 vcc_lo, 27, v5
	s_cbranch_vccz .LBB135_233
; %bb.232:
	s_lshl_b32 s5, s2, 24
	s_delay_alu instid0(SALU_CYCLE_1)
	s_and_b32 s8, s5, 0x7f000000
	s_and_b32 s5, s5, 0x80000000
	s_clz_i32_u32 s9, s8
	s_add_i32 s11, s8, 0x1000000
	s_min_u32 s9, s9, 32
	s_ashr_i32 s11, s11, 8
	v_sub_nc_u32_e64 v6, s9, 4 clamp
	s_delay_alu instid0(VALU_DEP_1) | instskip(NEXT) | instid1(VALU_DEP_1)
	v_readfirstlane_b32 s9, v6
	s_lshl_b32 s10, s8, s9
	s_lshl_b32 s9, s9, 23
	s_lshr_b32 s10, s10, 4
	s_delay_alu instid0(SALU_CYCLE_1) | instskip(SKIP_2) | instid1(SALU_CYCLE_1)
	s_sub_i32 s9, s10, s9
	s_and_b32 s10, s11, 0x7f800000
	s_add_i32 s9, s9, 0x3c000000
	s_or_b32 s9, s9, s10
	s_cmp_lg_u32 s8, 0
	s_cselect_b32 s8, s9, 0
	s_delay_alu instid0(SALU_CYCLE_1) | instskip(NEXT) | instid1(SALU_CYCLE_1)
	s_or_b32 s5, s8, s5
	v_cvt_u32_f32_e32 v6, s5
	s_mov_b32 s5, 0
	global_store_b32 v[3:4], v6, off
.LBB135_233:
	s_and_not1_b32 vcc_lo, exec_lo, s5
	s_cbranch_vccnz .LBB135_235
; %bb.234:
	s_lshl_b32 s5, s2, 24
	s_delay_alu instid0(SALU_CYCLE_1)
	s_and_b32 s8, s5, 0x7f000000
	s_and_b32 s5, s5, 0x80000000
	s_clz_i32_u32 s9, s8
	s_add_i32 s11, s8, 0x1000000
	s_min_u32 s9, s9, 32
	s_ashr_i32 s11, s11, 8
	v_sub_nc_u32_e64 v6, s9, 4 clamp
	s_delay_alu instid0(VALU_DEP_1) | instskip(NEXT) | instid1(VALU_DEP_1)
	v_readfirstlane_b32 s9, v6
	s_lshl_b32 s10, s8, s9
	s_lshl_b32 s9, s9, 23
	s_lshr_b32 s10, s10, 4
	s_delay_alu instid0(SALU_CYCLE_1) | instskip(SKIP_2) | instid1(SALU_CYCLE_1)
	s_sub_i32 s9, s10, s9
	s_and_b32 s10, s11, 0x7f800000
	s_add_i32 s9, s9, 0x3c000000
	s_or_b32 s9, s9, s10
	s_cmp_lg_u32 s8, 0
	s_cselect_b32 s8, s9, 0
	s_delay_alu instid0(SALU_CYCLE_1) | instskip(NEXT) | instid1(SALU_CYCLE_1)
	s_or_b32 s5, s8, s5
	v_cvt_u32_f32_e32 v6, s5
	global_store_b16 v[3:4], v6, off
.LBB135_235:
	s_mov_b32 s5, 0
.LBB135_236:
	s_delay_alu instid0(SALU_CYCLE_1)
	s_and_not1_b32 vcc_lo, exec_lo, s5
	s_cbranch_vccnz .LBB135_304
; %bb.237:
	s_lshl_b32 s5, s2, 24
	v_mov_b32_e32 v7, 0x80
	s_and_b32 s8, s5, 0x7f000000
	s_and_b32 s5, s5, 0x80000000
	s_clz_i32_u32 s9, s8
	s_add_i32 s10, s8, 0x1000000
	s_min_u32 s9, s9, 32
	s_ashr_i32 s10, s10, 8
	v_sub_nc_u32_e64 v6, s9, 4 clamp
	s_and_b32 s10, s10, 0x7f800000
	s_delay_alu instid0(VALU_DEP_1) | instskip(NEXT) | instid1(VALU_DEP_1)
	v_readfirstlane_b32 s9, v6
	s_lshl_b32 s11, s8, s9
	s_lshl_b32 s9, s9, 23
	s_lshr_b32 s11, s11, 4
	s_delay_alu instid0(SALU_CYCLE_1) | instskip(NEXT) | instid1(SALU_CYCLE_1)
	s_sub_i32 s9, s11, s9
	s_add_i32 s9, s9, 0x3c000000
	s_delay_alu instid0(SALU_CYCLE_1) | instskip(SKIP_3) | instid1(SALU_CYCLE_1)
	s_or_b32 s9, s9, s10
	s_cmp_lg_u32 s8, 0
	s_mov_b32 s8, 0
	s_cselect_b32 s9, s9, 0
	s_or_b32 s5, s9, s5
	s_delay_alu instid0(SALU_CYCLE_1) | instskip(NEXT) | instid1(SALU_CYCLE_1)
	s_and_b32 s10, s5, 0x7fffffff
	s_cmp_gt_u32 s10, 0x437fffff
	s_cbranch_scc1 .LBB135_303
; %bb.238:
	s_cmp_gt_u32 s10, 0x3bffffff
	s_cbranch_scc0 .LBB135_298
; %bb.239:
	s_bfe_u32 s8, s9, 0x10014
	s_mov_b32 s9, 0
	s_add_i32 s8, s5, s8
	s_delay_alu instid0(SALU_CYCLE_1) | instskip(NEXT) | instid1(SALU_CYCLE_1)
	s_add_i32 s8, s8, 0x487ffff
	s_lshr_b32 s10, s8, 20
	s_mov_b32 s8, -1
	s_branch .LBB135_299
.LBB135_240:
                                        ; implicit-def: $vgpr2
	s_branch .LBB135_246
.LBB135_241:
	v_mov_b32_e32 v3, v13
.LBB135_242:
	s_and_b32 s50, s50, 3
	s_delay_alu instid0(SALU_CYCLE_1)
	s_cmp_eq_u32 s50, 0
	s_cbranch_scc1 .LBB135_245
; %bb.243:
	s_lshl_b32 s14, s48, 2
	s_mul_i32 s16, s48, 12
	s_add_u32 s14, s14, s0
	s_addc_u32 s15, s1, 0
	s_add_u32 s14, s14, 0xc4
	s_addc_u32 s15, s15, 0
	;; [unrolled: 2-line block ×3, first 2 shown]
	.p2align	6
.LBB135_244:                            ; =>This Inner Loop Header: Depth=1
	s_clause 0x1
	s_load_b64 s[52:53], s[16:17], 0x4
	s_load_b32 s48, s[16:17], 0xc
	s_load_b32 s51, s[14:15], 0x0
	s_add_u32 s16, s16, 12
	s_addc_u32 s17, s17, 0
	s_add_u32 s14, s14, 4
	s_addc_u32 s15, s15, 0
	s_add_i32 s50, s50, -1
	s_delay_alu instid0(SALU_CYCLE_1) | instskip(SKIP_2) | instid1(VALU_DEP_1)
	s_cmp_lg_u32 s50, 0
	s_waitcnt lgkmcnt(0)
	v_mul_hi_u32 v8, s53, v3
	v_add_nc_u32_e32 v8, v3, v8
	s_delay_alu instid0(VALU_DEP_1) | instskip(NEXT) | instid1(VALU_DEP_1)
	v_lshrrev_b32_e32 v20, s48, v8
	v_mul_lo_u32 v8, v20, s52
	s_delay_alu instid0(VALU_DEP_1) | instskip(NEXT) | instid1(VALU_DEP_1)
	v_sub_nc_u32_e32 v3, v3, v8
	v_mad_u64_u32 v[8:9], null, v3, s51, v[2:3]
	v_mov_b32_e32 v3, v20
	s_delay_alu instid0(VALU_DEP_2)
	v_mov_b32_e32 v2, v8
	s_cbranch_scc1 .LBB135_244
.LBB135_245:
	s_cbranch_execnz .LBB135_248
.LBB135_246:
	s_waitcnt lgkmcnt(0)
	v_mul_hi_u32 v2, s5, v13
	s_and_not1_b32 vcc_lo, exec_lo, s42
	s_delay_alu instid0(VALU_DEP_1) | instskip(NEXT) | instid1(VALU_DEP_1)
	v_add_nc_u32_e32 v2, v13, v2
	v_lshrrev_b32_e32 v3, s6, v2
	s_delay_alu instid0(VALU_DEP_1) | instskip(NEXT) | instid1(VALU_DEP_1)
	v_mul_lo_u32 v2, v3, s4
	v_sub_nc_u32_e32 v2, v13, v2
	s_delay_alu instid0(VALU_DEP_1)
	v_mul_lo_u32 v2, v2, s8
	s_cbranch_vccnz .LBB135_248
; %bb.247:
	v_mul_hi_u32 v8, s10, v3
	s_delay_alu instid0(VALU_DEP_1) | instskip(NEXT) | instid1(VALU_DEP_1)
	v_add_nc_u32_e32 v8, v3, v8
	v_lshrrev_b32_e32 v8, s11, v8
	s_delay_alu instid0(VALU_DEP_1) | instskip(NEXT) | instid1(VALU_DEP_1)
	v_mul_lo_u32 v8, v8, s7
	v_sub_nc_u32_e32 v3, v3, v8
	s_delay_alu instid0(VALU_DEP_1) | instskip(NEXT) | instid1(VALU_DEP_1)
	v_mad_u64_u32 v[8:9], null, v3, s9, v[2:3]
	v_mov_b32_e32 v2, v8
.LBB135_248:
	v_cmp_gt_i16_e32 vcc_lo, 11, v10
	s_waitcnt lgkmcnt(0)
	s_delay_alu instid0(VALU_DEP_2) | instskip(NEXT) | instid1(VALU_DEP_1)
	v_add_co_u32 v8, s14, s2, v2
	v_add_co_ci_u32_e64 v9, null, s3, 0, s14
	s_mov_b32 s15, 0
	s_mov_b32 s16, -1
	s_mov_b32 s14, s46
	s_cbranch_vccnz .LBB135_255
; %bb.249:
	v_cmp_lt_i16_e32 vcc_lo, 25, v10
	s_cbranch_vccz .LBB135_295
; %bb.250:
	v_cmp_lt_i16_e32 vcc_lo, 28, v10
	s_cbranch_vccz .LBB135_296
	;; [unrolled: 3-line block ×4, first 2 shown]
; %bb.253:
	v_cmp_eq_u16_e32 vcc_lo, 46, v10
	s_mov_b32 s16, 0
	s_mov_b32 s14, -1
	s_cbranch_vccz .LBB135_314
; %bb.254:
	v_mov_b32_e32 v2, s26
	s_mov_b32 s15, -1
	s_mov_b32 s14, 0
	global_store_b32 v[8:9], v2, off
	s_branch .LBB135_314
.LBB135_255:
	s_and_b32 vcc_lo, exec_lo, s16
	s_cbranch_vccz .LBB135_359
; %bb.256:
	v_cmp_gt_i16_e32 vcc_lo, 5, v10
	s_mov_b32 s15, -1
	s_cbranch_vccnz .LBB135_277
; %bb.257:
	v_cmp_gt_i16_e32 vcc_lo, 8, v10
	s_cbranch_vccnz .LBB135_267
; %bb.258:
	v_cmp_gt_i16_e32 vcc_lo, 9, v10
	s_cbranch_vccnz .LBB135_264
; %bb.259:
	v_cmp_lt_i16_e32 vcc_lo, 9, v10
	s_cbranch_vccz .LBB135_261
; %bb.260:
	v_mov_b32_e32 v2, 0
	s_mov_b32 s15, 0
	s_delay_alu instid0(VALU_DEP_1)
	v_mov_b32_e32 v3, v2
	global_store_b128 v[8:9], v[0:3], off
.LBB135_261:
	s_and_not1_b32 vcc_lo, exec_lo, s15
	s_cbranch_vccnz .LBB135_263
; %bb.262:
	v_dual_mov_b32 v2, s23 :: v_dual_mov_b32 v3, 0
	global_store_b64 v[8:9], v[2:3], off
.LBB135_263:
	s_mov_b32 s15, 0
.LBB135_264:
	s_delay_alu instid0(SALU_CYCLE_1)
	s_and_not1_b32 vcc_lo, exec_lo, s15
	s_cbranch_vccnz .LBB135_266
; %bb.265:
	global_store_b32 v[8:9], v14, off
.LBB135_266:
	s_mov_b32 s15, 0
.LBB135_267:
	s_delay_alu instid0(SALU_CYCLE_1)
	s_and_not1_b32 vcc_lo, exec_lo, s15
	s_cbranch_vccnz .LBB135_276
; %bb.268:
	v_cmp_gt_i16_e32 vcc_lo, 6, v10
	s_mov_b32 s15, -1
	s_cbranch_vccnz .LBB135_274
; %bb.269:
	v_cmp_lt_i16_e32 vcc_lo, 6, v10
	s_cbranch_vccz .LBB135_271
; %bb.270:
	s_mov_b32 s15, 0
	global_store_b64 v[8:9], v[0:1], off
.LBB135_271:
	s_and_not1_b32 vcc_lo, exec_lo, s15
	s_cbranch_vccnz .LBB135_273
; %bb.272:
	v_mov_b32_e32 v2, s23
	global_store_b32 v[8:9], v2, off
.LBB135_273:
	s_mov_b32 s15, 0
.LBB135_274:
	s_delay_alu instid0(SALU_CYCLE_1)
	s_and_not1_b32 vcc_lo, exec_lo, s15
	s_cbranch_vccnz .LBB135_276
; %bb.275:
	global_store_b16 v[8:9], v12, off
.LBB135_276:
	s_mov_b32 s15, 0
.LBB135_277:
	s_delay_alu instid0(SALU_CYCLE_1)
	s_and_not1_b32 vcc_lo, exec_lo, s15
	s_cbranch_vccnz .LBB135_293
; %bb.278:
	v_cmp_gt_i16_e32 vcc_lo, 2, v10
	s_mov_b32 s15, -1
	s_cbranch_vccnz .LBB135_288
; %bb.279:
	v_cmp_gt_i16_e32 vcc_lo, 3, v10
	s_cbranch_vccnz .LBB135_285
; %bb.280:
	v_cmp_lt_i16_e32 vcc_lo, 3, v10
	s_cbranch_vccz .LBB135_282
; %bb.281:
	s_mov_b32 s15, 0
	global_store_b64 v[8:9], v[4:5], off
.LBB135_282:
	s_and_not1_b32 vcc_lo, exec_lo, s15
	s_cbranch_vccnz .LBB135_284
; %bb.283:
	global_store_b32 v[8:9], v11, off
.LBB135_284:
	s_mov_b32 s15, 0
.LBB135_285:
	s_delay_alu instid0(SALU_CYCLE_1)
	s_and_not1_b32 vcc_lo, exec_lo, s15
	s_cbranch_vccnz .LBB135_287
; %bb.286:
	global_store_b16 v[8:9], v11, off
.LBB135_287:
	s_mov_b32 s15, 0
.LBB135_288:
	s_delay_alu instid0(SALU_CYCLE_1)
	s_and_not1_b32 vcc_lo, exec_lo, s15
	s_cbranch_vccnz .LBB135_293
; %bb.289:
	v_cmp_lt_i16_e32 vcc_lo, 0, v10
	s_mov_b32 s15, -1
	s_cbranch_vccz .LBB135_291
; %bb.290:
	s_mov_b32 s15, 0
	global_store_b8 v[8:9], v11, off
.LBB135_291:
	s_and_not1_b32 vcc_lo, exec_lo, s15
	s_cbranch_vccnz .LBB135_293
; %bb.292:
	global_store_b8 v[8:9], v4, off
.LBB135_293:
	s_branch .LBB135_360
.LBB135_294:
	s_mov_b32 s15, 0
                                        ; implicit-def: $vgpr13
	s_branch .LBB135_361
.LBB135_295:
	s_mov_b32 s14, s46
	s_branch .LBB135_336
.LBB135_296:
	s_mov_b32 s14, s46
	s_branch .LBB135_322
.LBB135_297:
	s_mov_b32 s14, s46
	s_branch .LBB135_318
.LBB135_298:
	s_mov_b32 s9, -1
                                        ; implicit-def: $sgpr10
.LBB135_299:
	v_mov_b32_e32 v6, s10
	s_and_not1_b32 vcc_lo, exec_lo, s9
                                        ; implicit-def: $sgpr9
	s_cbranch_vccnz .LBB135_301
; %bb.300:
	v_add_f32_e64 v6, 0x46000000, |s5|
	s_mov_b32 s9, 0
	s_delay_alu instid0(VALU_DEP_1) | instskip(NEXT) | instid1(VALU_DEP_1)
	v_and_b32_e32 v6, 0xff, v6
	v_cmp_ne_u32_e64 s8, 0, v6
.LBB135_301:
	v_mov_b32_e32 v7, s9
	s_delay_alu instid0(VALU_DEP_2)
	s_and_not1_b32 vcc_lo, exec_lo, s8
	s_cbranch_vccnz .LBB135_303
; %bb.302:
	s_lshr_b32 s5, s5, 24
	s_delay_alu instid0(SALU_CYCLE_1) | instskip(NEXT) | instid1(SALU_CYCLE_1)
	s_and_b32 s5, s5, 0x80
	v_or_b32_e32 v7, s5, v6
.LBB135_303:
	global_store_b8 v[3:4], v7, off
.LBB135_304:
	s_mov_b32 s5, -1
.LBB135_305:
	s_mov_b32 s8, 0
.LBB135_306:
	s_delay_alu instid0(SALU_CYCLE_1)
	s_and_b32 vcc_lo, exec_lo, s8
	s_cbranch_vccz .LBB135_457
; %bb.307:
	v_cmp_lt_i16_e32 vcc_lo, 22, v5
	s_mov_b32 s4, -1
	s_cbranch_vccz .LBB135_450
; %bb.308:
	v_cmp_gt_i16_e32 vcc_lo, 24, v5
	s_cbranch_vccnz .LBB135_437
; %bb.309:
	v_cmp_lt_i16_e32 vcc_lo, 24, v5
	s_cbranch_vccz .LBB135_434
; %bb.310:
	s_lshl_b32 s4, s2, 24
	v_mov_b32_e32 v7, 0x80
	s_and_b32 s5, s4, 0x7f000000
	s_and_b32 s4, s4, 0x80000000
	s_clz_i32_u32 s8, s5
	s_add_i32 s9, s5, 0x1000000
	s_min_u32 s8, s8, 32
	s_ashr_i32 s9, s9, 8
	v_sub_nc_u32_e64 v6, s8, 4 clamp
	s_and_b32 s9, s9, 0x7f800000
	s_delay_alu instid0(VALU_DEP_1) | instskip(NEXT) | instid1(VALU_DEP_1)
	v_readfirstlane_b32 s8, v6
	s_lshl_b32 s10, s5, s8
	s_lshl_b32 s8, s8, 23
	s_lshr_b32 s10, s10, 4
	s_delay_alu instid0(SALU_CYCLE_1) | instskip(NEXT) | instid1(SALU_CYCLE_1)
	s_sub_i32 s8, s10, s8
	s_add_i32 s8, s8, 0x3c000000
	s_delay_alu instid0(SALU_CYCLE_1) | instskip(SKIP_2) | instid1(SALU_CYCLE_1)
	s_or_b32 s8, s8, s9
	s_cmp_lg_u32 s5, 0
	s_cselect_b32 s8, s8, 0
	s_or_b32 s5, s8, s4
	s_mov_b32 s4, 0
	s_and_b32 s9, s5, 0x7fffffff
	s_delay_alu instid0(SALU_CYCLE_1)
	s_cmp_gt_u32 s9, 0x477fffff
	s_cbranch_scc1 .LBB135_433
; %bb.311:
	s_cmp_gt_u32 s9, 0x37ffffff
	s_cbranch_scc0 .LBB135_428
; %bb.312:
	s_bfe_u32 s8, s8, 0x10015
	s_mov_b32 s9, 0
	s_add_i32 s8, s5, s8
	s_delay_alu instid0(SALU_CYCLE_1) | instskip(NEXT) | instid1(SALU_CYCLE_1)
	s_add_i32 s8, s8, 0x88fffff
	s_lshr_b32 s10, s8, 21
	s_mov_b32 s8, -1
	s_branch .LBB135_429
.LBB135_313:
	s_mov_b32 s14, s46
.LBB135_314:
	s_and_b32 vcc_lo, exec_lo, s16
	s_cbranch_vccz .LBB135_317
; %bb.315:
	v_cmp_eq_u16_e32 vcc_lo, 44, v10
	s_mov_b32 s14, -1
	s_cbranch_vccz .LBB135_317
; %bb.316:
	v_cndmask_b32_e64 v2, v19, 0xff, s41
	s_mov_b32 s15, -1
	s_mov_b32 s14, 0
	global_store_b8 v[8:9], v2, off
.LBB135_317:
	s_mov_b32 s16, 0
.LBB135_318:
	s_delay_alu instid0(SALU_CYCLE_1)
	s_and_b32 vcc_lo, exec_lo, s16
	s_cbranch_vccz .LBB135_321
; %bb.319:
	v_cmp_eq_u16_e32 vcc_lo, 29, v10
	s_mov_b32 s14, -1
	s_cbranch_vccz .LBB135_321
; %bb.320:
	s_mov_b32 s15, -1
	s_mov_b32 s14, 0
	global_store_b64 v[8:9], v[6:7], off
.LBB135_321:
	s_mov_b32 s16, 0
.LBB135_322:
	s_delay_alu instid0(SALU_CYCLE_1)
	s_and_b32 vcc_lo, exec_lo, s16
	s_cbranch_vccz .LBB135_335
; %bb.323:
	v_cmp_gt_i16_e32 vcc_lo, 27, v10
	s_mov_b32 s15, -1
	s_cbranch_vccnz .LBB135_329
; %bb.324:
	v_cmp_lt_i16_e32 vcc_lo, 27, v10
	s_cbranch_vccz .LBB135_326
; %bb.325:
	s_mov_b32 s15, 0
	global_store_b32 v[8:9], v18, off
.LBB135_326:
	s_and_not1_b32 vcc_lo, exec_lo, s15
	s_cbranch_vccnz .LBB135_328
; %bb.327:
	global_store_b16 v[8:9], v18, off
.LBB135_328:
	s_mov_b32 s15, 0
.LBB135_329:
	s_delay_alu instid0(SALU_CYCLE_1)
	s_and_not1_b32 vcc_lo, exec_lo, s15
	s_cbranch_vccnz .LBB135_334
; %bb.330:
	v_mov_b32_e32 v2, 0x80
	s_and_not1_b32 vcc_lo, exec_lo, s38
	s_cbranch_vccnz .LBB135_333
; %bb.331:
	v_mov_b32_e32 v2, 0
	s_or_b32 s15, s37, s40
	s_delay_alu instid0(SALU_CYCLE_1)
	s_and_not1_b32 vcc_lo, exec_lo, s15
	s_cbranch_vccnz .LBB135_333
; %bb.332:
	v_cndmask_b32_e64 v2, v17, s39, s37
	s_delay_alu instid0(VALU_DEP_1)
	v_or_b32_e32 v2, s25, v2
.LBB135_333:
	global_store_b8 v[8:9], v2, off
.LBB135_334:
	s_mov_b32 s15, -1
.LBB135_335:
	s_mov_b32 s16, 0
.LBB135_336:
	s_delay_alu instid0(SALU_CYCLE_1)
	s_and_b32 vcc_lo, exec_lo, s16
	s_cbranch_vccz .LBB135_358
; %bb.337:
	v_cmp_lt_i16_e32 vcc_lo, 22, v10
	s_mov_b32 s16, -1
	s_cbranch_vccz .LBB135_350
; %bb.338:
	v_cmp_gt_i16_e32 vcc_lo, 24, v10
	s_mov_b32 s15, -1
	s_cbranch_vccnz .LBB135_347
; %bb.339:
	v_cmp_lt_i16_e32 vcc_lo, 24, v10
	s_cbranch_vccz .LBB135_344
; %bb.340:
	v_mov_b32_e32 v2, 0x80
	s_and_not1_b32 vcc_lo, exec_lo, s35
	s_cbranch_vccnz .LBB135_343
; %bb.341:
	v_mov_b32_e32 v2, 0
	s_or_b32 s15, s33, s36
	s_delay_alu instid0(SALU_CYCLE_1)
	s_and_not1_b32 vcc_lo, exec_lo, s15
	s_cbranch_vccnz .LBB135_343
; %bb.342:
	v_cndmask_b32_e64 v2, v16, s34, s33
	s_delay_alu instid0(VALU_DEP_1)
	v_or_b32_e32 v2, s25, v2
.LBB135_343:
	s_mov_b32 s15, 0
	global_store_b8 v[8:9], v2, off
.LBB135_344:
	s_and_b32 vcc_lo, exec_lo, s15
	s_cbranch_vccz .LBB135_346
; %bb.345:
	v_mov_b32_e32 v2, s24
	global_store_b8 v[8:9], v2, off
.LBB135_346:
	s_mov_b32 s15, 0
.LBB135_347:
	s_delay_alu instid0(SALU_CYCLE_1)
	s_and_not1_b32 vcc_lo, exec_lo, s15
	s_cbranch_vccnz .LBB135_349
; %bb.348:
	s_and_b32 s15, s29, exec_lo
	s_cselect_b32 s15, s27, s30
	s_and_b32 s16, s28, exec_lo
	s_cselect_b32 s15, s31, s15
	s_delay_alu instid0(SALU_CYCLE_1) | instskip(NEXT) | instid1(SALU_CYCLE_1)
	s_or_b32 s15, s15, s25
	v_mov_b32_e32 v2, s15
	global_store_b8 v[8:9], v2, off
.LBB135_349:
	s_mov_b32 s16, 0
	s_mov_b32 s15, -1
.LBB135_350:
	s_and_not1_b32 vcc_lo, exec_lo, s16
	s_cbranch_vccnz .LBB135_358
; %bb.351:
	v_cmp_lt_i16_e32 vcc_lo, 14, v10
	s_mov_b32 s16, -1
	s_cbranch_vccz .LBB135_355
; %bb.352:
	v_cmp_eq_u16_e32 vcc_lo, 15, v10
	s_mov_b32 s14, -1
	s_cbranch_vccz .LBB135_354
; %bb.353:
	v_mov_b32_e32 v2, s26
	s_mov_b32 s15, -1
	s_mov_b32 s14, 0
	global_store_b16 v[8:9], v2, off
.LBB135_354:
	s_mov_b32 s16, 0
.LBB135_355:
	s_delay_alu instid0(SALU_CYCLE_1)
	s_and_b32 vcc_lo, exec_lo, s16
	s_cbranch_vccz .LBB135_358
; %bb.356:
	v_cmp_eq_u16_e32 vcc_lo, 11, v10
	s_mov_b32 s14, -1
	s_cbranch_vccz .LBB135_358
; %bb.357:
	s_mov_b32 s15, -1
	s_mov_b32 s14, 0
	global_store_b8 v[8:9], v15, off
.LBB135_358:
.LBB135_359:
	s_and_not1_b32 vcc_lo, exec_lo, s15
	s_cbranch_vccnz .LBB135_294
.LBB135_360:
	v_add_nc_u32_e32 v13, 0x80, v13
	s_mov_b32 s15, -1
.LBB135_361:
	s_and_not1_b32 s16, s46, exec_lo
	s_and_b32 s14, s14, exec_lo
	s_delay_alu instid0(SALU_CYCLE_1)
	s_or_b32 s48, s16, s14
	s_or_not1_b32 s16, s15, exec_lo
.LBB135_362:
	s_or_b32 exec_lo, exec_lo, s49
	s_mov_b32 s14, 0
	s_mov_b32 s15, 0
                                        ; implicit-def: $vgpr8_vgpr9
	s_and_saveexec_b32 s49, s16
	s_cbranch_execz .LBB135_666
; %bb.363:
	s_mov_b32 s51, -1
	s_mov_b32 s16, s48
	s_mov_b32 s50, exec_lo
	v_cmpx_gt_i32_e64 s43, v13
	s_cbranch_execz .LBB135_597
; %bb.364:
	s_and_not1_b32 vcc_lo, exec_lo, s21
	s_cbranch_vccnz .LBB135_369
; %bb.365:
	v_mov_b32_e32 v2, 0
	s_and_not1_b32 vcc_lo, exec_lo, s45
	s_cbranch_vccnz .LBB135_374
; %bb.366:
	s_add_i32 s52, s44, 1
	s_cmp_eq_u32 s19, 2
	s_mov_b32 s51, 0
	s_cbranch_scc1 .LBB135_370
; %bb.367:
	v_dual_mov_b32 v2, 0 :: v_dual_mov_b32 v3, v13
	s_and_b32 s51, s52, 28
	s_mov_b32 s53, 0
	s_mov_b64 s[14:15], s[0:1]
	s_mov_b64 s[16:17], s[12:13]
.LBB135_368:                            ; =>This Inner Loop Header: Depth=1
	s_clause 0x1
	s_load_b256 s[56:63], s[14:15], 0x4
	s_load_b128 s[64:67], s[14:15], 0x24
	s_load_b128 s[68:71], s[16:17], 0x0
	s_add_u32 s14, s14, 48
	s_addc_u32 s15, s15, 0
	s_add_i32 s53, s53, 4
	s_add_u32 s16, s16, 16
	s_addc_u32 s17, s17, 0
	s_cmp_eq_u32 s51, s53
	s_waitcnt lgkmcnt(0)
	v_mul_hi_u32 v8, s57, v3
	s_delay_alu instid0(VALU_DEP_1) | instskip(NEXT) | instid1(VALU_DEP_1)
	v_add_nc_u32_e32 v8, v3, v8
	v_lshrrev_b32_e32 v8, s58, v8
	s_delay_alu instid0(VALU_DEP_1) | instskip(SKIP_1) | instid1(VALU_DEP_2)
	v_mul_hi_u32 v9, s60, v8
	v_mul_lo_u32 v22, v8, s56
	v_add_nc_u32_e32 v9, v8, v9
	s_delay_alu instid0(VALU_DEP_2) | instskip(NEXT) | instid1(VALU_DEP_2)
	v_sub_nc_u32_e32 v22, v3, v22
	v_lshrrev_b32_e32 v9, s61, v9
	s_delay_alu instid0(VALU_DEP_2) | instskip(NEXT) | instid1(VALU_DEP_2)
	v_mul_lo_u32 v22, v22, s68
	v_mul_hi_u32 v20, s63, v9
	v_mul_lo_u32 v23, v9, s59
	s_delay_alu instid0(VALU_DEP_2) | instskip(NEXT) | instid1(VALU_DEP_2)
	v_add_nc_u32_e32 v20, v9, v20
	v_sub_nc_u32_e32 v8, v8, v23
	s_delay_alu instid0(VALU_DEP_2) | instskip(NEXT) | instid1(VALU_DEP_2)
	v_lshrrev_b32_e32 v20, s64, v20
	v_mul_lo_u32 v8, v8, s69
	s_delay_alu instid0(VALU_DEP_2) | instskip(NEXT) | instid1(VALU_DEP_2)
	v_mul_hi_u32 v21, s66, v20
	v_add3_u32 v2, v22, v2, v8
	s_delay_alu instid0(VALU_DEP_2) | instskip(NEXT) | instid1(VALU_DEP_1)
	v_add_nc_u32_e32 v21, v20, v21
	v_lshrrev_b32_e32 v3, s67, v21
	v_mul_lo_u32 v21, v20, s62
	s_delay_alu instid0(VALU_DEP_2) | instskip(NEXT) | instid1(VALU_DEP_2)
	v_mul_lo_u32 v24, v3, s65
	v_sub_nc_u32_e32 v9, v9, v21
	s_delay_alu instid0(VALU_DEP_2) | instskip(NEXT) | instid1(VALU_DEP_2)
	v_sub_nc_u32_e32 v20, v20, v24
	v_mul_lo_u32 v9, v9, s70
	s_delay_alu instid0(VALU_DEP_2) | instskip(NEXT) | instid1(VALU_DEP_1)
	v_mul_lo_u32 v20, v20, s71
	v_add3_u32 v2, v9, v2, v20
	s_cbranch_scc0 .LBB135_368
	s_branch .LBB135_371
.LBB135_369:
	s_mov_b32 s14, -1
                                        ; implicit-def: $vgpr2
	s_branch .LBB135_375
.LBB135_370:
	v_mov_b32_e32 v3, v13
.LBB135_371:
	s_and_b32 s52, s52, 3
	s_delay_alu instid0(SALU_CYCLE_1)
	s_cmp_eq_u32 s52, 0
	s_cbranch_scc1 .LBB135_374
; %bb.372:
	s_lshl_b32 s14, s51, 2
	s_mul_i32 s16, s51, 12
	s_add_u32 s14, s14, s0
	s_addc_u32 s15, s1, 0
	s_add_u32 s14, s14, 0xc4
	s_addc_u32 s15, s15, 0
	;; [unrolled: 2-line block ×3, first 2 shown]
	.p2align	6
.LBB135_373:                            ; =>This Inner Loop Header: Depth=1
	s_clause 0x1
	s_load_b64 s[54:55], s[16:17], 0x4
	s_load_b32 s51, s[16:17], 0xc
	s_load_b32 s53, s[14:15], 0x0
	s_add_u32 s16, s16, 12
	s_addc_u32 s17, s17, 0
	s_add_u32 s14, s14, 4
	s_addc_u32 s15, s15, 0
	s_add_i32 s52, s52, -1
	s_delay_alu instid0(SALU_CYCLE_1) | instskip(SKIP_2) | instid1(VALU_DEP_1)
	s_cmp_lg_u32 s52, 0
	s_waitcnt lgkmcnt(0)
	v_mul_hi_u32 v8, s55, v3
	v_add_nc_u32_e32 v8, v3, v8
	s_delay_alu instid0(VALU_DEP_1) | instskip(NEXT) | instid1(VALU_DEP_1)
	v_lshrrev_b32_e32 v20, s51, v8
	v_mul_lo_u32 v8, v20, s54
	s_delay_alu instid0(VALU_DEP_1) | instskip(NEXT) | instid1(VALU_DEP_1)
	v_sub_nc_u32_e32 v3, v3, v8
	v_mad_u64_u32 v[8:9], null, v3, s53, v[2:3]
	v_mov_b32_e32 v3, v20
	s_delay_alu instid0(VALU_DEP_2)
	v_mov_b32_e32 v2, v8
	s_cbranch_scc1 .LBB135_373
.LBB135_374:
	s_mov_b32 s14, 0
.LBB135_375:
	s_delay_alu instid0(SALU_CYCLE_1)
	s_and_not1_b32 vcc_lo, exec_lo, s14
	s_cbranch_vccnz .LBB135_378
; %bb.376:
	s_waitcnt lgkmcnt(0)
	v_mul_hi_u32 v2, s5, v13
	s_and_not1_b32 vcc_lo, exec_lo, s42
	s_delay_alu instid0(VALU_DEP_1) | instskip(NEXT) | instid1(VALU_DEP_1)
	v_add_nc_u32_e32 v2, v13, v2
	v_lshrrev_b32_e32 v3, s6, v2
	s_delay_alu instid0(VALU_DEP_1) | instskip(NEXT) | instid1(VALU_DEP_1)
	v_mul_lo_u32 v2, v3, s4
	v_sub_nc_u32_e32 v2, v13, v2
	s_delay_alu instid0(VALU_DEP_1)
	v_mul_lo_u32 v2, v2, s8
	s_cbranch_vccnz .LBB135_378
; %bb.377:
	v_mul_hi_u32 v8, s10, v3
	s_delay_alu instid0(VALU_DEP_1) | instskip(NEXT) | instid1(VALU_DEP_1)
	v_add_nc_u32_e32 v8, v3, v8
	v_lshrrev_b32_e32 v8, s11, v8
	s_delay_alu instid0(VALU_DEP_1) | instskip(NEXT) | instid1(VALU_DEP_1)
	v_mul_lo_u32 v8, v8, s7
	v_sub_nc_u32_e32 v3, v3, v8
	s_delay_alu instid0(VALU_DEP_1) | instskip(NEXT) | instid1(VALU_DEP_1)
	v_mad_u64_u32 v[8:9], null, v3, s9, v[2:3]
	v_mov_b32_e32 v2, v8
.LBB135_378:
	v_cmp_gt_i16_e32 vcc_lo, 11, v10
	s_waitcnt lgkmcnt(0)
	s_delay_alu instid0(VALU_DEP_2) | instskip(NEXT) | instid1(VALU_DEP_1)
	v_add_co_u32 v8, s14, s2, v2
	v_add_co_ci_u32_e64 v9, null, s3, 0, s14
	s_mov_b32 s15, 0
	s_mov_b32 s16, -1
	s_mov_b32 s14, s48
	s_cbranch_vccnz .LBB135_385
; %bb.379:
	v_cmp_lt_i16_e32 vcc_lo, 25, v10
	s_cbranch_vccz .LBB135_425
; %bb.380:
	v_cmp_lt_i16_e32 vcc_lo, 28, v10
	s_cbranch_vccz .LBB135_426
	;; [unrolled: 3-line block ×4, first 2 shown]
; %bb.383:
	v_cmp_eq_u16_e32 vcc_lo, 46, v10
	s_mov_b32 s16, 0
	s_mov_b32 s14, -1
	s_cbranch_vccz .LBB135_549
; %bb.384:
	v_mov_b32_e32 v2, s26
	s_mov_b32 s15, -1
	s_mov_b32 s14, 0
	global_store_b32 v[8:9], v2, off
	s_branch .LBB135_549
.LBB135_385:
	s_and_b32 vcc_lo, exec_lo, s16
	s_cbranch_vccz .LBB135_594
; %bb.386:
	v_cmp_gt_i16_e32 vcc_lo, 5, v10
	s_mov_b32 s15, -1
	s_cbranch_vccnz .LBB135_407
; %bb.387:
	v_cmp_gt_i16_e32 vcc_lo, 8, v10
	s_cbranch_vccnz .LBB135_397
; %bb.388:
	v_cmp_gt_i16_e32 vcc_lo, 9, v10
	s_cbranch_vccnz .LBB135_394
; %bb.389:
	v_cmp_lt_i16_e32 vcc_lo, 9, v10
	s_cbranch_vccz .LBB135_391
; %bb.390:
	v_mov_b32_e32 v2, 0
	s_mov_b32 s15, 0
	s_delay_alu instid0(VALU_DEP_1)
	v_mov_b32_e32 v3, v2
	global_store_b128 v[8:9], v[0:3], off
.LBB135_391:
	s_and_not1_b32 vcc_lo, exec_lo, s15
	s_cbranch_vccnz .LBB135_393
; %bb.392:
	v_dual_mov_b32 v2, s23 :: v_dual_mov_b32 v3, 0
	global_store_b64 v[8:9], v[2:3], off
.LBB135_393:
	s_mov_b32 s15, 0
.LBB135_394:
	s_delay_alu instid0(SALU_CYCLE_1)
	s_and_not1_b32 vcc_lo, exec_lo, s15
	s_cbranch_vccnz .LBB135_396
; %bb.395:
	global_store_b32 v[8:9], v14, off
.LBB135_396:
	s_mov_b32 s15, 0
.LBB135_397:
	s_delay_alu instid0(SALU_CYCLE_1)
	s_and_not1_b32 vcc_lo, exec_lo, s15
	s_cbranch_vccnz .LBB135_406
; %bb.398:
	v_cmp_gt_i16_e32 vcc_lo, 6, v10
	s_mov_b32 s15, -1
	s_cbranch_vccnz .LBB135_404
; %bb.399:
	v_cmp_lt_i16_e32 vcc_lo, 6, v10
	s_cbranch_vccz .LBB135_401
; %bb.400:
	s_mov_b32 s15, 0
	global_store_b64 v[8:9], v[0:1], off
.LBB135_401:
	s_and_not1_b32 vcc_lo, exec_lo, s15
	s_cbranch_vccnz .LBB135_403
; %bb.402:
	v_mov_b32_e32 v2, s23
	global_store_b32 v[8:9], v2, off
.LBB135_403:
	s_mov_b32 s15, 0
.LBB135_404:
	s_delay_alu instid0(SALU_CYCLE_1)
	s_and_not1_b32 vcc_lo, exec_lo, s15
	s_cbranch_vccnz .LBB135_406
; %bb.405:
	global_store_b16 v[8:9], v12, off
.LBB135_406:
	s_mov_b32 s15, 0
.LBB135_407:
	s_delay_alu instid0(SALU_CYCLE_1)
	s_and_not1_b32 vcc_lo, exec_lo, s15
	s_cbranch_vccnz .LBB135_423
; %bb.408:
	v_cmp_gt_i16_e32 vcc_lo, 2, v10
	s_mov_b32 s15, -1
	s_cbranch_vccnz .LBB135_418
; %bb.409:
	v_cmp_gt_i16_e32 vcc_lo, 3, v10
	s_cbranch_vccnz .LBB135_415
; %bb.410:
	v_cmp_lt_i16_e32 vcc_lo, 3, v10
	s_cbranch_vccz .LBB135_412
; %bb.411:
	s_mov_b32 s15, 0
	global_store_b64 v[8:9], v[4:5], off
.LBB135_412:
	s_and_not1_b32 vcc_lo, exec_lo, s15
	s_cbranch_vccnz .LBB135_414
; %bb.413:
	global_store_b32 v[8:9], v11, off
.LBB135_414:
	s_mov_b32 s15, 0
.LBB135_415:
	s_delay_alu instid0(SALU_CYCLE_1)
	s_and_not1_b32 vcc_lo, exec_lo, s15
	s_cbranch_vccnz .LBB135_417
; %bb.416:
	global_store_b16 v[8:9], v11, off
.LBB135_417:
	s_mov_b32 s15, 0
.LBB135_418:
	s_delay_alu instid0(SALU_CYCLE_1)
	s_and_not1_b32 vcc_lo, exec_lo, s15
	s_cbranch_vccnz .LBB135_423
; %bb.419:
	v_cmp_lt_i16_e32 vcc_lo, 0, v10
	s_mov_b32 s15, -1
	s_cbranch_vccz .LBB135_421
; %bb.420:
	s_mov_b32 s15, 0
	global_store_b8 v[8:9], v11, off
.LBB135_421:
	s_and_not1_b32 vcc_lo, exec_lo, s15
	s_cbranch_vccnz .LBB135_423
; %bb.422:
	global_store_b8 v[8:9], v4, off
.LBB135_423:
	s_branch .LBB135_595
.LBB135_424:
	s_mov_b32 s15, 0
                                        ; implicit-def: $vgpr13
	s_branch .LBB135_596
.LBB135_425:
	s_mov_b32 s14, s48
	s_branch .LBB135_571
.LBB135_426:
	s_mov_b32 s14, s48
	s_branch .LBB135_557
.LBB135_427:
	s_mov_b32 s14, s48
	s_branch .LBB135_553
.LBB135_428:
	s_mov_b32 s9, -1
	s_mov_b32 s8, 0
                                        ; implicit-def: $sgpr10
.LBB135_429:
	v_mov_b32_e32 v6, s10
	s_and_not1_b32 vcc_lo, exec_lo, s9
                                        ; implicit-def: $sgpr9
	s_cbranch_vccnz .LBB135_431
; %bb.430:
	v_add_f32_e64 v6, 0x42800000, |s5|
	s_mov_b32 s9, 0
	s_delay_alu instid0(VALU_DEP_1) | instskip(NEXT) | instid1(VALU_DEP_1)
	v_and_b32_e32 v6, 0xff, v6
	v_cmp_ne_u32_e64 s8, 0, v6
.LBB135_431:
	v_mov_b32_e32 v7, s9
	s_delay_alu instid0(VALU_DEP_2)
	s_and_not1_b32 vcc_lo, exec_lo, s8
	s_cbranch_vccnz .LBB135_433
; %bb.432:
	s_lshr_b32 s5, s5, 24
	s_delay_alu instid0(SALU_CYCLE_1) | instskip(NEXT) | instid1(SALU_CYCLE_1)
	s_and_b32 s5, s5, 0x80
	v_or_b32_e32 v7, s5, v6
.LBB135_433:
	global_store_b8 v[3:4], v7, off
.LBB135_434:
	s_and_b32 vcc_lo, exec_lo, s4
	s_cbranch_vccz .LBB135_436
; %bb.435:
	v_mov_b32_e32 v6, s2
	global_store_b8 v[3:4], v6, off
.LBB135_436:
	s_mov_b32 s4, 0
.LBB135_437:
	s_delay_alu instid0(SALU_CYCLE_1)
	s_and_not1_b32 vcc_lo, exec_lo, s4
	s_cbranch_vccnz .LBB135_449
; %bb.438:
	s_lshl_b32 s4, s2, 24
	s_delay_alu instid0(SALU_CYCLE_1)
	s_and_b32 s5, s4, 0x7f000000
	s_and_b32 s4, s4, 0x80000000
	s_clz_i32_u32 s8, s5
	s_add_i32 s10, s5, 0x1000000
	s_min_u32 s8, s8, 32
	s_ashr_i32 s10, s10, 8
	v_sub_nc_u32_e64 v6, s8, 4 clamp
	s_delay_alu instid0(VALU_DEP_1) | instskip(NEXT) | instid1(VALU_DEP_1)
	v_readfirstlane_b32 s8, v6
	s_lshl_b32 s9, s5, s8
	s_lshl_b32 s8, s8, 23
	s_lshr_b32 s9, s9, 4
	s_delay_alu instid0(SALU_CYCLE_1) | instskip(SKIP_2) | instid1(SALU_CYCLE_1)
	s_sub_i32 s8, s9, s8
	s_and_b32 s9, s10, 0x7f800000
	s_add_i32 s8, s8, 0x3c000000
	s_or_b32 s8, s8, s9
	s_cmp_lg_u32 s5, 0
	s_cselect_b32 s8, s8, 0
	s_delay_alu instid0(SALU_CYCLE_1) | instskip(NEXT) | instid1(SALU_CYCLE_1)
	s_or_b32 s4, s8, s4
	s_and_b32 s5, s4, 0x7fffffff
	s_delay_alu instid0(SALU_CYCLE_1)
	s_cmp_lt_u32 s5, 0x47800000
	s_cbranch_scc0 .LBB135_441
; %bb.439:
	s_cmp_gt_u32 s5, 0x387fffff
	s_cbranch_scc0 .LBB135_442
; %bb.440:
	s_bfe_u32 s8, s8, 0x10015
	s_delay_alu instid0(SALU_CYCLE_1) | instskip(NEXT) | instid1(SALU_CYCLE_1)
	s_add_i32 s8, s4, s8
	s_add_i32 s8, s8, 0x80fffff
	s_delay_alu instid0(SALU_CYCLE_1)
	s_lshr_b32 s9, s8, 21
	s_mov_b32 s8, 0
	s_branch .LBB135_443
.LBB135_441:
	s_mov_b32 s8, -1
                                        ; implicit-def: $vgpr6
	s_branch .LBB135_446
.LBB135_442:
	s_mov_b32 s8, -1
                                        ; implicit-def: $sgpr9
.LBB135_443:
	v_mov_b32_e32 v6, s9
	s_and_not1_b32 vcc_lo, exec_lo, s8
	s_cbranch_vccnz .LBB135_445
; %bb.444:
	v_add_f32_e64 v6, 0x43000000, |s4|
.LBB135_445:
	s_mov_b32 s8, 0
.LBB135_446:
	s_delay_alu instid0(SALU_CYCLE_1)
	s_and_not1_b32 vcc_lo, exec_lo, s8
	s_cbranch_vccnz .LBB135_448
; %bb.447:
	s_cmp_gt_u32 s5, 0x7f800000
	s_movk_i32 s5, 0x7f
	s_delay_alu instid0(SALU_CYCLE_1) | instskip(NEXT) | instid1(SALU_CYCLE_1)
	s_cselect_b32 s5, s5, 0x7c
	v_mov_b32_e32 v6, s5
.LBB135_448:
	s_lshr_b32 s4, s4, 24
	s_delay_alu instid0(SALU_CYCLE_1)
	s_and_b32 s4, s4, 0x80
	s_delay_alu instid0(VALU_DEP_1) | instid1(SALU_CYCLE_1)
	v_or_b32_e32 v6, s4, v6
	global_store_b8 v[3:4], v6, off
.LBB135_449:
	s_mov_b32 s4, 0
	s_mov_b32 s5, -1
.LBB135_450:
	s_and_not1_b32 vcc_lo, exec_lo, s4
	s_mov_b32 s4, 0
	s_cbranch_vccnz .LBB135_457
; %bb.451:
	v_cmp_lt_i16_e32 vcc_lo, 14, v5
	s_mov_b32 s4, -1
	s_cbranch_vccz .LBB135_455
; %bb.452:
	v_cmp_eq_u16_e32 vcc_lo, 15, v5
	s_mov_b32 s3, -1
	s_cbranch_vccz .LBB135_454
; %bb.453:
	s_lshl_b32 s3, s2, 24
	s_delay_alu instid0(SALU_CYCLE_1)
	s_and_b32 s4, s3, 0x7f000000
	s_and_b32 s3, s3, 0x80000000
	s_clz_i32_u32 s5, s4
	s_add_i32 s8, s4, 0x1000000
	s_min_u32 s5, s5, 32
	s_ashr_i32 s8, s8, 8
	v_sub_nc_u32_e64 v6, s5, 4 clamp
	s_and_b32 s8, s8, 0x7f800000
	s_delay_alu instid0(VALU_DEP_1) | instskip(NEXT) | instid1(VALU_DEP_1)
	v_readfirstlane_b32 s5, v6
	s_lshl_b32 s9, s4, s5
	s_lshl_b32 s5, s5, 23
	s_lshr_b32 s9, s9, 4
	s_delay_alu instid0(SALU_CYCLE_1) | instskip(NEXT) | instid1(SALU_CYCLE_1)
	s_sub_i32 s5, s9, s5
	s_add_i32 s5, s5, 0x3c000000
	s_delay_alu instid0(SALU_CYCLE_1)
	s_or_b32 s5, s5, s8
	s_cmp_lg_u32 s4, 0
	s_cselect_b32 s4, s5, 0
	s_mov_b32 s5, -1
	s_or_b32 s3, s4, s3
	s_bfe_u32 s4, s4, 0x10010
	s_delay_alu instid0(SALU_CYCLE_1) | instskip(SKIP_2) | instid1(SALU_CYCLE_1)
	s_add_i32 s4, s3, s4
	v_cmp_o_f32_e64 s3, s3, s3
	s_addk_i32 s4, 0x7fff
	s_lshr_b32 s4, s4, 16
	s_delay_alu instid0(VALU_DEP_1) | instskip(SKIP_1) | instid1(SALU_CYCLE_1)
	s_and_b32 s3, s3, exec_lo
	s_cselect_b32 s3, s4, 0x7fc0
	v_mov_b32_e32 v6, s3
	s_mov_b32 s3, 0
	global_store_b16 v[3:4], v6, off
.LBB135_454:
	s_mov_b32 s4, 0
.LBB135_455:
	s_delay_alu instid0(SALU_CYCLE_1)
	s_and_b32 vcc_lo, exec_lo, s4
	s_mov_b32 s4, 0
	s_cbranch_vccz .LBB135_457
; %bb.456:
	v_cmp_ne_u16_e64 s3, 11, v5
	s_mov_b32 s4, -1
.LBB135_457:
	s_delay_alu instid0(VALU_DEP_1)
	s_and_b32 vcc_lo, exec_lo, s3
	s_mov_b32 s3, s6
	s_cbranch_vccnz .LBB135_529
; %bb.458:
	s_and_not1_b32 vcc_lo, exec_lo, s4
	s_cbranch_vccnz .LBB135_460
.LBB135_459:
	s_lshl_b32 s4, s2, 24
	s_delay_alu instid0(SALU_CYCLE_1) | instskip(NEXT) | instid1(SALU_CYCLE_1)
	s_and_b32 s4, s4, 0x7f000000
	s_clz_i32_u32 s5, s4
	s_add_i32 s8, s4, 0x1000000
	s_min_u32 s5, s5, 32
	s_ashr_i32 s8, s8, 8
	v_sub_nc_u32_e64 v6, s5, 4 clamp
	s_and_b32 s8, s8, 0x7f800000
	s_delay_alu instid0(VALU_DEP_1) | instskip(NEXT) | instid1(VALU_DEP_1)
	v_readfirstlane_b32 s5, v6
	s_lshl_b32 s9, s4, s5
	s_lshl_b32 s5, s5, 23
	s_lshr_b32 s9, s9, 4
	s_delay_alu instid0(SALU_CYCLE_1) | instskip(NEXT) | instid1(SALU_CYCLE_1)
	s_sub_i32 s5, s9, s5
	s_add_i32 s5, s5, 0x3c000000
	s_cmp_lg_u32 s4, 0
	s_cselect_b32 s4, -1, 0
	s_and_b32 s5, s5, 0x7ff00000
	s_delay_alu instid0(SALU_CYCLE_1) | instskip(NEXT) | instid1(SALU_CYCLE_1)
	s_or_b32 s5, s5, s8
	s_cmp_lg_u32 s5, 0
	s_cselect_b32 s5, -1, 0
	s_delay_alu instid0(SALU_CYCLE_1)
	s_and_b32 s4, s4, s5
	s_mov_b32 s5, -1
	v_cndmask_b32_e64 v6, 0, 1, s4
	global_store_b8 v[3:4], v6, off
.LBB135_460:
	s_mov_b32 s4, 0
.LBB135_461:
	s_delay_alu instid0(SALU_CYCLE_1)
	s_and_b32 vcc_lo, exec_lo, s4
	s_cbranch_vccz .LBB135_500
; %bb.462:
	v_cmp_gt_i16_e32 vcc_lo, 5, v5
	s_mov_b32 s4, -1
	s_cbranch_vccnz .LBB135_483
; %bb.463:
	v_cmp_gt_i16_e32 vcc_lo, 8, v5
	s_cbranch_vccnz .LBB135_473
; %bb.464:
	v_cmp_gt_i16_e32 vcc_lo, 9, v5
	s_cbranch_vccnz .LBB135_470
; %bb.465:
	v_cmp_lt_i16_e32 vcc_lo, 9, v5
	s_cbranch_vccz .LBB135_467
; %bb.466:
	s_lshl_b32 s4, s2, 24
	v_mov_b32_e32 v8, 0
	s_and_b32 s5, s4, 0x7f000000
	s_and_b32 s4, s4, 0x80000000
	s_clz_i32_u32 s8, s5
	s_add_i32 s10, s5, 0x1000000
	s_min_u32 s8, s8, 32
	s_ashr_i32 s10, s10, 8
	v_sub_nc_u32_e64 v6, s8, 4 clamp
	v_mov_b32_e32 v9, v8
	s_delay_alu instid0(VALU_DEP_2) | instskip(NEXT) | instid1(VALU_DEP_1)
	v_readfirstlane_b32 s8, v6
	s_lshl_b32 s9, s5, s8
	s_lshl_b32 s8, s8, 23
	s_lshr_b32 s9, s9, 4
	s_delay_alu instid0(SALU_CYCLE_1) | instskip(SKIP_2) | instid1(SALU_CYCLE_1)
	s_sub_i32 s8, s9, s8
	s_and_b32 s9, s10, 0x7f800000
	s_add_i32 s8, s8, 0x3c000000
	s_or_b32 s8, s8, s9
	s_cmp_lg_u32 s5, 0
	s_cselect_b32 s5, s8, 0
	s_delay_alu instid0(SALU_CYCLE_1) | instskip(NEXT) | instid1(SALU_CYCLE_1)
	s_or_b32 s4, s5, s4
	v_cvt_f64_f32_e32 v[6:7], s4
	s_mov_b32 s4, 0
	global_store_b128 v[3:4], v[6:9], off
.LBB135_467:
	s_and_not1_b32 vcc_lo, exec_lo, s4
	s_cbranch_vccnz .LBB135_469
; %bb.468:
	s_lshl_b32 s4, s2, 24
	v_mov_b32_e32 v7, 0
	s_and_b32 s5, s4, 0x7f000000
	s_and_b32 s4, s4, 0x80000000
	s_clz_i32_u32 s8, s5
	s_add_i32 s9, s5, 0x1000000
	s_min_u32 s8, s8, 32
	s_ashr_i32 s9, s9, 8
	v_sub_nc_u32_e64 v6, s8, 4 clamp
	s_and_b32 s9, s9, 0x7f800000
	s_delay_alu instid0(VALU_DEP_1) | instskip(NEXT) | instid1(VALU_DEP_1)
	v_readfirstlane_b32 s8, v6
	s_lshl_b32 s10, s5, s8
	s_lshl_b32 s8, s8, 23
	s_lshr_b32 s10, s10, 4
	s_delay_alu instid0(SALU_CYCLE_1) | instskip(NEXT) | instid1(SALU_CYCLE_1)
	s_sub_i32 s8, s10, s8
	s_add_i32 s8, s8, 0x3c000000
	s_delay_alu instid0(SALU_CYCLE_1) | instskip(SKIP_2) | instid1(SALU_CYCLE_1)
	s_or_b32 s8, s8, s9
	s_cmp_lg_u32 s5, 0
	s_cselect_b32 s5, s8, 0
	s_or_b32 s4, s5, s4
	s_delay_alu instid0(SALU_CYCLE_1)
	v_mov_b32_e32 v6, s4
	global_store_b64 v[3:4], v[6:7], off
.LBB135_469:
	s_mov_b32 s4, 0
.LBB135_470:
	s_delay_alu instid0(SALU_CYCLE_1)
	s_and_not1_b32 vcc_lo, exec_lo, s4
	s_cbranch_vccnz .LBB135_472
; %bb.471:
	s_lshl_b32 s4, s2, 24
	s_delay_alu instid0(SALU_CYCLE_1)
	s_and_b32 s5, s4, 0x7f000000
	s_and_b32 s4, s4, 0x80000000
	s_clz_i32_u32 s8, s5
	s_add_i32 s10, s5, 0x1000000
	s_min_u32 s8, s8, 32
	s_ashr_i32 s10, s10, 8
	v_sub_nc_u32_e64 v6, s8, 4 clamp
	s_delay_alu instid0(VALU_DEP_1) | instskip(NEXT) | instid1(VALU_DEP_1)
	v_readfirstlane_b32 s8, v6
	s_lshl_b32 s9, s5, s8
	s_lshl_b32 s8, s8, 23
	s_lshr_b32 s9, s9, 4
	s_delay_alu instid0(SALU_CYCLE_1) | instskip(SKIP_2) | instid1(SALU_CYCLE_1)
	s_sub_i32 s8, s9, s8
	s_and_b32 s9, s10, 0x7f800000
	s_add_i32 s8, s8, 0x3c000000
	s_or_b32 s8, s8, s9
	s_cmp_lg_u32 s5, 0
	s_cselect_b32 s5, s8, 0
	s_delay_alu instid0(SALU_CYCLE_1) | instskip(NEXT) | instid1(SALU_CYCLE_1)
	s_or_b32 s4, s5, s4
	v_cvt_f16_f32_e32 v6, s4
	s_delay_alu instid0(VALU_DEP_1)
	v_and_b32_e32 v6, 0xffff, v6
	global_store_b32 v[3:4], v6, off
.LBB135_472:
	s_mov_b32 s4, 0
.LBB135_473:
	s_delay_alu instid0(SALU_CYCLE_1)
	s_and_not1_b32 vcc_lo, exec_lo, s4
	s_cbranch_vccnz .LBB135_482
; %bb.474:
	v_cmp_gt_i16_e32 vcc_lo, 6, v5
	s_mov_b32 s4, -1
	s_cbranch_vccnz .LBB135_480
; %bb.475:
	v_cmp_lt_i16_e32 vcc_lo, 6, v5
	s_cbranch_vccz .LBB135_477
; %bb.476:
	s_lshl_b32 s4, s2, 24
	s_delay_alu instid0(SALU_CYCLE_1)
	s_and_b32 s5, s4, 0x7f000000
	s_and_b32 s4, s4, 0x80000000
	s_clz_i32_u32 s8, s5
	s_add_i32 s10, s5, 0x1000000
	s_min_u32 s8, s8, 32
	s_ashr_i32 s10, s10, 8
	v_sub_nc_u32_e64 v6, s8, 4 clamp
	s_delay_alu instid0(VALU_DEP_1) | instskip(NEXT) | instid1(VALU_DEP_1)
	v_readfirstlane_b32 s8, v6
	s_lshl_b32 s9, s5, s8
	s_lshl_b32 s8, s8, 23
	s_lshr_b32 s9, s9, 4
	s_delay_alu instid0(SALU_CYCLE_1) | instskip(SKIP_2) | instid1(SALU_CYCLE_1)
	s_sub_i32 s8, s9, s8
	s_and_b32 s9, s10, 0x7f800000
	s_add_i32 s8, s8, 0x3c000000
	s_or_b32 s8, s8, s9
	s_cmp_lg_u32 s5, 0
	s_cselect_b32 s5, s8, 0
	s_delay_alu instid0(SALU_CYCLE_1) | instskip(NEXT) | instid1(SALU_CYCLE_1)
	s_or_b32 s4, s5, s4
	v_cvt_f64_f32_e32 v[6:7], s4
	s_mov_b32 s4, 0
	global_store_b64 v[3:4], v[6:7], off
.LBB135_477:
	s_and_not1_b32 vcc_lo, exec_lo, s4
	s_cbranch_vccnz .LBB135_479
; %bb.478:
	s_lshl_b32 s4, s2, 24
	s_delay_alu instid0(SALU_CYCLE_1)
	s_and_b32 s5, s4, 0x7f000000
	s_and_b32 s4, s4, 0x80000000
	s_clz_i32_u32 s8, s5
	s_add_i32 s10, s5, 0x1000000
	s_min_u32 s8, s8, 32
	s_ashr_i32 s10, s10, 8
	v_sub_nc_u32_e64 v6, s8, 4 clamp
	s_delay_alu instid0(VALU_DEP_1) | instskip(NEXT) | instid1(VALU_DEP_1)
	v_readfirstlane_b32 s8, v6
	s_lshl_b32 s9, s5, s8
	s_lshl_b32 s8, s8, 23
	s_lshr_b32 s9, s9, 4
	s_delay_alu instid0(SALU_CYCLE_1) | instskip(SKIP_2) | instid1(SALU_CYCLE_1)
	s_sub_i32 s8, s9, s8
	s_and_b32 s9, s10, 0x7f800000
	s_add_i32 s8, s8, 0x3c000000
	s_or_b32 s8, s8, s9
	s_cmp_lg_u32 s5, 0
	s_cselect_b32 s5, s8, 0
	s_delay_alu instid0(SALU_CYCLE_1) | instskip(NEXT) | instid1(SALU_CYCLE_1)
	s_or_b32 s4, s5, s4
	v_mov_b32_e32 v6, s4
	global_store_b32 v[3:4], v6, off
.LBB135_479:
	s_mov_b32 s4, 0
.LBB135_480:
	s_delay_alu instid0(SALU_CYCLE_1)
	s_and_not1_b32 vcc_lo, exec_lo, s4
	s_cbranch_vccnz .LBB135_482
; %bb.481:
	s_lshl_b32 s4, s2, 24
	s_delay_alu instid0(SALU_CYCLE_1)
	s_and_b32 s5, s4, 0x7f000000
	s_and_b32 s4, s4, 0x80000000
	s_clz_i32_u32 s8, s5
	s_add_i32 s10, s5, 0x1000000
	s_min_u32 s8, s8, 32
	s_ashr_i32 s10, s10, 8
	v_sub_nc_u32_e64 v6, s8, 4 clamp
	s_delay_alu instid0(VALU_DEP_1) | instskip(NEXT) | instid1(VALU_DEP_1)
	v_readfirstlane_b32 s8, v6
	s_lshl_b32 s9, s5, s8
	s_lshl_b32 s8, s8, 23
	s_lshr_b32 s9, s9, 4
	s_delay_alu instid0(SALU_CYCLE_1) | instskip(SKIP_2) | instid1(SALU_CYCLE_1)
	s_sub_i32 s8, s9, s8
	s_and_b32 s9, s10, 0x7f800000
	s_add_i32 s8, s8, 0x3c000000
	s_or_b32 s8, s8, s9
	s_cmp_lg_u32 s5, 0
	s_cselect_b32 s5, s8, 0
	s_delay_alu instid0(SALU_CYCLE_1) | instskip(NEXT) | instid1(SALU_CYCLE_1)
	s_or_b32 s4, s5, s4
	v_cvt_f16_f32_e32 v6, s4
	global_store_b16 v[3:4], v6, off
.LBB135_482:
	s_mov_b32 s4, 0
.LBB135_483:
	s_delay_alu instid0(SALU_CYCLE_1)
	s_and_not1_b32 vcc_lo, exec_lo, s4
	s_cbranch_vccnz .LBB135_499
; %bb.484:
	v_cmp_gt_i16_e32 vcc_lo, 2, v5
	s_mov_b32 s4, -1
	s_cbranch_vccnz .LBB135_494
; %bb.485:
	v_cmp_gt_i16_e32 vcc_lo, 3, v5
	s_cbranch_vccnz .LBB135_491
; %bb.486:
	v_cmp_lt_i16_e32 vcc_lo, 3, v5
	s_cbranch_vccz .LBB135_488
; %bb.487:
	s_lshl_b32 s4, s2, 24
	s_delay_alu instid0(SALU_CYCLE_1)
	s_and_b32 s5, s4, 0x7f000000
	s_and_b32 s4, s4, 0x80000000
	s_clz_i32_u32 s8, s5
	s_add_i32 s9, s5, 0x1000000
	s_min_u32 s8, s8, 32
	s_ashr_i32 s9, s9, 8
	v_sub_nc_u32_e64 v6, s8, 4 clamp
	s_and_b32 s9, s9, 0x7f800000
	s_delay_alu instid0(VALU_DEP_1) | instskip(NEXT) | instid1(VALU_DEP_1)
	v_readfirstlane_b32 s8, v6
	s_lshl_b32 s10, s5, s8
	s_lshl_b32 s8, s8, 23
	s_lshr_b32 s10, s10, 4
	s_delay_alu instid0(SALU_CYCLE_1) | instskip(NEXT) | instid1(SALU_CYCLE_1)
	s_sub_i32 s8, s10, s8
	s_add_i32 s8, s8, 0x3c000000
	s_delay_alu instid0(SALU_CYCLE_1) | instskip(SKIP_2) | instid1(SALU_CYCLE_1)
	s_or_b32 s8, s8, s9
	s_cmp_lg_u32 s5, 0
	s_cselect_b32 s5, s8, 0
	s_or_b32 s4, s5, s4
	s_delay_alu instid0(SALU_CYCLE_1) | instskip(SKIP_1) | instid1(VALU_DEP_1)
	v_trunc_f32_e32 v6, s4
	s_mov_b32 s4, 0
	v_mul_f32_e64 v7, 0x2f800000, |v6|
	v_ashrrev_i32_e32 v9, 31, v6
	s_delay_alu instid0(VALU_DEP_2) | instskip(NEXT) | instid1(VALU_DEP_1)
	v_floor_f32_e32 v7, v7
	v_fma_f32 v8, 0xcf800000, v7, |v6|
	v_cvt_u32_f32_e32 v7, v7
	s_delay_alu instid0(VALU_DEP_2) | instskip(NEXT) | instid1(VALU_DEP_2)
	v_cvt_u32_f32_e32 v6, v8
	v_xor_b32_e32 v7, v7, v9
	s_delay_alu instid0(VALU_DEP_2) | instskip(NEXT) | instid1(VALU_DEP_1)
	v_xor_b32_e32 v6, v6, v9
	v_sub_co_u32 v6, vcc_lo, v6, v9
	s_delay_alu instid0(VALU_DEP_3)
	v_sub_co_ci_u32_e32 v7, vcc_lo, v7, v9, vcc_lo
	global_store_b64 v[3:4], v[6:7], off
.LBB135_488:
	s_and_not1_b32 vcc_lo, exec_lo, s4
	s_cbranch_vccnz .LBB135_490
; %bb.489:
	s_lshl_b32 s4, s2, 24
	s_delay_alu instid0(SALU_CYCLE_1)
	s_and_b32 s5, s4, 0x7f000000
	s_and_b32 s4, s4, 0x80000000
	s_clz_i32_u32 s8, s5
	s_add_i32 s10, s5, 0x1000000
	s_min_u32 s8, s8, 32
	s_ashr_i32 s10, s10, 8
	v_sub_nc_u32_e64 v6, s8, 4 clamp
	s_delay_alu instid0(VALU_DEP_1) | instskip(NEXT) | instid1(VALU_DEP_1)
	v_readfirstlane_b32 s8, v6
	s_lshl_b32 s9, s5, s8
	s_lshl_b32 s8, s8, 23
	s_lshr_b32 s9, s9, 4
	s_delay_alu instid0(SALU_CYCLE_1) | instskip(SKIP_2) | instid1(SALU_CYCLE_1)
	s_sub_i32 s8, s9, s8
	s_and_b32 s9, s10, 0x7f800000
	s_add_i32 s8, s8, 0x3c000000
	s_or_b32 s8, s8, s9
	s_cmp_lg_u32 s5, 0
	s_cselect_b32 s5, s8, 0
	s_delay_alu instid0(SALU_CYCLE_1) | instskip(NEXT) | instid1(SALU_CYCLE_1)
	s_or_b32 s4, s5, s4
	v_cvt_i32_f32_e32 v6, s4
	global_store_b32 v[3:4], v6, off
.LBB135_490:
	s_mov_b32 s4, 0
.LBB135_491:
	s_delay_alu instid0(SALU_CYCLE_1)
	s_and_not1_b32 vcc_lo, exec_lo, s4
	s_cbranch_vccnz .LBB135_493
; %bb.492:
	s_lshl_b32 s4, s2, 24
	s_delay_alu instid0(SALU_CYCLE_1)
	s_and_b32 s5, s4, 0x7f000000
	s_and_b32 s4, s4, 0x80000000
	s_clz_i32_u32 s8, s5
	s_add_i32 s10, s5, 0x1000000
	s_min_u32 s8, s8, 32
	s_ashr_i32 s10, s10, 8
	v_sub_nc_u32_e64 v6, s8, 4 clamp
	s_delay_alu instid0(VALU_DEP_1) | instskip(NEXT) | instid1(VALU_DEP_1)
	v_readfirstlane_b32 s8, v6
	s_lshl_b32 s9, s5, s8
	s_lshl_b32 s8, s8, 23
	s_lshr_b32 s9, s9, 4
	s_delay_alu instid0(SALU_CYCLE_1) | instskip(SKIP_2) | instid1(SALU_CYCLE_1)
	s_sub_i32 s8, s9, s8
	s_and_b32 s9, s10, 0x7f800000
	s_add_i32 s8, s8, 0x3c000000
	s_or_b32 s8, s8, s9
	s_cmp_lg_u32 s5, 0
	s_cselect_b32 s5, s8, 0
	s_delay_alu instid0(SALU_CYCLE_1) | instskip(NEXT) | instid1(SALU_CYCLE_1)
	s_or_b32 s4, s5, s4
	v_cvt_i32_f32_e32 v6, s4
	global_store_b16 v[3:4], v6, off
.LBB135_493:
	s_mov_b32 s4, 0
.LBB135_494:
	s_delay_alu instid0(SALU_CYCLE_1)
	s_and_not1_b32 vcc_lo, exec_lo, s4
	s_cbranch_vccnz .LBB135_499
; %bb.495:
	v_cmp_lt_i16_e32 vcc_lo, 0, v5
	s_mov_b32 s4, -1
	s_cbranch_vccz .LBB135_497
; %bb.496:
	s_lshl_b32 s4, s2, 24
	s_delay_alu instid0(SALU_CYCLE_1)
	s_and_b32 s5, s4, 0x7f000000
	s_and_b32 s4, s4, 0x80000000
	s_clz_i32_u32 s8, s5
	s_add_i32 s10, s5, 0x1000000
	s_min_u32 s8, s8, 32
	s_ashr_i32 s10, s10, 8
	v_sub_nc_u32_e64 v6, s8, 4 clamp
	s_delay_alu instid0(VALU_DEP_1) | instskip(NEXT) | instid1(VALU_DEP_1)
	v_readfirstlane_b32 s8, v6
	s_lshl_b32 s9, s5, s8
	s_lshl_b32 s8, s8, 23
	s_lshr_b32 s9, s9, 4
	s_delay_alu instid0(SALU_CYCLE_1) | instskip(SKIP_2) | instid1(SALU_CYCLE_1)
	s_sub_i32 s8, s9, s8
	s_and_b32 s9, s10, 0x7f800000
	s_add_i32 s8, s8, 0x3c000000
	s_or_b32 s8, s8, s9
	s_cmp_lg_u32 s5, 0
	s_cselect_b32 s5, s8, 0
	s_delay_alu instid0(SALU_CYCLE_1) | instskip(NEXT) | instid1(SALU_CYCLE_1)
	s_or_b32 s4, s5, s4
	v_cvt_i32_f32_e32 v6, s4
	s_mov_b32 s4, 0
	global_store_b8 v[3:4], v6, off
.LBB135_497:
	s_and_not1_b32 vcc_lo, exec_lo, s4
	s_cbranch_vccnz .LBB135_499
; %bb.498:
	s_lshl_b32 s4, s2, 24
	s_delay_alu instid0(SALU_CYCLE_1)
	s_and_b32 s5, s4, 0x7f000000
	s_and_b32 s4, s4, 0x80000000
	s_clz_i32_u32 s8, s5
	s_add_i32 s9, s5, 0x1000000
	s_min_u32 s8, s8, 32
	s_ashr_i32 s9, s9, 8
	v_sub_nc_u32_e64 v6, s8, 4 clamp
	s_and_b32 s9, s9, 0x7f800000
	s_delay_alu instid0(VALU_DEP_1) | instskip(NEXT) | instid1(VALU_DEP_1)
	v_readfirstlane_b32 s8, v6
	s_lshl_b32 s10, s5, s8
	s_lshl_b32 s8, s8, 23
	s_lshr_b32 s10, s10, 4
	s_delay_alu instid0(SALU_CYCLE_1) | instskip(NEXT) | instid1(SALU_CYCLE_1)
	s_sub_i32 s8, s10, s8
	s_add_i32 s8, s8, 0x3c000000
	s_delay_alu instid0(SALU_CYCLE_1) | instskip(SKIP_2) | instid1(SALU_CYCLE_1)
	s_or_b32 s8, s8, s9
	s_cmp_lg_u32 s5, 0
	s_cselect_b32 s5, s8, 0
	s_or_b32 s4, s5, s4
	s_delay_alu instid0(SALU_CYCLE_1) | instskip(NEXT) | instid1(VALU_DEP_1)
	v_trunc_f32_e32 v6, s4
	v_mul_f32_e64 v7, 0x2f800000, |v6|
	s_delay_alu instid0(VALU_DEP_1) | instskip(NEXT) | instid1(VALU_DEP_1)
	v_floor_f32_e32 v7, v7
	v_fma_f32 v7, 0xcf800000, v7, |v6|
	v_ashrrev_i32_e32 v6, 31, v6
	s_delay_alu instid0(VALU_DEP_2) | instskip(NEXT) | instid1(VALU_DEP_1)
	v_cvt_u32_f32_e32 v7, v7
	v_xor_b32_e32 v7, v7, v6
	s_delay_alu instid0(VALU_DEP_1)
	v_sub_nc_u32_e32 v6, v7, v6
	global_store_b8 v[3:4], v6, off
.LBB135_499:
	s_mov_b32 s5, -1
.LBB135_500:
	s_delay_alu instid0(SALU_CYCLE_1)
	s_and_not1_b32 vcc_lo, exec_lo, s5
	s_cbranch_vccnz .LBB135_893
; %bb.501:
	v_cmp_gt_i16_e32 vcc_lo, 11, v5
	v_add_co_u32 v2, s4, s0, v2
	s_delay_alu instid0(VALU_DEP_1)
	v_add_co_ci_u32_e64 v3, null, s1, 0, s4
	s_mov_b32 s8, 0
	s_mov_b32 s4, -1
	s_cbranch_vccnz .LBB135_704
; %bb.502:
	v_cmp_lt_i16_e32 vcc_lo, 25, v5
	s_mov_b32 s9, -1
	s_mov_b32 s5, 0
	s_mov_b32 s4, 0
	s_cbranch_vccz .LBB135_541
; %bb.503:
	v_cmp_lt_i16_e32 vcc_lo, 28, v5
	s_cbranch_vccz .LBB135_518
; %bb.504:
	v_cmp_lt_i16_e32 vcc_lo, 43, v5
	;; [unrolled: 3-line block ×3, first 2 shown]
	s_cbranch_vccz .LBB135_508
; %bb.506:
	v_cmp_eq_u16_e32 vcc_lo, 46, v5
	s_mov_b32 s4, -1
	s_mov_b32 s9, 0
	s_cbranch_vccz .LBB135_508
; %bb.507:
	s_lshl_b32 s4, s2, 24
	s_delay_alu instid0(SALU_CYCLE_1)
	s_and_b32 s8, s4, 0x7f000000
	s_and_b32 s4, s4, 0x80000000
	s_clz_i32_u32 s10, s8
	s_add_i32 s11, s8, 0x1000000
	s_min_u32 s10, s10, 32
	s_ashr_i32 s11, s11, 8
	v_sub_nc_u32_e64 v4, s10, 4 clamp
	s_and_b32 s11, s11, 0x7f800000
	s_delay_alu instid0(VALU_DEP_1) | instskip(NEXT) | instid1(VALU_DEP_1)
	v_readfirstlane_b32 s10, v4
	s_lshl_b32 s12, s8, s10
	s_lshl_b32 s10, s10, 23
	s_lshr_b32 s12, s12, 4
	s_delay_alu instid0(SALU_CYCLE_1) | instskip(NEXT) | instid1(SALU_CYCLE_1)
	s_sub_i32 s10, s12, s10
	s_add_i32 s10, s10, 0x3c000000
	s_delay_alu instid0(SALU_CYCLE_1) | instskip(SKIP_2) | instid1(SALU_CYCLE_1)
	s_or_b32 s10, s10, s11
	s_cmp_lg_u32 s8, 0
	s_cselect_b32 s8, s10, 0
	s_or_b32 s4, s8, s4
	s_bfe_u32 s8, s8, 0x10010
	s_delay_alu instid0(SALU_CYCLE_1) | instskip(SKIP_2) | instid1(SALU_CYCLE_1)
	s_add_i32 s8, s4, s8
	v_cmp_o_f32_e64 s4, s4, s4
	s_addk_i32 s8, 0x7fff
	s_lshr_b32 s8, s8, 16
	s_delay_alu instid0(VALU_DEP_1)
	s_and_b32 s4, s4, exec_lo
	s_cselect_b32 s4, s8, 0x7fc0
	s_mov_b32 s8, -1
	v_mov_b32_e32 v4, s4
	s_mov_b32 s4, 0
	global_store_b32 v[2:3], v4, off
.LBB135_508:
	s_and_b32 vcc_lo, exec_lo, s9
	s_cbranch_vccz .LBB135_513
; %bb.509:
	v_cmp_eq_u16_e32 vcc_lo, 44, v5
	s_mov_b32 s4, -1
	s_cbranch_vccz .LBB135_513
; %bb.510:
	s_lshl_b32 s4, s2, 24
	s_delay_alu instid0(SALU_CYCLE_1) | instskip(NEXT) | instid1(SALU_CYCLE_1)
	s_and_b32 s4, s4, 0x7f000000
	s_clz_i32_u32 s8, s4
	s_add_i32 s9, s4, 0x1000000
	s_min_u32 s8, s8, 32
	s_ashr_i32 s9, s9, 8
	v_sub_nc_u32_e64 v4, s8, 4 clamp
	s_and_b32 s9, s9, 0x7f800000
	s_delay_alu instid0(VALU_DEP_1) | instskip(SKIP_1) | instid1(VALU_DEP_2)
	v_readfirstlane_b32 s8, v4
	v_mov_b32_e32 v4, 0xff
	s_lshl_b32 s10, s4, s8
	s_lshl_b32 s8, s8, 23
	s_lshr_b32 s10, s10, 4
	s_delay_alu instid0(SALU_CYCLE_1) | instskip(NEXT) | instid1(SALU_CYCLE_1)
	s_sub_i32 s8, s10, s8
	s_add_i32 s8, s8, 0x3c000000
	s_delay_alu instid0(SALU_CYCLE_1) | instskip(SKIP_3) | instid1(SALU_CYCLE_1)
	s_or_b32 s8, s8, s9
	s_cmp_lg_u32 s4, 0
	s_mov_b32 s4, 0
	s_cselect_b32 s9, s8, 0
	s_lshr_b32 s8, s9, 23
	s_delay_alu instid0(SALU_CYCLE_1)
	s_cmpk_eq_i32 s8, 0xff
	s_cbranch_scc1 .LBB135_512
; %bb.511:
	s_bitcmp1_b32 s9, 22
	s_cselect_b32 s10, -1, 0
	s_and_b32 s9, s9, 0x3fffff
	s_delay_alu instid0(SALU_CYCLE_1) | instskip(NEXT) | instid1(SALU_CYCLE_1)
	s_or_b32 s9, s8, s9
	s_cmp_lg_u32 s9, 0
	s_cselect_b32 s9, -1, 0
	s_delay_alu instid0(SALU_CYCLE_1) | instskip(NEXT) | instid1(SALU_CYCLE_1)
	s_and_b32 s9, s10, s9
	v_cndmask_b32_e64 v4, 0, 1, s9
	s_delay_alu instid0(VALU_DEP_1)
	v_add_nc_u32_e32 v4, s8, v4
.LBB135_512:
	s_mov_b32 s8, -1
	global_store_b8 v[2:3], v4, off
.LBB135_513:
	s_mov_b32 s9, 0
.LBB135_514:
	s_delay_alu instid0(SALU_CYCLE_1)
	s_and_b32 vcc_lo, exec_lo, s9
	s_cbranch_vccz .LBB135_517
; %bb.515:
	v_cmp_eq_u16_e32 vcc_lo, 29, v5
	s_mov_b32 s4, -1
	s_cbranch_vccz .LBB135_517
; %bb.516:
	s_lshl_b32 s4, s2, 24
	s_delay_alu instid0(SALU_CYCLE_1)
	s_and_b32 s8, s4, 0x7f000000
	s_and_b32 s4, s4, 0x80000000
	s_clz_i32_u32 s9, s8
	s_add_i32 s10, s8, 0x1000000
	s_min_u32 s9, s9, 32
	s_ashr_i32 s10, s10, 8
	v_sub_nc_u32_e64 v4, s9, 4 clamp
	s_and_b32 s10, s10, 0x7f800000
	s_delay_alu instid0(VALU_DEP_1) | instskip(NEXT) | instid1(VALU_DEP_1)
	v_readfirstlane_b32 s9, v4
	s_lshl_b32 s11, s8, s9
	s_lshl_b32 s9, s9, 23
	s_lshr_b32 s11, s11, 4
	s_delay_alu instid0(SALU_CYCLE_1) | instskip(NEXT) | instid1(SALU_CYCLE_1)
	s_sub_i32 s9, s11, s9
	s_add_i32 s9, s9, 0x3c000000
	s_delay_alu instid0(SALU_CYCLE_1) | instskip(SKIP_2) | instid1(SALU_CYCLE_1)
	s_or_b32 s9, s9, s10
	s_cmp_lg_u32 s8, 0
	s_cselect_b32 s8, s9, 0
	s_or_b32 s4, s8, s4
	s_mov_b32 s8, -1
	v_trunc_f32_e32 v4, s4
	s_mov_b32 s4, 0
	s_delay_alu instid0(VALU_DEP_1) | instskip(NEXT) | instid1(VALU_DEP_1)
	v_mul_f32_e32 v6, 0x2f800000, v4
	v_floor_f32_e32 v7, v6
	s_delay_alu instid0(VALU_DEP_1) | instskip(SKIP_1) | instid1(VALU_DEP_2)
	v_fmamk_f32 v4, v7, 0xcf800000, v4
	v_cvt_u32_f32_e32 v7, v7
	v_cvt_u32_f32_e32 v6, v4
	global_store_b64 v[2:3], v[6:7], off
.LBB135_517:
	s_mov_b32 s9, 0
.LBB135_518:
	s_delay_alu instid0(SALU_CYCLE_1)
	s_and_b32 vcc_lo, exec_lo, s9
	s_cbranch_vccz .LBB135_540
; %bb.519:
	v_cmp_gt_i16_e32 vcc_lo, 27, v5
	s_mov_b32 s8, -1
	s_cbranch_vccnz .LBB135_525
; %bb.520:
	v_cmp_lt_i16_e32 vcc_lo, 27, v5
	s_cbranch_vccz .LBB135_522
; %bb.521:
	s_lshl_b32 s8, s2, 24
	s_delay_alu instid0(SALU_CYCLE_1)
	s_and_b32 s9, s8, 0x7f000000
	s_and_b32 s8, s8, 0x80000000
	s_clz_i32_u32 s10, s9
	s_add_i32 s12, s9, 0x1000000
	s_min_u32 s10, s10, 32
	s_ashr_i32 s12, s12, 8
	v_sub_nc_u32_e64 v4, s10, 4 clamp
	s_delay_alu instid0(VALU_DEP_1) | instskip(NEXT) | instid1(VALU_DEP_1)
	v_readfirstlane_b32 s10, v4
	s_lshl_b32 s11, s9, s10
	s_lshl_b32 s10, s10, 23
	s_lshr_b32 s11, s11, 4
	s_delay_alu instid0(SALU_CYCLE_1) | instskip(SKIP_2) | instid1(SALU_CYCLE_1)
	s_sub_i32 s10, s11, s10
	s_and_b32 s11, s12, 0x7f800000
	s_add_i32 s10, s10, 0x3c000000
	s_or_b32 s10, s10, s11
	s_cmp_lg_u32 s9, 0
	s_cselect_b32 s9, s10, 0
	s_delay_alu instid0(SALU_CYCLE_1) | instskip(NEXT) | instid1(SALU_CYCLE_1)
	s_or_b32 s8, s9, s8
	v_cvt_u32_f32_e32 v4, s8
	s_mov_b32 s8, 0
	global_store_b32 v[2:3], v4, off
.LBB135_522:
	s_and_not1_b32 vcc_lo, exec_lo, s8
	s_cbranch_vccnz .LBB135_524
; %bb.523:
	s_lshl_b32 s8, s2, 24
	s_delay_alu instid0(SALU_CYCLE_1)
	s_and_b32 s9, s8, 0x7f000000
	s_and_b32 s8, s8, 0x80000000
	s_clz_i32_u32 s10, s9
	s_add_i32 s12, s9, 0x1000000
	s_min_u32 s10, s10, 32
	s_ashr_i32 s12, s12, 8
	v_sub_nc_u32_e64 v4, s10, 4 clamp
	s_delay_alu instid0(VALU_DEP_1) | instskip(NEXT) | instid1(VALU_DEP_1)
	v_readfirstlane_b32 s10, v4
	s_lshl_b32 s11, s9, s10
	s_lshl_b32 s10, s10, 23
	s_lshr_b32 s11, s11, 4
	s_delay_alu instid0(SALU_CYCLE_1) | instskip(SKIP_2) | instid1(SALU_CYCLE_1)
	s_sub_i32 s10, s11, s10
	s_and_b32 s11, s12, 0x7f800000
	s_add_i32 s10, s10, 0x3c000000
	s_or_b32 s10, s10, s11
	s_cmp_lg_u32 s9, 0
	s_cselect_b32 s9, s10, 0
	s_delay_alu instid0(SALU_CYCLE_1) | instskip(NEXT) | instid1(SALU_CYCLE_1)
	s_or_b32 s8, s9, s8
	v_cvt_u32_f32_e32 v4, s8
	global_store_b16 v[2:3], v4, off
.LBB135_524:
	s_mov_b32 s8, 0
.LBB135_525:
	s_delay_alu instid0(SALU_CYCLE_1)
	s_and_not1_b32 vcc_lo, exec_lo, s8
	s_cbranch_vccnz .LBB135_539
; %bb.526:
	s_lshl_b32 s8, s2, 24
	v_mov_b32_e32 v6, 0x80
	s_and_b32 s9, s8, 0x7f000000
	s_and_b32 s8, s8, 0x80000000
	s_clz_i32_u32 s10, s9
	s_add_i32 s11, s9, 0x1000000
	s_min_u32 s10, s10, 32
	s_ashr_i32 s11, s11, 8
	v_sub_nc_u32_e64 v4, s10, 4 clamp
	s_and_b32 s11, s11, 0x7f800000
	s_delay_alu instid0(VALU_DEP_1) | instskip(NEXT) | instid1(VALU_DEP_1)
	v_readfirstlane_b32 s10, v4
	s_lshl_b32 s12, s9, s10
	s_lshl_b32 s10, s10, 23
	s_lshr_b32 s12, s12, 4
	s_delay_alu instid0(SALU_CYCLE_1) | instskip(NEXT) | instid1(SALU_CYCLE_1)
	s_sub_i32 s10, s12, s10
	s_add_i32 s10, s10, 0x3c000000
	s_delay_alu instid0(SALU_CYCLE_1) | instskip(SKIP_3) | instid1(SALU_CYCLE_1)
	s_or_b32 s10, s10, s11
	s_cmp_lg_u32 s9, 0
	s_mov_b32 s9, 0
	s_cselect_b32 s10, s10, 0
	s_or_b32 s8, s10, s8
	s_delay_alu instid0(SALU_CYCLE_1) | instskip(NEXT) | instid1(SALU_CYCLE_1)
	s_and_b32 s11, s8, 0x7fffffff
	s_cmp_gt_u32 s11, 0x437fffff
	s_cbranch_scc1 .LBB135_538
; %bb.527:
	s_cmp_gt_u32 s11, 0x3bffffff
	s_cbranch_scc0 .LBB135_533
; %bb.528:
	s_bfe_u32 s9, s10, 0x10014
	s_mov_b32 s10, 0
	s_add_i32 s9, s8, s9
	s_delay_alu instid0(SALU_CYCLE_1) | instskip(NEXT) | instid1(SALU_CYCLE_1)
	s_add_i32 s9, s9, 0x487ffff
	s_lshr_b32 s11, s9, 20
	s_mov_b32 s9, -1
	s_branch .LBB135_534
.LBB135_529:
	s_cbranch_execnz .LBB135_531
; %bb.530:
	s_or_b32 s3, s6, exec_lo
	s_cbranch_execz .LBB135_459
	s_branch .LBB135_460
.LBB135_531:
	s_trap 2
	s_sendmsg_rtn_b32 s0, sendmsg(MSG_RTN_GET_DOORBELL)
	s_mov_b32 ttmp2, m0
	s_waitcnt lgkmcnt(0)
	s_and_b32 s0, s0, 0x3ff
	s_delay_alu instid0(SALU_CYCLE_1) | instskip(NEXT) | instid1(SALU_CYCLE_1)
	s_bitset1_b32 s0, 10
	s_mov_b32 m0, s0
	s_sendmsg sendmsg(MSG_INTERRUPT)
	s_mov_b32 m0, ttmp2
.LBB135_532:                            ; =>This Inner Loop Header: Depth=1
	s_sethalt 5
	s_branch .LBB135_532
.LBB135_533:
	s_mov_b32 s10, -1
                                        ; implicit-def: $sgpr11
.LBB135_534:
	v_mov_b32_e32 v4, s11
	s_and_not1_b32 vcc_lo, exec_lo, s10
                                        ; implicit-def: $sgpr10
	s_cbranch_vccnz .LBB135_536
; %bb.535:
	v_add_f32_e64 v4, 0x46000000, |s8|
	s_mov_b32 s10, 0
	s_delay_alu instid0(VALU_DEP_1) | instskip(NEXT) | instid1(VALU_DEP_1)
	v_and_b32_e32 v4, 0xff, v4
	v_cmp_ne_u32_e64 s9, 0, v4
.LBB135_536:
	v_mov_b32_e32 v6, s10
	s_delay_alu instid0(VALU_DEP_2)
	s_and_not1_b32 vcc_lo, exec_lo, s9
	s_cbranch_vccnz .LBB135_538
; %bb.537:
	s_lshr_b32 s8, s8, 24
	s_delay_alu instid0(SALU_CYCLE_1) | instskip(NEXT) | instid1(SALU_CYCLE_1)
	s_and_b32 s8, s8, 0x80
	v_or_b32_e32 v6, s8, v4
.LBB135_538:
	global_store_b8 v[2:3], v6, off
.LBB135_539:
	s_mov_b32 s8, -1
.LBB135_540:
	s_mov_b32 s9, 0
.LBB135_541:
	s_delay_alu instid0(SALU_CYCLE_1)
	s_and_b32 vcc_lo, exec_lo, s9
	s_cbranch_vccz .LBB135_700
; %bb.542:
	v_cmp_lt_i16_e32 vcc_lo, 22, v5
	s_mov_b32 s5, -1
	s_cbranch_vccz .LBB135_693
; %bb.543:
	v_cmp_gt_i16_e32 vcc_lo, 24, v5
	s_cbranch_vccnz .LBB135_680
; %bb.544:
	v_cmp_lt_i16_e32 vcc_lo, 24, v5
	s_cbranch_vccz .LBB135_677
; %bb.545:
	s_lshl_b32 s5, s2, 24
	v_mov_b32_e32 v6, 0x80
	s_and_b32 s8, s5, 0x7f000000
	s_and_b32 s5, s5, 0x80000000
	s_clz_i32_u32 s9, s8
	s_add_i32 s10, s8, 0x1000000
	s_min_u32 s9, s9, 32
	s_ashr_i32 s10, s10, 8
	v_sub_nc_u32_e64 v4, s9, 4 clamp
	s_and_b32 s10, s10, 0x7f800000
	s_delay_alu instid0(VALU_DEP_1) | instskip(NEXT) | instid1(VALU_DEP_1)
	v_readfirstlane_b32 s9, v4
	s_lshl_b32 s11, s8, s9
	s_lshl_b32 s9, s9, 23
	s_lshr_b32 s11, s11, 4
	s_delay_alu instid0(SALU_CYCLE_1) | instskip(NEXT) | instid1(SALU_CYCLE_1)
	s_sub_i32 s9, s11, s9
	s_add_i32 s9, s9, 0x3c000000
	s_delay_alu instid0(SALU_CYCLE_1) | instskip(SKIP_2) | instid1(SALU_CYCLE_1)
	s_or_b32 s9, s9, s10
	s_cmp_lg_u32 s8, 0
	s_cselect_b32 s9, s9, 0
	s_or_b32 s8, s9, s5
	s_mov_b32 s5, 0
	s_and_b32 s10, s8, 0x7fffffff
	s_delay_alu instid0(SALU_CYCLE_1)
	s_cmp_gt_u32 s10, 0x477fffff
	s_cbranch_scc1 .LBB135_676
; %bb.546:
	s_cmp_gt_u32 s10, 0x37ffffff
	s_cbranch_scc0 .LBB135_671
; %bb.547:
	s_bfe_u32 s9, s9, 0x10015
	s_mov_b32 s10, 0
	s_add_i32 s9, s8, s9
	s_delay_alu instid0(SALU_CYCLE_1) | instskip(NEXT) | instid1(SALU_CYCLE_1)
	s_add_i32 s9, s9, 0x88fffff
	s_lshr_b32 s11, s9, 21
	s_mov_b32 s9, -1
	s_branch .LBB135_672
.LBB135_548:
	s_mov_b32 s14, s48
.LBB135_549:
	s_and_b32 vcc_lo, exec_lo, s16
	s_cbranch_vccz .LBB135_552
; %bb.550:
	v_cmp_eq_u16_e32 vcc_lo, 44, v10
	s_mov_b32 s14, -1
	s_cbranch_vccz .LBB135_552
; %bb.551:
	v_cndmask_b32_e64 v2, v19, 0xff, s41
	s_mov_b32 s15, -1
	s_mov_b32 s14, 0
	global_store_b8 v[8:9], v2, off
.LBB135_552:
	s_mov_b32 s16, 0
.LBB135_553:
	s_delay_alu instid0(SALU_CYCLE_1)
	s_and_b32 vcc_lo, exec_lo, s16
	s_cbranch_vccz .LBB135_556
; %bb.554:
	v_cmp_eq_u16_e32 vcc_lo, 29, v10
	s_mov_b32 s14, -1
	s_cbranch_vccz .LBB135_556
; %bb.555:
	s_mov_b32 s15, -1
	s_mov_b32 s14, 0
	global_store_b64 v[8:9], v[6:7], off
.LBB135_556:
	s_mov_b32 s16, 0
.LBB135_557:
	s_delay_alu instid0(SALU_CYCLE_1)
	s_and_b32 vcc_lo, exec_lo, s16
	s_cbranch_vccz .LBB135_570
; %bb.558:
	v_cmp_gt_i16_e32 vcc_lo, 27, v10
	s_mov_b32 s15, -1
	s_cbranch_vccnz .LBB135_564
; %bb.559:
	v_cmp_lt_i16_e32 vcc_lo, 27, v10
	s_cbranch_vccz .LBB135_561
; %bb.560:
	s_mov_b32 s15, 0
	global_store_b32 v[8:9], v18, off
.LBB135_561:
	s_and_not1_b32 vcc_lo, exec_lo, s15
	s_cbranch_vccnz .LBB135_563
; %bb.562:
	global_store_b16 v[8:9], v18, off
.LBB135_563:
	s_mov_b32 s15, 0
.LBB135_564:
	s_delay_alu instid0(SALU_CYCLE_1)
	s_and_not1_b32 vcc_lo, exec_lo, s15
	s_cbranch_vccnz .LBB135_569
; %bb.565:
	v_mov_b32_e32 v2, 0x80
	s_and_not1_b32 vcc_lo, exec_lo, s38
	s_cbranch_vccnz .LBB135_568
; %bb.566:
	v_mov_b32_e32 v2, 0
	s_or_b32 s15, s37, s40
	s_delay_alu instid0(SALU_CYCLE_1)
	s_and_not1_b32 vcc_lo, exec_lo, s15
	s_cbranch_vccnz .LBB135_568
; %bb.567:
	v_cndmask_b32_e64 v2, v17, s39, s37
	s_delay_alu instid0(VALU_DEP_1)
	v_or_b32_e32 v2, s25, v2
.LBB135_568:
	global_store_b8 v[8:9], v2, off
.LBB135_569:
	s_mov_b32 s15, -1
.LBB135_570:
	s_mov_b32 s16, 0
.LBB135_571:
	s_delay_alu instid0(SALU_CYCLE_1)
	s_and_b32 vcc_lo, exec_lo, s16
	s_cbranch_vccz .LBB135_593
; %bb.572:
	v_cmp_lt_i16_e32 vcc_lo, 22, v10
	s_mov_b32 s16, -1
	s_cbranch_vccz .LBB135_585
; %bb.573:
	v_cmp_gt_i16_e32 vcc_lo, 24, v10
	s_mov_b32 s15, -1
	s_cbranch_vccnz .LBB135_582
; %bb.574:
	v_cmp_lt_i16_e32 vcc_lo, 24, v10
	s_cbranch_vccz .LBB135_579
; %bb.575:
	v_mov_b32_e32 v2, 0x80
	s_and_not1_b32 vcc_lo, exec_lo, s35
	s_cbranch_vccnz .LBB135_578
; %bb.576:
	v_mov_b32_e32 v2, 0
	s_or_b32 s15, s33, s36
	s_delay_alu instid0(SALU_CYCLE_1)
	s_and_not1_b32 vcc_lo, exec_lo, s15
	s_cbranch_vccnz .LBB135_578
; %bb.577:
	v_cndmask_b32_e64 v2, v16, s34, s33
	s_delay_alu instid0(VALU_DEP_1)
	v_or_b32_e32 v2, s25, v2
.LBB135_578:
	s_mov_b32 s15, 0
	global_store_b8 v[8:9], v2, off
.LBB135_579:
	s_and_b32 vcc_lo, exec_lo, s15
	s_cbranch_vccz .LBB135_581
; %bb.580:
	v_mov_b32_e32 v2, s24
	global_store_b8 v[8:9], v2, off
.LBB135_581:
	s_mov_b32 s15, 0
.LBB135_582:
	s_delay_alu instid0(SALU_CYCLE_1)
	s_and_not1_b32 vcc_lo, exec_lo, s15
	s_cbranch_vccnz .LBB135_584
; %bb.583:
	s_and_b32 s15, s29, exec_lo
	s_cselect_b32 s15, s27, s30
	s_and_b32 s16, s28, exec_lo
	s_cselect_b32 s15, s31, s15
	s_delay_alu instid0(SALU_CYCLE_1) | instskip(NEXT) | instid1(SALU_CYCLE_1)
	s_or_b32 s15, s15, s25
	v_mov_b32_e32 v2, s15
	global_store_b8 v[8:9], v2, off
.LBB135_584:
	s_mov_b32 s16, 0
	s_mov_b32 s15, -1
.LBB135_585:
	s_and_not1_b32 vcc_lo, exec_lo, s16
	s_cbranch_vccnz .LBB135_593
; %bb.586:
	v_cmp_lt_i16_e32 vcc_lo, 14, v10
	s_mov_b32 s16, -1
	s_cbranch_vccz .LBB135_590
; %bb.587:
	v_cmp_eq_u16_e32 vcc_lo, 15, v10
	s_mov_b32 s14, -1
	s_cbranch_vccz .LBB135_589
; %bb.588:
	v_mov_b32_e32 v2, s26
	s_mov_b32 s15, -1
	s_mov_b32 s14, 0
	global_store_b16 v[8:9], v2, off
.LBB135_589:
	s_mov_b32 s16, 0
.LBB135_590:
	s_delay_alu instid0(SALU_CYCLE_1)
	s_and_b32 vcc_lo, exec_lo, s16
	s_cbranch_vccz .LBB135_593
; %bb.591:
	v_cmp_eq_u16_e32 vcc_lo, 11, v10
	s_mov_b32 s14, -1
	s_cbranch_vccz .LBB135_593
; %bb.592:
	s_mov_b32 s15, -1
	s_mov_b32 s14, 0
	global_store_b8 v[8:9], v15, off
.LBB135_593:
.LBB135_594:
	s_and_not1_b32 vcc_lo, exec_lo, s15
	s_cbranch_vccnz .LBB135_424
.LBB135_595:
	v_add_nc_u32_e32 v13, 0x80, v13
	s_mov_b32 s15, -1
.LBB135_596:
	s_and_not1_b32 s16, s48, exec_lo
	s_and_b32 s14, s14, exec_lo
	s_or_not1_b32 s51, s15, exec_lo
	s_or_b32 s16, s16, s14
.LBB135_597:
	s_or_b32 exec_lo, exec_lo, s50
	s_mov_b32 s14, 0
	s_mov_b32 s15, 0
                                        ; implicit-def: $vgpr8_vgpr9
	s_and_saveexec_b32 s17, s51
	s_cbranch_execz .LBB135_665
; %bb.598:
	v_cmp_gt_i32_e32 vcc_lo, s43, v13
	s_mov_b32 s50, s16
                                        ; implicit-def: $vgpr8_vgpr9
	s_and_saveexec_b32 s43, vcc_lo
	s_cbranch_execz .LBB135_664
; %bb.599:
	s_and_not1_b32 vcc_lo, exec_lo, s21
	s_cbranch_vccnz .LBB135_604
; %bb.600:
	v_mov_b32_e32 v2, 0
	s_and_not1_b32 vcc_lo, exec_lo, s45
	s_cbranch_vccnz .LBB135_609
; %bb.601:
	s_add_i32 s45, s44, 1
	s_cmp_eq_u32 s19, 2
	s_mov_b32 s44, 0
	s_cbranch_scc1 .LBB135_605
; %bb.602:
	v_dual_mov_b32 v2, 0 :: v_dual_mov_b32 v3, v13
	s_and_b32 s44, s45, 28
	s_mov_b32 s50, 0
	s_mov_b64 s[14:15], s[0:1]
.LBB135_603:                            ; =>This Inner Loop Header: Depth=1
	s_clause 0x1
	s_load_b256 s[52:59], s[14:15], 0x4
	s_load_b128 s[60:63], s[14:15], 0x24
	s_load_b128 s[64:67], s[12:13], 0x0
	s_add_u32 s14, s14, 48
	s_addc_u32 s15, s15, 0
	s_add_i32 s50, s50, 4
	s_add_u32 s12, s12, 16
	s_addc_u32 s13, s13, 0
	s_cmp_eq_u32 s44, s50
	s_waitcnt lgkmcnt(0)
	v_mul_hi_u32 v8, s53, v3
	s_delay_alu instid0(VALU_DEP_1) | instskip(NEXT) | instid1(VALU_DEP_1)
	v_add_nc_u32_e32 v8, v3, v8
	v_lshrrev_b32_e32 v8, s54, v8
	s_delay_alu instid0(VALU_DEP_1) | instskip(SKIP_1) | instid1(VALU_DEP_2)
	v_mul_hi_u32 v9, s56, v8
	v_mul_lo_u32 v22, v8, s52
	v_add_nc_u32_e32 v9, v8, v9
	s_delay_alu instid0(VALU_DEP_2) | instskip(NEXT) | instid1(VALU_DEP_2)
	v_sub_nc_u32_e32 v22, v3, v22
	v_lshrrev_b32_e32 v9, s57, v9
	s_delay_alu instid0(VALU_DEP_2) | instskip(NEXT) | instid1(VALU_DEP_2)
	v_mul_lo_u32 v22, v22, s64
	v_mul_hi_u32 v20, s59, v9
	v_mul_lo_u32 v23, v9, s55
	s_delay_alu instid0(VALU_DEP_2) | instskip(NEXT) | instid1(VALU_DEP_2)
	v_add_nc_u32_e32 v20, v9, v20
	v_sub_nc_u32_e32 v8, v8, v23
	s_delay_alu instid0(VALU_DEP_2) | instskip(NEXT) | instid1(VALU_DEP_2)
	v_lshrrev_b32_e32 v20, s60, v20
	v_mul_lo_u32 v8, v8, s65
	s_delay_alu instid0(VALU_DEP_2) | instskip(NEXT) | instid1(VALU_DEP_2)
	v_mul_hi_u32 v21, s62, v20
	v_add3_u32 v2, v22, v2, v8
	s_delay_alu instid0(VALU_DEP_2) | instskip(NEXT) | instid1(VALU_DEP_1)
	v_add_nc_u32_e32 v21, v20, v21
	v_lshrrev_b32_e32 v3, s63, v21
	v_mul_lo_u32 v21, v20, s58
	s_delay_alu instid0(VALU_DEP_2) | instskip(NEXT) | instid1(VALU_DEP_2)
	v_mul_lo_u32 v24, v3, s61
	v_sub_nc_u32_e32 v9, v9, v21
	s_delay_alu instid0(VALU_DEP_2) | instskip(NEXT) | instid1(VALU_DEP_2)
	v_sub_nc_u32_e32 v20, v20, v24
	v_mul_lo_u32 v9, v9, s66
	s_delay_alu instid0(VALU_DEP_2) | instskip(NEXT) | instid1(VALU_DEP_1)
	v_mul_lo_u32 v20, v20, s67
	v_add3_u32 v2, v9, v2, v20
	s_cbranch_scc0 .LBB135_603
	s_branch .LBB135_606
.LBB135_604:
	s_mov_b32 s12, -1
                                        ; implicit-def: $vgpr2
	s_branch .LBB135_610
.LBB135_605:
	v_mov_b32_e32 v3, v13
.LBB135_606:
	s_and_b32 s45, s45, 3
	s_delay_alu instid0(SALU_CYCLE_1)
	s_cmp_eq_u32 s45, 0
	s_cbranch_scc1 .LBB135_609
; %bb.607:
	s_lshl_b32 s12, s44, 2
	s_mul_i32 s14, s44, 12
	s_add_u32 s12, s12, s0
	s_addc_u32 s13, s1, 0
	s_add_u32 s12, s12, 0xc4
	s_addc_u32 s13, s13, 0
	;; [unrolled: 2-line block ×3, first 2 shown]
.LBB135_608:                            ; =>This Inner Loop Header: Depth=1
	s_clause 0x1
	s_load_b64 s[50:51], s[14:15], 0x4
	s_load_b32 s44, s[14:15], 0xc
	s_add_u32 s14, s14, 12
	s_addc_u32 s15, s15, 0
	s_waitcnt lgkmcnt(0)
	v_mul_hi_u32 v8, s51, v3
	s_load_b32 s51, s[12:13], 0x0
	s_add_u32 s12, s12, 4
	s_addc_u32 s13, s13, 0
	s_add_i32 s45, s45, -1
	s_delay_alu instid0(SALU_CYCLE_1) | instskip(NEXT) | instid1(VALU_DEP_1)
	s_cmp_lg_u32 s45, 0
	v_add_nc_u32_e32 v8, v3, v8
	s_delay_alu instid0(VALU_DEP_1) | instskip(NEXT) | instid1(VALU_DEP_1)
	v_lshrrev_b32_e32 v20, s44, v8
	v_mul_lo_u32 v8, v20, s50
	s_delay_alu instid0(VALU_DEP_1) | instskip(SKIP_1) | instid1(VALU_DEP_1)
	v_sub_nc_u32_e32 v3, v3, v8
	s_waitcnt lgkmcnt(0)
	v_mad_u64_u32 v[8:9], null, v3, s51, v[2:3]
	v_mov_b32_e32 v3, v20
	s_delay_alu instid0(VALU_DEP_2)
	v_mov_b32_e32 v2, v8
	s_cbranch_scc1 .LBB135_608
.LBB135_609:
	s_mov_b32 s12, 0
.LBB135_610:
	s_delay_alu instid0(SALU_CYCLE_1)
	s_and_not1_b32 vcc_lo, exec_lo, s12
	s_cbranch_vccnz .LBB135_613
; %bb.611:
	s_waitcnt lgkmcnt(0)
	v_mul_hi_u32 v2, s5, v13
	s_and_not1_b32 vcc_lo, exec_lo, s42
	s_delay_alu instid0(VALU_DEP_1) | instskip(NEXT) | instid1(VALU_DEP_1)
	v_add_nc_u32_e32 v2, v13, v2
	v_lshrrev_b32_e32 v3, s6, v2
	s_delay_alu instid0(VALU_DEP_1) | instskip(NEXT) | instid1(VALU_DEP_1)
	v_mul_lo_u32 v2, v3, s4
	v_sub_nc_u32_e32 v2, v13, v2
	s_delay_alu instid0(VALU_DEP_1)
	v_mul_lo_u32 v2, v2, s8
	s_cbranch_vccnz .LBB135_613
; %bb.612:
	v_mul_hi_u32 v8, s10, v3
	s_delay_alu instid0(VALU_DEP_1) | instskip(NEXT) | instid1(VALU_DEP_1)
	v_add_nc_u32_e32 v8, v3, v8
	v_lshrrev_b32_e32 v8, s11, v8
	s_delay_alu instid0(VALU_DEP_1) | instskip(NEXT) | instid1(VALU_DEP_1)
	v_mul_lo_u32 v8, v8, s7
	v_sub_nc_u32_e32 v3, v3, v8
	s_delay_alu instid0(VALU_DEP_1) | instskip(NEXT) | instid1(VALU_DEP_1)
	v_mad_u64_u32 v[8:9], null, v3, s9, v[2:3]
	v_mov_b32_e32 v2, v8
.LBB135_613:
	v_cmp_gt_i16_e32 vcc_lo, 11, v10
	s_waitcnt lgkmcnt(0)
	s_delay_alu instid0(VALU_DEP_2) | instskip(NEXT) | instid1(VALU_DEP_1)
	v_add_co_u32 v8, s2, s2, v2
	v_add_co_ci_u32_e64 v9, null, s3, 0, s2
	s_mov_b32 s4, 0
	s_mov_b32 s3, -1
	s_mov_b32 s2, s16
	s_cbranch_vccnz .LBB135_663
; %bb.614:
	v_cmp_lt_i16_e32 vcc_lo, 25, v10
	s_mov_b32 s2, s16
	s_cbranch_vccz .LBB135_642
; %bb.615:
	v_cmp_lt_i16_e32 vcc_lo, 28, v10
	s_mov_b32 s2, s16
	s_cbranch_vccz .LBB135_629
	;; [unrolled: 4-line block ×4, first 2 shown]
; %bb.618:
	v_cmp_eq_u16_e32 vcc_lo, 46, v10
	s_mov_b32 s2, -1
	s_cbranch_vccz .LBB135_620
; %bb.619:
	v_mov_b32_e32 v2, s26
	s_mov_b32 s2, 0
	global_store_b32 v[8:9], v2, off
.LBB135_620:
	s_mov_b32 s3, 0
.LBB135_621:
	s_delay_alu instid0(SALU_CYCLE_1)
	s_and_b32 vcc_lo, exec_lo, s3
	s_cbranch_vccz .LBB135_624
; %bb.622:
	v_cmp_eq_u16_e32 vcc_lo, 44, v10
	s_mov_b32 s2, -1
	s_cbranch_vccz .LBB135_624
; %bb.623:
	v_cndmask_b32_e64 v2, v19, 0xff, s41
	s_mov_b32 s2, 0
	global_store_b8 v[8:9], v2, off
.LBB135_624:
	s_mov_b32 s3, 0
.LBB135_625:
	s_delay_alu instid0(SALU_CYCLE_1)
	s_and_b32 vcc_lo, exec_lo, s3
	s_cbranch_vccz .LBB135_628
; %bb.626:
	v_cmp_eq_u16_e32 vcc_lo, 29, v10
	s_mov_b32 s2, -1
	s_cbranch_vccz .LBB135_628
; %bb.627:
	s_mov_b32 s2, 0
	global_store_b64 v[8:9], v[6:7], off
.LBB135_628:
	s_mov_b32 s3, 0
.LBB135_629:
	s_delay_alu instid0(SALU_CYCLE_1)
	s_and_b32 vcc_lo, exec_lo, s3
	s_cbranch_vccz .LBB135_641
; %bb.630:
	v_cmp_gt_i16_e32 vcc_lo, 27, v10
	s_mov_b32 s3, -1
	s_cbranch_vccnz .LBB135_636
; %bb.631:
	v_cmp_lt_i16_e32 vcc_lo, 27, v10
	s_cbranch_vccz .LBB135_633
; %bb.632:
	s_mov_b32 s3, 0
	global_store_b32 v[8:9], v18, off
.LBB135_633:
	s_and_not1_b32 vcc_lo, exec_lo, s3
	s_cbranch_vccnz .LBB135_635
; %bb.634:
	global_store_b16 v[8:9], v18, off
.LBB135_635:
	s_mov_b32 s3, 0
.LBB135_636:
	s_delay_alu instid0(SALU_CYCLE_1)
	s_and_not1_b32 vcc_lo, exec_lo, s3
	s_cbranch_vccnz .LBB135_641
; %bb.637:
	v_mov_b32_e32 v2, 0x80
	s_and_not1_b32 vcc_lo, exec_lo, s38
	s_cbranch_vccnz .LBB135_640
; %bb.638:
	v_mov_b32_e32 v2, 0
	s_or_b32 s3, s37, s40
	s_delay_alu instid0(SALU_CYCLE_1)
	s_and_not1_b32 vcc_lo, exec_lo, s3
	s_cbranch_vccnz .LBB135_640
; %bb.639:
	v_cndmask_b32_e64 v2, v17, s39, s37
	s_delay_alu instid0(VALU_DEP_1)
	v_or_b32_e32 v2, s25, v2
.LBB135_640:
	global_store_b8 v[8:9], v2, off
.LBB135_641:
	s_mov_b32 s3, 0
.LBB135_642:
	s_delay_alu instid0(SALU_CYCLE_1)
	s_and_b32 vcc_lo, exec_lo, s3
	s_mov_b32 s3, 0
	s_cbranch_vccz .LBB135_663
; %bb.643:
	v_cmp_lt_i16_e32 vcc_lo, 22, v10
	s_mov_b32 s4, -1
	s_cbranch_vccz .LBB135_656
; %bb.644:
	v_cmp_gt_i16_e32 vcc_lo, 24, v10
	s_cbranch_vccnz .LBB135_653
; %bb.645:
	v_cmp_lt_i16_e32 vcc_lo, 24, v10
	s_cbranch_vccz .LBB135_650
; %bb.646:
	v_mov_b32_e32 v2, 0x80
	s_and_not1_b32 vcc_lo, exec_lo, s35
	s_cbranch_vccnz .LBB135_649
; %bb.647:
	v_mov_b32_e32 v2, 0
	s_or_b32 s4, s33, s36
	s_delay_alu instid0(SALU_CYCLE_1)
	s_and_not1_b32 vcc_lo, exec_lo, s4
	s_cbranch_vccnz .LBB135_649
; %bb.648:
	v_cndmask_b32_e64 v2, v16, s34, s33
	s_delay_alu instid0(VALU_DEP_1)
	v_or_b32_e32 v2, s25, v2
.LBB135_649:
	s_mov_b32 s4, 0
	global_store_b8 v[8:9], v2, off
.LBB135_650:
	s_and_b32 vcc_lo, exec_lo, s4
	s_cbranch_vccz .LBB135_652
; %bb.651:
	v_mov_b32_e32 v2, s24
	global_store_b8 v[8:9], v2, off
.LBB135_652:
	s_mov_b32 s4, 0
.LBB135_653:
	s_delay_alu instid0(SALU_CYCLE_1)
	s_and_not1_b32 vcc_lo, exec_lo, s4
	s_cbranch_vccnz .LBB135_655
; %bb.654:
	s_and_b32 s4, s29, exec_lo
	s_cselect_b32 s4, s27, s30
	s_and_b32 s5, s28, exec_lo
	s_cselect_b32 s4, s31, s4
	s_delay_alu instid0(SALU_CYCLE_1) | instskip(NEXT) | instid1(SALU_CYCLE_1)
	s_or_b32 s4, s4, s25
	v_mov_b32_e32 v2, s4
	global_store_b8 v[8:9], v2, off
.LBB135_655:
	s_mov_b32 s4, 0
.LBB135_656:
	s_delay_alu instid0(SALU_CYCLE_1)
	s_and_not1_b32 vcc_lo, exec_lo, s4
	s_mov_b32 s4, 0
	s_cbranch_vccnz .LBB135_663
; %bb.657:
	v_cmp_lt_i16_e32 vcc_lo, 14, v10
	s_mov_b32 s4, -1
	s_cbranch_vccz .LBB135_661
; %bb.658:
	v_cmp_eq_u16_e32 vcc_lo, 15, v10
	s_mov_b32 s2, -1
	s_cbranch_vccz .LBB135_660
; %bb.659:
	v_mov_b32_e32 v2, s26
	s_mov_b32 s2, 0
	global_store_b16 v[8:9], v2, off
.LBB135_660:
	s_mov_b32 s4, 0
.LBB135_661:
	s_delay_alu instid0(SALU_CYCLE_1)
	s_and_b32 vcc_lo, exec_lo, s4
	s_mov_b32 s4, 0
	s_cbranch_vccz .LBB135_663
; %bb.662:
	v_cmp_ne_u16_e32 vcc_lo, 11, v10
	s_and_not1_b32 s2, s2, exec_lo
	s_mov_b32 s4, -1
	s_and_b32 s5, vcc_lo, exec_lo
	s_delay_alu instid0(SALU_CYCLE_1)
	s_or_b32 s2, s2, s5
.LBB135_663:
	s_and_b32 s15, s3, exec_lo
	s_and_not1_b32 s3, s16, exec_lo
	s_and_b32 s2, s2, exec_lo
	s_and_b32 s14, s4, exec_lo
	s_or_b32 s50, s3, s2
.LBB135_664:
	s_or_b32 exec_lo, exec_lo, s43
	s_waitcnt lgkmcnt(0)
	s_and_not1_b32 s2, s16, exec_lo
	s_and_b32 s3, s50, exec_lo
	s_and_b32 s15, s15, exec_lo
	;; [unrolled: 1-line block ×3, first 2 shown]
	s_or_b32 s16, s2, s3
.LBB135_665:
	s_or_b32 exec_lo, exec_lo, s17
	s_waitcnt lgkmcnt(0)
	s_and_not1_b32 s2, s48, exec_lo
	s_and_b32 s3, s16, exec_lo
	s_and_b32 s15, s15, exec_lo
	;; [unrolled: 1-line block ×3, first 2 shown]
	s_or_b32 s48, s2, s3
.LBB135_666:
	s_or_b32 exec_lo, exec_lo, s49
	s_waitcnt lgkmcnt(0)
	s_and_not1_b32 s2, s46, exec_lo
	s_and_b32 s3, s48, exec_lo
	s_and_b32 s15, s15, exec_lo
	s_and_b32 s48, s14, exec_lo
	s_or_b32 s46, s2, s3
	s_or_b32 exec_lo, exec_lo, s47
	s_mov_b32 s2, 0
	s_and_saveexec_b32 s3, s46
	s_cbranch_execz .LBB135_118
.LBB135_667:
	s_cbranch_execnz .LBB135_669
; %bb.668:
	s_mov_b32 s2, exec_lo
	s_and_not1_b32 s48, s48, exec_lo
	s_or_b32 exec_lo, exec_lo, s3
	s_and_saveexec_b32 s3, s48
	s_delay_alu instid0(SALU_CYCLE_1)
	s_xor_b32 s3, exec_lo, s3
	s_cbranch_execnz .LBB135_119
	s_branch .LBB135_120
.LBB135_669:
	s_trap 2
	s_sendmsg_rtn_b32 s0, sendmsg(MSG_RTN_GET_DOORBELL)
	s_mov_b32 ttmp2, m0
	s_waitcnt lgkmcnt(0)
	s_and_b32 s0, s0, 0x3ff
	s_delay_alu instid0(SALU_CYCLE_1) | instskip(NEXT) | instid1(SALU_CYCLE_1)
	s_bitset1_b32 s0, 10
	s_mov_b32 m0, s0
	s_sendmsg sendmsg(MSG_INTERRUPT)
	s_mov_b32 m0, ttmp2
.LBB135_670:                            ; =>This Inner Loop Header: Depth=1
	s_sethalt 5
	s_branch .LBB135_670
.LBB135_671:
	s_mov_b32 s10, -1
	s_mov_b32 s9, 0
                                        ; implicit-def: $sgpr11
.LBB135_672:
	v_mov_b32_e32 v4, s11
	s_and_not1_b32 vcc_lo, exec_lo, s10
                                        ; implicit-def: $sgpr10
	s_cbranch_vccnz .LBB135_674
; %bb.673:
	v_add_f32_e64 v4, 0x42800000, |s8|
	s_mov_b32 s10, 0
	s_delay_alu instid0(VALU_DEP_1) | instskip(NEXT) | instid1(VALU_DEP_1)
	v_and_b32_e32 v4, 0xff, v4
	v_cmp_ne_u32_e64 s9, 0, v4
.LBB135_674:
	v_mov_b32_e32 v6, s10
	s_delay_alu instid0(VALU_DEP_2)
	s_and_not1_b32 vcc_lo, exec_lo, s9
	s_cbranch_vccnz .LBB135_676
; %bb.675:
	s_lshr_b32 s8, s8, 24
	s_delay_alu instid0(SALU_CYCLE_1) | instskip(NEXT) | instid1(SALU_CYCLE_1)
	s_and_b32 s8, s8, 0x80
	v_or_b32_e32 v6, s8, v4
.LBB135_676:
	global_store_b8 v[2:3], v6, off
.LBB135_677:
	s_and_b32 vcc_lo, exec_lo, s5
	s_cbranch_vccz .LBB135_679
; %bb.678:
	v_mov_b32_e32 v4, s2
	global_store_b8 v[2:3], v4, off
.LBB135_679:
	s_mov_b32 s5, 0
.LBB135_680:
	s_delay_alu instid0(SALU_CYCLE_1)
	s_and_not1_b32 vcc_lo, exec_lo, s5
	s_cbranch_vccnz .LBB135_692
; %bb.681:
	s_lshl_b32 s5, s2, 24
	s_delay_alu instid0(SALU_CYCLE_1)
	s_and_b32 s8, s5, 0x7f000000
	s_and_b32 s5, s5, 0x80000000
	s_clz_i32_u32 s9, s8
	s_add_i32 s11, s8, 0x1000000
	s_min_u32 s9, s9, 32
	s_ashr_i32 s11, s11, 8
	v_sub_nc_u32_e64 v4, s9, 4 clamp
	s_delay_alu instid0(VALU_DEP_1) | instskip(NEXT) | instid1(VALU_DEP_1)
	v_readfirstlane_b32 s9, v4
	s_lshl_b32 s10, s8, s9
	s_lshl_b32 s9, s9, 23
	s_lshr_b32 s10, s10, 4
	s_delay_alu instid0(SALU_CYCLE_1) | instskip(SKIP_2) | instid1(SALU_CYCLE_1)
	s_sub_i32 s9, s10, s9
	s_and_b32 s10, s11, 0x7f800000
	s_add_i32 s9, s9, 0x3c000000
	s_or_b32 s9, s9, s10
	s_cmp_lg_u32 s8, 0
	s_cselect_b32 s9, s9, 0
	s_delay_alu instid0(SALU_CYCLE_1) | instskip(NEXT) | instid1(SALU_CYCLE_1)
	s_or_b32 s5, s9, s5
	s_and_b32 s8, s5, 0x7fffffff
	s_delay_alu instid0(SALU_CYCLE_1)
	s_cmp_lt_u32 s8, 0x47800000
	s_cbranch_scc0 .LBB135_684
; %bb.682:
	s_cmp_gt_u32 s8, 0x387fffff
	s_cbranch_scc0 .LBB135_685
; %bb.683:
	s_bfe_u32 s9, s9, 0x10015
	s_delay_alu instid0(SALU_CYCLE_1) | instskip(NEXT) | instid1(SALU_CYCLE_1)
	s_add_i32 s9, s5, s9
	s_add_i32 s9, s9, 0x80fffff
	s_delay_alu instid0(SALU_CYCLE_1)
	s_lshr_b32 s10, s9, 21
	s_mov_b32 s9, 0
	s_branch .LBB135_686
.LBB135_684:
	s_mov_b32 s9, -1
                                        ; implicit-def: $vgpr4
	s_branch .LBB135_689
.LBB135_685:
	s_mov_b32 s9, -1
                                        ; implicit-def: $sgpr10
.LBB135_686:
	v_mov_b32_e32 v4, s10
	s_and_not1_b32 vcc_lo, exec_lo, s9
	s_cbranch_vccnz .LBB135_688
; %bb.687:
	v_add_f32_e64 v4, 0x43000000, |s5|
.LBB135_688:
	s_mov_b32 s9, 0
.LBB135_689:
	s_delay_alu instid0(SALU_CYCLE_1)
	s_and_not1_b32 vcc_lo, exec_lo, s9
	s_cbranch_vccnz .LBB135_691
; %bb.690:
	s_cmp_gt_u32 s8, 0x7f800000
	s_movk_i32 s8, 0x7f
	s_delay_alu instid0(SALU_CYCLE_1) | instskip(NEXT) | instid1(SALU_CYCLE_1)
	s_cselect_b32 s8, s8, 0x7c
	v_mov_b32_e32 v4, s8
.LBB135_691:
	s_lshr_b32 s5, s5, 24
	s_delay_alu instid0(SALU_CYCLE_1)
	s_and_b32 s5, s5, 0x80
	s_delay_alu instid0(VALU_DEP_1) | instid1(SALU_CYCLE_1)
	v_or_b32_e32 v4, s5, v4
	global_store_b8 v[2:3], v4, off
.LBB135_692:
	s_mov_b32 s5, 0
	s_mov_b32 s8, -1
.LBB135_693:
	s_and_not1_b32 vcc_lo, exec_lo, s5
	s_mov_b32 s5, 0
	s_cbranch_vccnz .LBB135_700
; %bb.694:
	v_cmp_lt_i16_e32 vcc_lo, 14, v5
	s_mov_b32 s5, -1
	s_cbranch_vccz .LBB135_698
; %bb.695:
	v_cmp_eq_u16_e32 vcc_lo, 15, v5
	s_mov_b32 s4, -1
	s_cbranch_vccz .LBB135_697
; %bb.696:
	s_lshl_b32 s4, s2, 24
	s_delay_alu instid0(SALU_CYCLE_1)
	s_and_b32 s5, s4, 0x7f000000
	s_and_b32 s4, s4, 0x80000000
	s_clz_i32_u32 s8, s5
	s_add_i32 s9, s5, 0x1000000
	s_min_u32 s8, s8, 32
	s_ashr_i32 s9, s9, 8
	v_sub_nc_u32_e64 v4, s8, 4 clamp
	s_and_b32 s9, s9, 0x7f800000
	s_delay_alu instid0(VALU_DEP_1) | instskip(NEXT) | instid1(VALU_DEP_1)
	v_readfirstlane_b32 s8, v4
	s_lshl_b32 s10, s5, s8
	s_lshl_b32 s8, s8, 23
	s_lshr_b32 s10, s10, 4
	s_delay_alu instid0(SALU_CYCLE_1) | instskip(NEXT) | instid1(SALU_CYCLE_1)
	s_sub_i32 s8, s10, s8
	s_add_i32 s8, s8, 0x3c000000
	s_delay_alu instid0(SALU_CYCLE_1)
	s_or_b32 s8, s8, s9
	s_cmp_lg_u32 s5, 0
	s_cselect_b32 s5, s8, 0
	s_mov_b32 s8, -1
	s_or_b32 s4, s5, s4
	s_bfe_u32 s5, s5, 0x10010
	s_delay_alu instid0(SALU_CYCLE_1) | instskip(SKIP_2) | instid1(SALU_CYCLE_1)
	s_add_i32 s5, s4, s5
	v_cmp_o_f32_e64 s4, s4, s4
	s_addk_i32 s5, 0x7fff
	s_lshr_b32 s5, s5, 16
	s_delay_alu instid0(VALU_DEP_1) | instskip(SKIP_1) | instid1(SALU_CYCLE_1)
	s_and_b32 s4, s4, exec_lo
	s_cselect_b32 s4, s5, 0x7fc0
	v_mov_b32_e32 v4, s4
	s_mov_b32 s4, 0
	global_store_b16 v[2:3], v4, off
.LBB135_697:
	s_mov_b32 s5, 0
.LBB135_698:
	s_delay_alu instid0(SALU_CYCLE_1)
	s_and_b32 vcc_lo, exec_lo, s5
	s_mov_b32 s5, 0
	s_cbranch_vccz .LBB135_700
; %bb.699:
	v_cmp_ne_u16_e64 s4, 11, v5
	s_mov_b32 s5, -1
.LBB135_700:
	s_delay_alu instid0(VALU_DEP_1)
	s_and_b32 vcc_lo, exec_lo, s4
	s_cbranch_vccnz .LBB135_772
; %bb.701:
	s_and_not1_b32 vcc_lo, exec_lo, s5
	s_cbranch_vccnz .LBB135_703
.LBB135_702:
	s_lshl_b32 s4, s2, 24
	s_delay_alu instid0(SALU_CYCLE_1) | instskip(NEXT) | instid1(SALU_CYCLE_1)
	s_and_b32 s4, s4, 0x7f000000
	s_clz_i32_u32 s5, s4
	s_add_i32 s8, s4, 0x1000000
	s_min_u32 s5, s5, 32
	s_ashr_i32 s8, s8, 8
	v_sub_nc_u32_e64 v4, s5, 4 clamp
	s_and_b32 s8, s8, 0x7f800000
	s_delay_alu instid0(VALU_DEP_1) | instskip(NEXT) | instid1(VALU_DEP_1)
	v_readfirstlane_b32 s5, v4
	s_lshl_b32 s9, s4, s5
	s_lshl_b32 s5, s5, 23
	s_lshr_b32 s9, s9, 4
	s_delay_alu instid0(SALU_CYCLE_1) | instskip(NEXT) | instid1(SALU_CYCLE_1)
	s_sub_i32 s5, s9, s5
	s_add_i32 s5, s5, 0x3c000000
	s_cmp_lg_u32 s4, 0
	s_cselect_b32 s4, -1, 0
	s_and_b32 s5, s5, 0x7ff00000
	s_delay_alu instid0(SALU_CYCLE_1) | instskip(SKIP_3) | instid1(SALU_CYCLE_1)
	s_or_b32 s5, s5, s8
	s_mov_b32 s8, -1
	s_cmp_lg_u32 s5, 0
	s_cselect_b32 s5, -1, 0
	s_and_b32 s4, s4, s5
	s_delay_alu instid0(SALU_CYCLE_1)
	v_cndmask_b32_e64 v4, 0, 1, s4
	global_store_b8 v[2:3], v4, off
.LBB135_703:
	s_mov_b32 s4, 0
.LBB135_704:
	s_delay_alu instid0(SALU_CYCLE_1)
	s_and_b32 vcc_lo, exec_lo, s4
	s_cbranch_vccz .LBB135_743
; %bb.705:
	v_cmp_gt_i16_e32 vcc_lo, 5, v5
	s_mov_b32 s4, -1
	s_cbranch_vccnz .LBB135_726
; %bb.706:
	v_cmp_gt_i16_e32 vcc_lo, 8, v5
	s_cbranch_vccnz .LBB135_716
; %bb.707:
	v_cmp_gt_i16_e32 vcc_lo, 9, v5
	s_cbranch_vccnz .LBB135_713
; %bb.708:
	v_cmp_lt_i16_e32 vcc_lo, 9, v5
	s_cbranch_vccz .LBB135_710
; %bb.709:
	s_lshl_b32 s4, s2, 24
	v_mov_b32_e32 v8, 0
	s_and_b32 s5, s4, 0x7f000000
	s_and_b32 s4, s4, 0x80000000
	s_clz_i32_u32 s8, s5
	s_add_i32 s10, s5, 0x1000000
	s_min_u32 s8, s8, 32
	s_ashr_i32 s10, s10, 8
	v_sub_nc_u32_e64 v4, s8, 4 clamp
	v_mov_b32_e32 v9, v8
	s_delay_alu instid0(VALU_DEP_2) | instskip(NEXT) | instid1(VALU_DEP_1)
	v_readfirstlane_b32 s8, v4
	s_lshl_b32 s9, s5, s8
	s_lshl_b32 s8, s8, 23
	s_lshr_b32 s9, s9, 4
	s_delay_alu instid0(SALU_CYCLE_1) | instskip(SKIP_2) | instid1(SALU_CYCLE_1)
	s_sub_i32 s8, s9, s8
	s_and_b32 s9, s10, 0x7f800000
	s_add_i32 s8, s8, 0x3c000000
	s_or_b32 s8, s8, s9
	s_cmp_lg_u32 s5, 0
	s_cselect_b32 s5, s8, 0
	s_delay_alu instid0(SALU_CYCLE_1) | instskip(NEXT) | instid1(SALU_CYCLE_1)
	s_or_b32 s4, s5, s4
	v_cvt_f64_f32_e32 v[6:7], s4
	s_mov_b32 s4, 0
	global_store_b128 v[2:3], v[6:9], off
.LBB135_710:
	s_and_not1_b32 vcc_lo, exec_lo, s4
	s_cbranch_vccnz .LBB135_712
; %bb.711:
	s_lshl_b32 s4, s2, 24
	v_mov_b32_e32 v7, 0
	s_and_b32 s5, s4, 0x7f000000
	s_and_b32 s4, s4, 0x80000000
	s_clz_i32_u32 s8, s5
	s_add_i32 s9, s5, 0x1000000
	s_min_u32 s8, s8, 32
	s_ashr_i32 s9, s9, 8
	v_sub_nc_u32_e64 v4, s8, 4 clamp
	s_and_b32 s9, s9, 0x7f800000
	s_delay_alu instid0(VALU_DEP_1) | instskip(NEXT) | instid1(VALU_DEP_1)
	v_readfirstlane_b32 s8, v4
	s_lshl_b32 s10, s5, s8
	s_lshl_b32 s8, s8, 23
	s_lshr_b32 s10, s10, 4
	s_delay_alu instid0(SALU_CYCLE_1) | instskip(NEXT) | instid1(SALU_CYCLE_1)
	s_sub_i32 s8, s10, s8
	s_add_i32 s8, s8, 0x3c000000
	s_delay_alu instid0(SALU_CYCLE_1) | instskip(SKIP_2) | instid1(SALU_CYCLE_1)
	s_or_b32 s8, s8, s9
	s_cmp_lg_u32 s5, 0
	s_cselect_b32 s5, s8, 0
	s_or_b32 s4, s5, s4
	s_delay_alu instid0(SALU_CYCLE_1)
	v_mov_b32_e32 v6, s4
	global_store_b64 v[2:3], v[6:7], off
.LBB135_712:
	s_mov_b32 s4, 0
.LBB135_713:
	s_delay_alu instid0(SALU_CYCLE_1)
	s_and_not1_b32 vcc_lo, exec_lo, s4
	s_cbranch_vccnz .LBB135_715
; %bb.714:
	s_lshl_b32 s4, s2, 24
	s_delay_alu instid0(SALU_CYCLE_1)
	s_and_b32 s5, s4, 0x7f000000
	s_and_b32 s4, s4, 0x80000000
	s_clz_i32_u32 s8, s5
	s_add_i32 s10, s5, 0x1000000
	s_min_u32 s8, s8, 32
	s_ashr_i32 s10, s10, 8
	v_sub_nc_u32_e64 v4, s8, 4 clamp
	s_delay_alu instid0(VALU_DEP_1) | instskip(NEXT) | instid1(VALU_DEP_1)
	v_readfirstlane_b32 s8, v4
	s_lshl_b32 s9, s5, s8
	s_lshl_b32 s8, s8, 23
	s_lshr_b32 s9, s9, 4
	s_delay_alu instid0(SALU_CYCLE_1) | instskip(SKIP_2) | instid1(SALU_CYCLE_1)
	s_sub_i32 s8, s9, s8
	s_and_b32 s9, s10, 0x7f800000
	s_add_i32 s8, s8, 0x3c000000
	s_or_b32 s8, s8, s9
	s_cmp_lg_u32 s5, 0
	s_cselect_b32 s5, s8, 0
	s_delay_alu instid0(SALU_CYCLE_1) | instskip(NEXT) | instid1(SALU_CYCLE_1)
	s_or_b32 s4, s5, s4
	v_cvt_f16_f32_e32 v4, s4
	s_delay_alu instid0(VALU_DEP_1)
	v_and_b32_e32 v4, 0xffff, v4
	global_store_b32 v[2:3], v4, off
.LBB135_715:
	s_mov_b32 s4, 0
.LBB135_716:
	s_delay_alu instid0(SALU_CYCLE_1)
	s_and_not1_b32 vcc_lo, exec_lo, s4
	s_cbranch_vccnz .LBB135_725
; %bb.717:
	v_cmp_gt_i16_e32 vcc_lo, 6, v5
	s_mov_b32 s4, -1
	s_cbranch_vccnz .LBB135_723
; %bb.718:
	v_cmp_lt_i16_e32 vcc_lo, 6, v5
	s_cbranch_vccz .LBB135_720
; %bb.719:
	s_lshl_b32 s4, s2, 24
	s_delay_alu instid0(SALU_CYCLE_1)
	s_and_b32 s5, s4, 0x7f000000
	s_and_b32 s4, s4, 0x80000000
	s_clz_i32_u32 s8, s5
	s_add_i32 s10, s5, 0x1000000
	s_min_u32 s8, s8, 32
	s_ashr_i32 s10, s10, 8
	v_sub_nc_u32_e64 v4, s8, 4 clamp
	s_delay_alu instid0(VALU_DEP_1) | instskip(NEXT) | instid1(VALU_DEP_1)
	v_readfirstlane_b32 s8, v4
	s_lshl_b32 s9, s5, s8
	s_lshl_b32 s8, s8, 23
	s_lshr_b32 s9, s9, 4
	s_delay_alu instid0(SALU_CYCLE_1) | instskip(SKIP_2) | instid1(SALU_CYCLE_1)
	s_sub_i32 s8, s9, s8
	s_and_b32 s9, s10, 0x7f800000
	s_add_i32 s8, s8, 0x3c000000
	s_or_b32 s8, s8, s9
	s_cmp_lg_u32 s5, 0
	s_cselect_b32 s5, s8, 0
	s_delay_alu instid0(SALU_CYCLE_1) | instskip(NEXT) | instid1(SALU_CYCLE_1)
	s_or_b32 s4, s5, s4
	v_cvt_f64_f32_e32 v[6:7], s4
	s_mov_b32 s4, 0
	global_store_b64 v[2:3], v[6:7], off
.LBB135_720:
	s_and_not1_b32 vcc_lo, exec_lo, s4
	s_cbranch_vccnz .LBB135_722
; %bb.721:
	s_lshl_b32 s4, s2, 24
	s_delay_alu instid0(SALU_CYCLE_1)
	s_and_b32 s5, s4, 0x7f000000
	s_and_b32 s4, s4, 0x80000000
	s_clz_i32_u32 s8, s5
	s_add_i32 s10, s5, 0x1000000
	s_min_u32 s8, s8, 32
	s_ashr_i32 s10, s10, 8
	v_sub_nc_u32_e64 v4, s8, 4 clamp
	s_delay_alu instid0(VALU_DEP_1) | instskip(NEXT) | instid1(VALU_DEP_1)
	v_readfirstlane_b32 s8, v4
	s_lshl_b32 s9, s5, s8
	s_lshl_b32 s8, s8, 23
	s_lshr_b32 s9, s9, 4
	s_delay_alu instid0(SALU_CYCLE_1) | instskip(SKIP_2) | instid1(SALU_CYCLE_1)
	s_sub_i32 s8, s9, s8
	s_and_b32 s9, s10, 0x7f800000
	s_add_i32 s8, s8, 0x3c000000
	s_or_b32 s8, s8, s9
	s_cmp_lg_u32 s5, 0
	s_cselect_b32 s5, s8, 0
	s_delay_alu instid0(SALU_CYCLE_1) | instskip(NEXT) | instid1(SALU_CYCLE_1)
	s_or_b32 s4, s5, s4
	v_mov_b32_e32 v4, s4
	global_store_b32 v[2:3], v4, off
.LBB135_722:
	s_mov_b32 s4, 0
.LBB135_723:
	s_delay_alu instid0(SALU_CYCLE_1)
	s_and_not1_b32 vcc_lo, exec_lo, s4
	s_cbranch_vccnz .LBB135_725
; %bb.724:
	s_lshl_b32 s4, s2, 24
	s_delay_alu instid0(SALU_CYCLE_1)
	s_and_b32 s5, s4, 0x7f000000
	s_and_b32 s4, s4, 0x80000000
	s_clz_i32_u32 s8, s5
	s_add_i32 s10, s5, 0x1000000
	s_min_u32 s8, s8, 32
	s_ashr_i32 s10, s10, 8
	v_sub_nc_u32_e64 v4, s8, 4 clamp
	s_delay_alu instid0(VALU_DEP_1) | instskip(NEXT) | instid1(VALU_DEP_1)
	v_readfirstlane_b32 s8, v4
	s_lshl_b32 s9, s5, s8
	s_lshl_b32 s8, s8, 23
	s_lshr_b32 s9, s9, 4
	s_delay_alu instid0(SALU_CYCLE_1) | instskip(SKIP_2) | instid1(SALU_CYCLE_1)
	s_sub_i32 s8, s9, s8
	s_and_b32 s9, s10, 0x7f800000
	s_add_i32 s8, s8, 0x3c000000
	s_or_b32 s8, s8, s9
	s_cmp_lg_u32 s5, 0
	s_cselect_b32 s5, s8, 0
	s_delay_alu instid0(SALU_CYCLE_1) | instskip(NEXT) | instid1(SALU_CYCLE_1)
	s_or_b32 s4, s5, s4
	v_cvt_f16_f32_e32 v4, s4
	global_store_b16 v[2:3], v4, off
.LBB135_725:
	s_mov_b32 s4, 0
.LBB135_726:
	s_delay_alu instid0(SALU_CYCLE_1)
	s_and_not1_b32 vcc_lo, exec_lo, s4
	s_cbranch_vccnz .LBB135_742
; %bb.727:
	v_cmp_gt_i16_e32 vcc_lo, 2, v5
	s_mov_b32 s4, -1
	s_cbranch_vccnz .LBB135_737
; %bb.728:
	v_cmp_gt_i16_e32 vcc_lo, 3, v5
	s_cbranch_vccnz .LBB135_734
; %bb.729:
	v_cmp_lt_i16_e32 vcc_lo, 3, v5
	s_cbranch_vccz .LBB135_731
; %bb.730:
	s_lshl_b32 s4, s2, 24
	s_delay_alu instid0(SALU_CYCLE_1)
	s_and_b32 s5, s4, 0x7f000000
	s_and_b32 s4, s4, 0x80000000
	s_clz_i32_u32 s8, s5
	s_add_i32 s9, s5, 0x1000000
	s_min_u32 s8, s8, 32
	s_ashr_i32 s9, s9, 8
	v_sub_nc_u32_e64 v4, s8, 4 clamp
	s_and_b32 s9, s9, 0x7f800000
	s_delay_alu instid0(VALU_DEP_1) | instskip(NEXT) | instid1(VALU_DEP_1)
	v_readfirstlane_b32 s8, v4
	s_lshl_b32 s10, s5, s8
	s_lshl_b32 s8, s8, 23
	s_lshr_b32 s10, s10, 4
	s_delay_alu instid0(SALU_CYCLE_1) | instskip(NEXT) | instid1(SALU_CYCLE_1)
	s_sub_i32 s8, s10, s8
	s_add_i32 s8, s8, 0x3c000000
	s_delay_alu instid0(SALU_CYCLE_1) | instskip(SKIP_2) | instid1(SALU_CYCLE_1)
	s_or_b32 s8, s8, s9
	s_cmp_lg_u32 s5, 0
	s_cselect_b32 s5, s8, 0
	s_or_b32 s4, s5, s4
	s_delay_alu instid0(SALU_CYCLE_1) | instskip(SKIP_1) | instid1(VALU_DEP_1)
	v_trunc_f32_e32 v4, s4
	s_mov_b32 s4, 0
	v_mul_f32_e64 v6, 0x2f800000, |v4|
	s_delay_alu instid0(VALU_DEP_1) | instskip(NEXT) | instid1(VALU_DEP_1)
	v_floor_f32_e32 v6, v6
	v_fma_f32 v7, 0xcf800000, v6, |v4|
	v_ashrrev_i32_e32 v4, 31, v4
	v_cvt_u32_f32_e32 v6, v6
	s_delay_alu instid0(VALU_DEP_3) | instskip(NEXT) | instid1(VALU_DEP_2)
	v_cvt_u32_f32_e32 v7, v7
	v_xor_b32_e32 v8, v6, v4
	s_delay_alu instid0(VALU_DEP_2) | instskip(NEXT) | instid1(VALU_DEP_1)
	v_xor_b32_e32 v7, v7, v4
	v_sub_co_u32 v6, vcc_lo, v7, v4
	s_delay_alu instid0(VALU_DEP_3)
	v_sub_co_ci_u32_e32 v7, vcc_lo, v8, v4, vcc_lo
	global_store_b64 v[2:3], v[6:7], off
.LBB135_731:
	s_and_not1_b32 vcc_lo, exec_lo, s4
	s_cbranch_vccnz .LBB135_733
; %bb.732:
	s_lshl_b32 s4, s2, 24
	s_delay_alu instid0(SALU_CYCLE_1)
	s_and_b32 s5, s4, 0x7f000000
	s_and_b32 s4, s4, 0x80000000
	s_clz_i32_u32 s8, s5
	s_add_i32 s10, s5, 0x1000000
	s_min_u32 s8, s8, 32
	s_ashr_i32 s10, s10, 8
	v_sub_nc_u32_e64 v4, s8, 4 clamp
	s_delay_alu instid0(VALU_DEP_1) | instskip(NEXT) | instid1(VALU_DEP_1)
	v_readfirstlane_b32 s8, v4
	s_lshl_b32 s9, s5, s8
	s_lshl_b32 s8, s8, 23
	s_lshr_b32 s9, s9, 4
	s_delay_alu instid0(SALU_CYCLE_1) | instskip(SKIP_2) | instid1(SALU_CYCLE_1)
	s_sub_i32 s8, s9, s8
	s_and_b32 s9, s10, 0x7f800000
	s_add_i32 s8, s8, 0x3c000000
	s_or_b32 s8, s8, s9
	s_cmp_lg_u32 s5, 0
	s_cselect_b32 s5, s8, 0
	s_delay_alu instid0(SALU_CYCLE_1) | instskip(NEXT) | instid1(SALU_CYCLE_1)
	s_or_b32 s4, s5, s4
	v_cvt_i32_f32_e32 v4, s4
	global_store_b32 v[2:3], v4, off
.LBB135_733:
	s_mov_b32 s4, 0
.LBB135_734:
	s_delay_alu instid0(SALU_CYCLE_1)
	s_and_not1_b32 vcc_lo, exec_lo, s4
	s_cbranch_vccnz .LBB135_736
; %bb.735:
	s_lshl_b32 s4, s2, 24
	s_delay_alu instid0(SALU_CYCLE_1)
	s_and_b32 s5, s4, 0x7f000000
	s_and_b32 s4, s4, 0x80000000
	s_clz_i32_u32 s8, s5
	s_add_i32 s10, s5, 0x1000000
	s_min_u32 s8, s8, 32
	s_ashr_i32 s10, s10, 8
	v_sub_nc_u32_e64 v4, s8, 4 clamp
	s_delay_alu instid0(VALU_DEP_1) | instskip(NEXT) | instid1(VALU_DEP_1)
	v_readfirstlane_b32 s8, v4
	s_lshl_b32 s9, s5, s8
	s_lshl_b32 s8, s8, 23
	s_lshr_b32 s9, s9, 4
	s_delay_alu instid0(SALU_CYCLE_1) | instskip(SKIP_2) | instid1(SALU_CYCLE_1)
	s_sub_i32 s8, s9, s8
	s_and_b32 s9, s10, 0x7f800000
	s_add_i32 s8, s8, 0x3c000000
	s_or_b32 s8, s8, s9
	s_cmp_lg_u32 s5, 0
	s_cselect_b32 s5, s8, 0
	s_delay_alu instid0(SALU_CYCLE_1) | instskip(NEXT) | instid1(SALU_CYCLE_1)
	s_or_b32 s4, s5, s4
	v_cvt_i32_f32_e32 v4, s4
	global_store_b16 v[2:3], v4, off
.LBB135_736:
	s_mov_b32 s4, 0
.LBB135_737:
	s_delay_alu instid0(SALU_CYCLE_1)
	s_and_not1_b32 vcc_lo, exec_lo, s4
	s_cbranch_vccnz .LBB135_742
; %bb.738:
	v_cmp_lt_i16_e32 vcc_lo, 0, v5
	s_mov_b32 s4, -1
	s_cbranch_vccz .LBB135_740
; %bb.739:
	s_lshl_b32 s4, s2, 24
	s_delay_alu instid0(SALU_CYCLE_1)
	s_and_b32 s5, s4, 0x7f000000
	s_and_b32 s4, s4, 0x80000000
	s_clz_i32_u32 s8, s5
	s_add_i32 s10, s5, 0x1000000
	s_min_u32 s8, s8, 32
	s_ashr_i32 s10, s10, 8
	v_sub_nc_u32_e64 v4, s8, 4 clamp
	s_delay_alu instid0(VALU_DEP_1) | instskip(NEXT) | instid1(VALU_DEP_1)
	v_readfirstlane_b32 s8, v4
	s_lshl_b32 s9, s5, s8
	s_lshl_b32 s8, s8, 23
	s_lshr_b32 s9, s9, 4
	s_delay_alu instid0(SALU_CYCLE_1) | instskip(SKIP_2) | instid1(SALU_CYCLE_1)
	s_sub_i32 s8, s9, s8
	s_and_b32 s9, s10, 0x7f800000
	s_add_i32 s8, s8, 0x3c000000
	s_or_b32 s8, s8, s9
	s_cmp_lg_u32 s5, 0
	s_cselect_b32 s5, s8, 0
	s_delay_alu instid0(SALU_CYCLE_1) | instskip(NEXT) | instid1(SALU_CYCLE_1)
	s_or_b32 s4, s5, s4
	v_cvt_i32_f32_e32 v4, s4
	s_mov_b32 s4, 0
	global_store_b8 v[2:3], v4, off
.LBB135_740:
	s_and_not1_b32 vcc_lo, exec_lo, s4
	s_cbranch_vccnz .LBB135_742
; %bb.741:
	s_lshl_b32 s4, s2, 24
	s_delay_alu instid0(SALU_CYCLE_1)
	s_and_b32 s5, s4, 0x7f000000
	s_and_b32 s4, s4, 0x80000000
	s_clz_i32_u32 s8, s5
	s_add_i32 s9, s5, 0x1000000
	s_min_u32 s8, s8, 32
	s_ashr_i32 s9, s9, 8
	v_sub_nc_u32_e64 v4, s8, 4 clamp
	s_and_b32 s9, s9, 0x7f800000
	s_delay_alu instid0(VALU_DEP_1) | instskip(NEXT) | instid1(VALU_DEP_1)
	v_readfirstlane_b32 s8, v4
	s_lshl_b32 s10, s5, s8
	s_lshl_b32 s8, s8, 23
	s_lshr_b32 s10, s10, 4
	s_delay_alu instid0(SALU_CYCLE_1) | instskip(NEXT) | instid1(SALU_CYCLE_1)
	s_sub_i32 s8, s10, s8
	s_add_i32 s8, s8, 0x3c000000
	s_delay_alu instid0(SALU_CYCLE_1) | instskip(SKIP_2) | instid1(SALU_CYCLE_1)
	s_or_b32 s8, s8, s9
	s_cmp_lg_u32 s5, 0
	s_cselect_b32 s5, s8, 0
	s_or_b32 s4, s5, s4
	s_delay_alu instid0(SALU_CYCLE_1) | instskip(NEXT) | instid1(VALU_DEP_1)
	v_trunc_f32_e32 v4, s4
	v_mul_f32_e64 v6, 0x2f800000, |v4|
	s_delay_alu instid0(VALU_DEP_1) | instskip(NEXT) | instid1(VALU_DEP_1)
	v_floor_f32_e32 v6, v6
	v_fma_f32 v6, 0xcf800000, v6, |v4|
	v_ashrrev_i32_e32 v4, 31, v4
	s_delay_alu instid0(VALU_DEP_2) | instskip(NEXT) | instid1(VALU_DEP_1)
	v_cvt_u32_f32_e32 v6, v6
	v_xor_b32_e32 v6, v6, v4
	s_delay_alu instid0(VALU_DEP_1)
	v_sub_nc_u32_e32 v4, v6, v4
	global_store_b8 v[2:3], v4, off
.LBB135_742:
	s_mov_b32 s8, -1
.LBB135_743:
	s_delay_alu instid0(SALU_CYCLE_1)
	s_and_not1_b32 vcc_lo, exec_lo, s8
	s_cbranch_vccnz .LBB135_893
; %bb.744:
	v_cmp_gt_i16_e32 vcc_lo, 11, v5
	v_add_co_u32 v1, s4, s0, v1
	s_delay_alu instid0(VALU_DEP_1)
	v_add_co_ci_u32_e64 v2, null, s1, 0, s4
	s_mov_b32 s8, 0
	s_mov_b32 s4, -1
	s_cbranch_vccnz .LBB135_824
; %bb.745:
	v_cmp_lt_i16_e32 vcc_lo, 25, v5
	s_mov_b32 s9, -1
	s_mov_b32 s5, 0
	s_mov_b32 s4, 0
	s_cbranch_vccz .LBB135_784
; %bb.746:
	v_cmp_lt_i16_e32 vcc_lo, 28, v5
	s_cbranch_vccz .LBB135_761
; %bb.747:
	v_cmp_lt_i16_e32 vcc_lo, 43, v5
	;; [unrolled: 3-line block ×3, first 2 shown]
	s_cbranch_vccz .LBB135_751
; %bb.749:
	v_cmp_eq_u16_e32 vcc_lo, 46, v5
	s_mov_b32 s4, -1
	s_mov_b32 s9, 0
	s_cbranch_vccz .LBB135_751
; %bb.750:
	s_lshl_b32 s4, s2, 24
	s_delay_alu instid0(SALU_CYCLE_1)
	s_and_b32 s8, s4, 0x7f000000
	s_and_b32 s4, s4, 0x80000000
	s_clz_i32_u32 s10, s8
	s_add_i32 s11, s8, 0x1000000
	s_min_u32 s10, s10, 32
	s_ashr_i32 s11, s11, 8
	v_sub_nc_u32_e64 v3, s10, 4 clamp
	s_and_b32 s11, s11, 0x7f800000
	s_delay_alu instid0(VALU_DEP_1) | instskip(NEXT) | instid1(VALU_DEP_1)
	v_readfirstlane_b32 s10, v3
	s_lshl_b32 s12, s8, s10
	s_lshl_b32 s10, s10, 23
	s_lshr_b32 s12, s12, 4
	s_delay_alu instid0(SALU_CYCLE_1) | instskip(NEXT) | instid1(SALU_CYCLE_1)
	s_sub_i32 s10, s12, s10
	s_add_i32 s10, s10, 0x3c000000
	s_delay_alu instid0(SALU_CYCLE_1) | instskip(SKIP_2) | instid1(SALU_CYCLE_1)
	s_or_b32 s10, s10, s11
	s_cmp_lg_u32 s8, 0
	s_cselect_b32 s8, s10, 0
	s_or_b32 s4, s8, s4
	s_bfe_u32 s8, s8, 0x10010
	s_delay_alu instid0(SALU_CYCLE_1) | instskip(SKIP_2) | instid1(SALU_CYCLE_1)
	s_add_i32 s8, s4, s8
	v_cmp_o_f32_e64 s4, s4, s4
	s_addk_i32 s8, 0x7fff
	s_lshr_b32 s8, s8, 16
	s_delay_alu instid0(VALU_DEP_1)
	s_and_b32 s4, s4, exec_lo
	s_cselect_b32 s4, s8, 0x7fc0
	s_mov_b32 s8, -1
	v_mov_b32_e32 v3, s4
	s_mov_b32 s4, 0
	global_store_b32 v[1:2], v3, off
.LBB135_751:
	s_and_b32 vcc_lo, exec_lo, s9
	s_cbranch_vccz .LBB135_756
; %bb.752:
	v_cmp_eq_u16_e32 vcc_lo, 44, v5
	s_mov_b32 s4, -1
	s_cbranch_vccz .LBB135_756
; %bb.753:
	s_lshl_b32 s4, s2, 24
	s_delay_alu instid0(SALU_CYCLE_1) | instskip(NEXT) | instid1(SALU_CYCLE_1)
	s_and_b32 s4, s4, 0x7f000000
	s_clz_i32_u32 s8, s4
	s_add_i32 s9, s4, 0x1000000
	s_min_u32 s8, s8, 32
	s_ashr_i32 s9, s9, 8
	v_sub_nc_u32_e64 v3, s8, 4 clamp
	s_and_b32 s9, s9, 0x7f800000
	s_delay_alu instid0(VALU_DEP_1) | instskip(SKIP_1) | instid1(VALU_DEP_2)
	v_readfirstlane_b32 s8, v3
	v_mov_b32_e32 v3, 0xff
	s_lshl_b32 s10, s4, s8
	s_lshl_b32 s8, s8, 23
	s_lshr_b32 s10, s10, 4
	s_delay_alu instid0(SALU_CYCLE_1) | instskip(NEXT) | instid1(SALU_CYCLE_1)
	s_sub_i32 s8, s10, s8
	s_add_i32 s8, s8, 0x3c000000
	s_delay_alu instid0(SALU_CYCLE_1) | instskip(SKIP_3) | instid1(SALU_CYCLE_1)
	s_or_b32 s8, s8, s9
	s_cmp_lg_u32 s4, 0
	s_mov_b32 s4, 0
	s_cselect_b32 s9, s8, 0
	s_lshr_b32 s8, s9, 23
	s_delay_alu instid0(SALU_CYCLE_1)
	s_cmpk_eq_i32 s8, 0xff
	s_cbranch_scc1 .LBB135_755
; %bb.754:
	s_bitcmp1_b32 s9, 22
	s_cselect_b32 s10, -1, 0
	s_and_b32 s9, s9, 0x3fffff
	s_delay_alu instid0(SALU_CYCLE_1) | instskip(NEXT) | instid1(SALU_CYCLE_1)
	s_or_b32 s9, s8, s9
	s_cmp_lg_u32 s9, 0
	s_cselect_b32 s9, -1, 0
	s_delay_alu instid0(SALU_CYCLE_1) | instskip(NEXT) | instid1(SALU_CYCLE_1)
	s_and_b32 s9, s10, s9
	v_cndmask_b32_e64 v3, 0, 1, s9
	s_delay_alu instid0(VALU_DEP_1)
	v_add_nc_u32_e32 v3, s8, v3
.LBB135_755:
	s_mov_b32 s8, -1
	global_store_b8 v[1:2], v3, off
.LBB135_756:
	s_mov_b32 s9, 0
.LBB135_757:
	s_delay_alu instid0(SALU_CYCLE_1)
	s_and_b32 vcc_lo, exec_lo, s9
	s_cbranch_vccz .LBB135_760
; %bb.758:
	v_cmp_eq_u16_e32 vcc_lo, 29, v5
	s_mov_b32 s4, -1
	s_cbranch_vccz .LBB135_760
; %bb.759:
	s_lshl_b32 s4, s2, 24
	s_delay_alu instid0(SALU_CYCLE_1)
	s_and_b32 s8, s4, 0x7f000000
	s_and_b32 s4, s4, 0x80000000
	s_clz_i32_u32 s9, s8
	s_add_i32 s10, s8, 0x1000000
	s_min_u32 s9, s9, 32
	s_ashr_i32 s10, s10, 8
	v_sub_nc_u32_e64 v3, s9, 4 clamp
	s_and_b32 s10, s10, 0x7f800000
	s_delay_alu instid0(VALU_DEP_1) | instskip(NEXT) | instid1(VALU_DEP_1)
	v_readfirstlane_b32 s9, v3
	s_lshl_b32 s11, s8, s9
	s_lshl_b32 s9, s9, 23
	s_lshr_b32 s11, s11, 4
	s_delay_alu instid0(SALU_CYCLE_1) | instskip(NEXT) | instid1(SALU_CYCLE_1)
	s_sub_i32 s9, s11, s9
	s_add_i32 s9, s9, 0x3c000000
	s_delay_alu instid0(SALU_CYCLE_1) | instskip(SKIP_2) | instid1(SALU_CYCLE_1)
	s_or_b32 s9, s9, s10
	s_cmp_lg_u32 s8, 0
	s_cselect_b32 s8, s9, 0
	s_or_b32 s4, s8, s4
	s_mov_b32 s8, -1
	v_trunc_f32_e32 v3, s4
	s_mov_b32 s4, 0
	s_delay_alu instid0(VALU_DEP_1) | instskip(NEXT) | instid1(VALU_DEP_1)
	v_mul_f32_e32 v4, 0x2f800000, v3
	v_floor_f32_e32 v4, v4
	s_delay_alu instid0(VALU_DEP_1) | instskip(SKIP_1) | instid1(VALU_DEP_2)
	v_fmamk_f32 v3, v4, 0xcf800000, v3
	v_cvt_u32_f32_e32 v4, v4
	v_cvt_u32_f32_e32 v3, v3
	global_store_b64 v[1:2], v[3:4], off
.LBB135_760:
	s_mov_b32 s9, 0
.LBB135_761:
	s_delay_alu instid0(SALU_CYCLE_1)
	s_and_b32 vcc_lo, exec_lo, s9
	s_cbranch_vccz .LBB135_783
; %bb.762:
	v_cmp_gt_i16_e32 vcc_lo, 27, v5
	s_mov_b32 s8, -1
	s_cbranch_vccnz .LBB135_768
; %bb.763:
	v_cmp_lt_i16_e32 vcc_lo, 27, v5
	s_cbranch_vccz .LBB135_765
; %bb.764:
	s_lshl_b32 s8, s2, 24
	s_delay_alu instid0(SALU_CYCLE_1)
	s_and_b32 s9, s8, 0x7f000000
	s_and_b32 s8, s8, 0x80000000
	s_clz_i32_u32 s10, s9
	s_add_i32 s12, s9, 0x1000000
	s_min_u32 s10, s10, 32
	s_ashr_i32 s12, s12, 8
	v_sub_nc_u32_e64 v3, s10, 4 clamp
	s_delay_alu instid0(VALU_DEP_1) | instskip(NEXT) | instid1(VALU_DEP_1)
	v_readfirstlane_b32 s10, v3
	s_lshl_b32 s11, s9, s10
	s_lshl_b32 s10, s10, 23
	s_lshr_b32 s11, s11, 4
	s_delay_alu instid0(SALU_CYCLE_1) | instskip(SKIP_2) | instid1(SALU_CYCLE_1)
	s_sub_i32 s10, s11, s10
	s_and_b32 s11, s12, 0x7f800000
	s_add_i32 s10, s10, 0x3c000000
	s_or_b32 s10, s10, s11
	s_cmp_lg_u32 s9, 0
	s_cselect_b32 s9, s10, 0
	s_delay_alu instid0(SALU_CYCLE_1) | instskip(NEXT) | instid1(SALU_CYCLE_1)
	s_or_b32 s8, s9, s8
	v_cvt_u32_f32_e32 v3, s8
	s_mov_b32 s8, 0
	global_store_b32 v[1:2], v3, off
.LBB135_765:
	s_and_not1_b32 vcc_lo, exec_lo, s8
	s_cbranch_vccnz .LBB135_767
; %bb.766:
	s_lshl_b32 s8, s2, 24
	s_delay_alu instid0(SALU_CYCLE_1)
	s_and_b32 s9, s8, 0x7f000000
	s_and_b32 s8, s8, 0x80000000
	s_clz_i32_u32 s10, s9
	s_add_i32 s12, s9, 0x1000000
	s_min_u32 s10, s10, 32
	s_ashr_i32 s12, s12, 8
	v_sub_nc_u32_e64 v3, s10, 4 clamp
	s_delay_alu instid0(VALU_DEP_1) | instskip(NEXT) | instid1(VALU_DEP_1)
	v_readfirstlane_b32 s10, v3
	s_lshl_b32 s11, s9, s10
	s_lshl_b32 s10, s10, 23
	s_lshr_b32 s11, s11, 4
	s_delay_alu instid0(SALU_CYCLE_1) | instskip(SKIP_2) | instid1(SALU_CYCLE_1)
	s_sub_i32 s10, s11, s10
	s_and_b32 s11, s12, 0x7f800000
	s_add_i32 s10, s10, 0x3c000000
	s_or_b32 s10, s10, s11
	s_cmp_lg_u32 s9, 0
	s_cselect_b32 s9, s10, 0
	s_delay_alu instid0(SALU_CYCLE_1) | instskip(NEXT) | instid1(SALU_CYCLE_1)
	s_or_b32 s8, s9, s8
	v_cvt_u32_f32_e32 v3, s8
	global_store_b16 v[1:2], v3, off
.LBB135_767:
	s_mov_b32 s8, 0
.LBB135_768:
	s_delay_alu instid0(SALU_CYCLE_1)
	s_and_not1_b32 vcc_lo, exec_lo, s8
	s_cbranch_vccnz .LBB135_782
; %bb.769:
	s_lshl_b32 s8, s2, 24
	v_mov_b32_e32 v4, 0x80
	s_and_b32 s9, s8, 0x7f000000
	s_and_b32 s8, s8, 0x80000000
	s_clz_i32_u32 s10, s9
	s_add_i32 s11, s9, 0x1000000
	s_min_u32 s10, s10, 32
	s_ashr_i32 s11, s11, 8
	v_sub_nc_u32_e64 v3, s10, 4 clamp
	s_and_b32 s11, s11, 0x7f800000
	s_delay_alu instid0(VALU_DEP_1) | instskip(NEXT) | instid1(VALU_DEP_1)
	v_readfirstlane_b32 s10, v3
	s_lshl_b32 s12, s9, s10
	s_lshl_b32 s10, s10, 23
	s_lshr_b32 s12, s12, 4
	s_delay_alu instid0(SALU_CYCLE_1) | instskip(NEXT) | instid1(SALU_CYCLE_1)
	s_sub_i32 s10, s12, s10
	s_add_i32 s10, s10, 0x3c000000
	s_delay_alu instid0(SALU_CYCLE_1) | instskip(SKIP_3) | instid1(SALU_CYCLE_1)
	s_or_b32 s10, s10, s11
	s_cmp_lg_u32 s9, 0
	s_mov_b32 s9, 0
	s_cselect_b32 s10, s10, 0
	s_or_b32 s8, s10, s8
	s_delay_alu instid0(SALU_CYCLE_1) | instskip(NEXT) | instid1(SALU_CYCLE_1)
	s_and_b32 s11, s8, 0x7fffffff
	s_cmp_gt_u32 s11, 0x437fffff
	s_cbranch_scc1 .LBB135_781
; %bb.770:
	s_cmp_gt_u32 s11, 0x3bffffff
	s_cbranch_scc0 .LBB135_776
; %bb.771:
	s_bfe_u32 s9, s10, 0x10014
	s_mov_b32 s10, 0
	s_add_i32 s9, s8, s9
	s_delay_alu instid0(SALU_CYCLE_1) | instskip(NEXT) | instid1(SALU_CYCLE_1)
	s_add_i32 s9, s9, 0x487ffff
	s_lshr_b32 s11, s9, 20
	s_mov_b32 s9, -1
	s_branch .LBB135_777
.LBB135_772:
	s_cbranch_execnz .LBB135_774
; %bb.773:
	s_or_b32 s3, s3, exec_lo
	s_cbranch_execz .LBB135_702
	s_branch .LBB135_703
.LBB135_774:
	s_trap 2
	s_sendmsg_rtn_b32 s0, sendmsg(MSG_RTN_GET_DOORBELL)
	s_mov_b32 ttmp2, m0
	s_waitcnt lgkmcnt(0)
	s_and_b32 s0, s0, 0x3ff
	s_delay_alu instid0(SALU_CYCLE_1) | instskip(NEXT) | instid1(SALU_CYCLE_1)
	s_bitset1_b32 s0, 10
	s_mov_b32 m0, s0
	s_sendmsg sendmsg(MSG_INTERRUPT)
	s_mov_b32 m0, ttmp2
.LBB135_775:                            ; =>This Inner Loop Header: Depth=1
	s_sethalt 5
	s_branch .LBB135_775
.LBB135_776:
	s_mov_b32 s10, -1
                                        ; implicit-def: $sgpr11
.LBB135_777:
	v_mov_b32_e32 v3, s11
	s_and_not1_b32 vcc_lo, exec_lo, s10
                                        ; implicit-def: $sgpr10
	s_cbranch_vccnz .LBB135_779
; %bb.778:
	v_add_f32_e64 v3, 0x46000000, |s8|
	s_mov_b32 s10, 0
	s_delay_alu instid0(VALU_DEP_1) | instskip(NEXT) | instid1(VALU_DEP_1)
	v_and_b32_e32 v3, 0xff, v3
	v_cmp_ne_u32_e64 s9, 0, v3
.LBB135_779:
	v_mov_b32_e32 v4, s10
	s_delay_alu instid0(VALU_DEP_2)
	s_and_not1_b32 vcc_lo, exec_lo, s9
	s_cbranch_vccnz .LBB135_781
; %bb.780:
	s_lshr_b32 s8, s8, 24
	s_delay_alu instid0(SALU_CYCLE_1) | instskip(NEXT) | instid1(SALU_CYCLE_1)
	s_and_b32 s8, s8, 0x80
	v_or_b32_e32 v4, s8, v3
.LBB135_781:
	global_store_b8 v[1:2], v4, off
.LBB135_782:
	s_mov_b32 s8, -1
.LBB135_783:
	s_mov_b32 s9, 0
.LBB135_784:
	s_delay_alu instid0(SALU_CYCLE_1)
	s_and_b32 vcc_lo, exec_lo, s9
	s_cbranch_vccz .LBB135_820
; %bb.785:
	v_cmp_lt_i16_e32 vcc_lo, 22, v5
	s_mov_b32 s5, -1
	s_cbranch_vccz .LBB135_813
; %bb.786:
	v_cmp_gt_i16_e32 vcc_lo, 24, v5
	s_cbranch_vccnz .LBB135_800
; %bb.787:
	v_cmp_lt_i16_e32 vcc_lo, 24, v5
	s_cbranch_vccz .LBB135_797
; %bb.788:
	s_lshl_b32 s5, s2, 24
	v_mov_b32_e32 v4, 0x80
	s_and_b32 s8, s5, 0x7f000000
	s_and_b32 s5, s5, 0x80000000
	s_clz_i32_u32 s9, s8
	s_add_i32 s10, s8, 0x1000000
	s_min_u32 s9, s9, 32
	s_ashr_i32 s10, s10, 8
	v_sub_nc_u32_e64 v3, s9, 4 clamp
	s_and_b32 s10, s10, 0x7f800000
	s_delay_alu instid0(VALU_DEP_1) | instskip(NEXT) | instid1(VALU_DEP_1)
	v_readfirstlane_b32 s9, v3
	s_lshl_b32 s11, s8, s9
	s_lshl_b32 s9, s9, 23
	s_lshr_b32 s11, s11, 4
	s_delay_alu instid0(SALU_CYCLE_1) | instskip(NEXT) | instid1(SALU_CYCLE_1)
	s_sub_i32 s9, s11, s9
	s_add_i32 s9, s9, 0x3c000000
	s_delay_alu instid0(SALU_CYCLE_1) | instskip(SKIP_2) | instid1(SALU_CYCLE_1)
	s_or_b32 s9, s9, s10
	s_cmp_lg_u32 s8, 0
	s_cselect_b32 s9, s9, 0
	s_or_b32 s8, s9, s5
	s_mov_b32 s5, 0
	s_and_b32 s10, s8, 0x7fffffff
	s_delay_alu instid0(SALU_CYCLE_1)
	s_cmp_gt_u32 s10, 0x477fffff
	s_cbranch_scc1 .LBB135_796
; %bb.789:
	s_cmp_gt_u32 s10, 0x37ffffff
	s_cbranch_scc0 .LBB135_791
; %bb.790:
	s_bfe_u32 s9, s9, 0x10015
	s_mov_b32 s10, 0
	s_add_i32 s9, s8, s9
	s_delay_alu instid0(SALU_CYCLE_1) | instskip(NEXT) | instid1(SALU_CYCLE_1)
	s_add_i32 s9, s9, 0x88fffff
	s_lshr_b32 s11, s9, 21
	s_mov_b32 s9, -1
	s_branch .LBB135_792
.LBB135_791:
	s_mov_b32 s10, -1
	s_mov_b32 s9, 0
                                        ; implicit-def: $sgpr11
.LBB135_792:
	v_mov_b32_e32 v3, s11
	s_and_not1_b32 vcc_lo, exec_lo, s10
                                        ; implicit-def: $sgpr10
	s_cbranch_vccnz .LBB135_794
; %bb.793:
	v_add_f32_e64 v3, 0x42800000, |s8|
	s_mov_b32 s10, 0
	s_delay_alu instid0(VALU_DEP_1) | instskip(NEXT) | instid1(VALU_DEP_1)
	v_and_b32_e32 v3, 0xff, v3
	v_cmp_ne_u32_e64 s9, 0, v3
.LBB135_794:
	v_mov_b32_e32 v4, s10
	s_delay_alu instid0(VALU_DEP_2)
	s_and_not1_b32 vcc_lo, exec_lo, s9
	s_cbranch_vccnz .LBB135_796
; %bb.795:
	s_lshr_b32 s8, s8, 24
	s_delay_alu instid0(SALU_CYCLE_1) | instskip(NEXT) | instid1(SALU_CYCLE_1)
	s_and_b32 s8, s8, 0x80
	v_or_b32_e32 v4, s8, v3
.LBB135_796:
	global_store_b8 v[1:2], v4, off
.LBB135_797:
	s_and_b32 vcc_lo, exec_lo, s5
	s_cbranch_vccz .LBB135_799
; %bb.798:
	v_mov_b32_e32 v3, s2
	global_store_b8 v[1:2], v3, off
.LBB135_799:
	s_mov_b32 s5, 0
.LBB135_800:
	s_delay_alu instid0(SALU_CYCLE_1)
	s_and_not1_b32 vcc_lo, exec_lo, s5
	s_cbranch_vccnz .LBB135_812
; %bb.801:
	s_lshl_b32 s5, s2, 24
	s_delay_alu instid0(SALU_CYCLE_1)
	s_and_b32 s8, s5, 0x7f000000
	s_and_b32 s5, s5, 0x80000000
	s_clz_i32_u32 s9, s8
	s_add_i32 s11, s8, 0x1000000
	s_min_u32 s9, s9, 32
	s_ashr_i32 s11, s11, 8
	v_sub_nc_u32_e64 v3, s9, 4 clamp
	s_delay_alu instid0(VALU_DEP_1) | instskip(NEXT) | instid1(VALU_DEP_1)
	v_readfirstlane_b32 s9, v3
	s_lshl_b32 s10, s8, s9
	s_lshl_b32 s9, s9, 23
	s_lshr_b32 s10, s10, 4
	s_delay_alu instid0(SALU_CYCLE_1) | instskip(SKIP_2) | instid1(SALU_CYCLE_1)
	s_sub_i32 s9, s10, s9
	s_and_b32 s10, s11, 0x7f800000
	s_add_i32 s9, s9, 0x3c000000
	s_or_b32 s9, s9, s10
	s_cmp_lg_u32 s8, 0
	s_cselect_b32 s9, s9, 0
	s_delay_alu instid0(SALU_CYCLE_1) | instskip(NEXT) | instid1(SALU_CYCLE_1)
	s_or_b32 s5, s9, s5
	s_and_b32 s8, s5, 0x7fffffff
	s_delay_alu instid0(SALU_CYCLE_1)
	s_cmp_lt_u32 s8, 0x47800000
	s_cbranch_scc0 .LBB135_804
; %bb.802:
	s_cmp_gt_u32 s8, 0x387fffff
	s_cbranch_scc0 .LBB135_805
; %bb.803:
	s_bfe_u32 s9, s9, 0x10015
	s_delay_alu instid0(SALU_CYCLE_1) | instskip(NEXT) | instid1(SALU_CYCLE_1)
	s_add_i32 s9, s5, s9
	s_add_i32 s9, s9, 0x80fffff
	s_delay_alu instid0(SALU_CYCLE_1)
	s_lshr_b32 s10, s9, 21
	s_mov_b32 s9, 0
	s_branch .LBB135_806
.LBB135_804:
	s_mov_b32 s9, -1
                                        ; implicit-def: $vgpr3
	s_branch .LBB135_809
.LBB135_805:
	s_mov_b32 s9, -1
                                        ; implicit-def: $sgpr10
.LBB135_806:
	v_mov_b32_e32 v3, s10
	s_and_not1_b32 vcc_lo, exec_lo, s9
	s_cbranch_vccnz .LBB135_808
; %bb.807:
	v_add_f32_e64 v3, 0x43000000, |s5|
.LBB135_808:
	s_mov_b32 s9, 0
.LBB135_809:
	s_delay_alu instid0(SALU_CYCLE_1)
	s_and_not1_b32 vcc_lo, exec_lo, s9
	s_cbranch_vccnz .LBB135_811
; %bb.810:
	s_cmp_gt_u32 s8, 0x7f800000
	s_movk_i32 s8, 0x7f
	s_delay_alu instid0(SALU_CYCLE_1) | instskip(NEXT) | instid1(SALU_CYCLE_1)
	s_cselect_b32 s8, s8, 0x7c
	v_mov_b32_e32 v3, s8
.LBB135_811:
	s_lshr_b32 s5, s5, 24
	s_delay_alu instid0(SALU_CYCLE_1)
	s_and_b32 s5, s5, 0x80
	s_delay_alu instid0(VALU_DEP_1) | instid1(SALU_CYCLE_1)
	v_or_b32_e32 v3, s5, v3
	global_store_b8 v[1:2], v3, off
.LBB135_812:
	s_mov_b32 s5, 0
	s_mov_b32 s8, -1
.LBB135_813:
	s_and_not1_b32 vcc_lo, exec_lo, s5
	s_mov_b32 s5, 0
	s_cbranch_vccnz .LBB135_820
; %bb.814:
	v_cmp_lt_i16_e32 vcc_lo, 14, v5
	s_mov_b32 s5, -1
	s_cbranch_vccz .LBB135_818
; %bb.815:
	v_cmp_eq_u16_e32 vcc_lo, 15, v5
	s_mov_b32 s4, -1
	s_cbranch_vccz .LBB135_817
; %bb.816:
	s_lshl_b32 s4, s2, 24
	s_delay_alu instid0(SALU_CYCLE_1)
	s_and_b32 s5, s4, 0x7f000000
	s_and_b32 s4, s4, 0x80000000
	s_clz_i32_u32 s8, s5
	s_add_i32 s9, s5, 0x1000000
	s_min_u32 s8, s8, 32
	s_ashr_i32 s9, s9, 8
	v_sub_nc_u32_e64 v3, s8, 4 clamp
	s_and_b32 s9, s9, 0x7f800000
	s_delay_alu instid0(VALU_DEP_1) | instskip(NEXT) | instid1(VALU_DEP_1)
	v_readfirstlane_b32 s8, v3
	s_lshl_b32 s10, s5, s8
	s_lshl_b32 s8, s8, 23
	s_lshr_b32 s10, s10, 4
	s_delay_alu instid0(SALU_CYCLE_1) | instskip(NEXT) | instid1(SALU_CYCLE_1)
	s_sub_i32 s8, s10, s8
	s_add_i32 s8, s8, 0x3c000000
	s_delay_alu instid0(SALU_CYCLE_1)
	s_or_b32 s8, s8, s9
	s_cmp_lg_u32 s5, 0
	s_cselect_b32 s5, s8, 0
	s_mov_b32 s8, -1
	s_or_b32 s4, s5, s4
	s_bfe_u32 s5, s5, 0x10010
	s_delay_alu instid0(SALU_CYCLE_1) | instskip(SKIP_2) | instid1(SALU_CYCLE_1)
	s_add_i32 s5, s4, s5
	v_cmp_o_f32_e64 s4, s4, s4
	s_addk_i32 s5, 0x7fff
	s_lshr_b32 s5, s5, 16
	s_delay_alu instid0(VALU_DEP_1) | instskip(SKIP_1) | instid1(SALU_CYCLE_1)
	s_and_b32 s4, s4, exec_lo
	s_cselect_b32 s4, s5, 0x7fc0
	v_mov_b32_e32 v3, s4
	s_mov_b32 s4, 0
	global_store_b16 v[1:2], v3, off
.LBB135_817:
	s_mov_b32 s5, 0
.LBB135_818:
	s_delay_alu instid0(SALU_CYCLE_1)
	s_and_b32 vcc_lo, exec_lo, s5
	s_mov_b32 s5, 0
	s_cbranch_vccz .LBB135_820
; %bb.819:
	v_cmp_ne_u16_e64 s4, 11, v5
	s_mov_b32 s5, -1
.LBB135_820:
	s_delay_alu instid0(VALU_DEP_1)
	s_and_b32 vcc_lo, exec_lo, s4
	s_cbranch_vccnz .LBB135_938
; %bb.821:
	s_and_not1_b32 vcc_lo, exec_lo, s5
	s_cbranch_vccnz .LBB135_823
.LBB135_822:
	s_lshl_b32 s4, s2, 24
	s_delay_alu instid0(SALU_CYCLE_1) | instskip(NEXT) | instid1(SALU_CYCLE_1)
	s_and_b32 s4, s4, 0x7f000000
	s_clz_i32_u32 s5, s4
	s_add_i32 s8, s4, 0x1000000
	s_min_u32 s5, s5, 32
	s_ashr_i32 s8, s8, 8
	v_sub_nc_u32_e64 v3, s5, 4 clamp
	s_and_b32 s8, s8, 0x7f800000
	s_delay_alu instid0(VALU_DEP_1) | instskip(NEXT) | instid1(VALU_DEP_1)
	v_readfirstlane_b32 s5, v3
	s_lshl_b32 s9, s4, s5
	s_lshl_b32 s5, s5, 23
	s_lshr_b32 s9, s9, 4
	s_delay_alu instid0(SALU_CYCLE_1) | instskip(NEXT) | instid1(SALU_CYCLE_1)
	s_sub_i32 s5, s9, s5
	s_add_i32 s5, s5, 0x3c000000
	s_cmp_lg_u32 s4, 0
	s_cselect_b32 s4, -1, 0
	s_and_b32 s5, s5, 0x7ff00000
	s_delay_alu instid0(SALU_CYCLE_1) | instskip(SKIP_3) | instid1(SALU_CYCLE_1)
	s_or_b32 s5, s5, s8
	s_mov_b32 s8, -1
	s_cmp_lg_u32 s5, 0
	s_cselect_b32 s5, -1, 0
	s_and_b32 s4, s4, s5
	s_delay_alu instid0(SALU_CYCLE_1)
	v_cndmask_b32_e64 v3, 0, 1, s4
	global_store_b8 v[1:2], v3, off
.LBB135_823:
	s_mov_b32 s4, 0
.LBB135_824:
	s_delay_alu instid0(SALU_CYCLE_1)
	s_and_b32 vcc_lo, exec_lo, s4
	s_cbranch_vccz .LBB135_863
; %bb.825:
	v_cmp_gt_i16_e32 vcc_lo, 5, v5
	s_mov_b32 s4, -1
	s_cbranch_vccnz .LBB135_846
; %bb.826:
	v_cmp_gt_i16_e32 vcc_lo, 8, v5
	s_cbranch_vccnz .LBB135_836
; %bb.827:
	v_cmp_gt_i16_e32 vcc_lo, 9, v5
	s_cbranch_vccnz .LBB135_833
; %bb.828:
	v_cmp_lt_i16_e32 vcc_lo, 9, v5
	s_cbranch_vccz .LBB135_830
; %bb.829:
	s_lshl_b32 s4, s2, 24
	v_mov_b32_e32 v8, 0
	s_and_b32 s5, s4, 0x7f000000
	s_and_b32 s4, s4, 0x80000000
	s_clz_i32_u32 s8, s5
	s_add_i32 s10, s5, 0x1000000
	s_min_u32 s8, s8, 32
	s_ashr_i32 s10, s10, 8
	v_sub_nc_u32_e64 v3, s8, 4 clamp
	v_mov_b32_e32 v9, v8
	s_delay_alu instid0(VALU_DEP_2) | instskip(NEXT) | instid1(VALU_DEP_1)
	v_readfirstlane_b32 s8, v3
	s_lshl_b32 s9, s5, s8
	s_lshl_b32 s8, s8, 23
	s_lshr_b32 s9, s9, 4
	s_delay_alu instid0(SALU_CYCLE_1) | instskip(SKIP_2) | instid1(SALU_CYCLE_1)
	s_sub_i32 s8, s9, s8
	s_and_b32 s9, s10, 0x7f800000
	s_add_i32 s8, s8, 0x3c000000
	s_or_b32 s8, s8, s9
	s_cmp_lg_u32 s5, 0
	s_cselect_b32 s5, s8, 0
	s_delay_alu instid0(SALU_CYCLE_1) | instskip(NEXT) | instid1(SALU_CYCLE_1)
	s_or_b32 s4, s5, s4
	v_cvt_f64_f32_e32 v[6:7], s4
	s_mov_b32 s4, 0
	global_store_b128 v[1:2], v[6:9], off
.LBB135_830:
	s_and_not1_b32 vcc_lo, exec_lo, s4
	s_cbranch_vccnz .LBB135_832
; %bb.831:
	s_lshl_b32 s4, s2, 24
	v_mov_b32_e32 v4, 0
	s_and_b32 s5, s4, 0x7f000000
	s_and_b32 s4, s4, 0x80000000
	s_clz_i32_u32 s8, s5
	s_add_i32 s9, s5, 0x1000000
	s_min_u32 s8, s8, 32
	s_ashr_i32 s9, s9, 8
	v_sub_nc_u32_e64 v3, s8, 4 clamp
	s_and_b32 s9, s9, 0x7f800000
	s_delay_alu instid0(VALU_DEP_1) | instskip(NEXT) | instid1(VALU_DEP_1)
	v_readfirstlane_b32 s8, v3
	s_lshl_b32 s10, s5, s8
	s_lshl_b32 s8, s8, 23
	s_lshr_b32 s10, s10, 4
	s_delay_alu instid0(SALU_CYCLE_1) | instskip(NEXT) | instid1(SALU_CYCLE_1)
	s_sub_i32 s8, s10, s8
	s_add_i32 s8, s8, 0x3c000000
	s_delay_alu instid0(SALU_CYCLE_1) | instskip(SKIP_2) | instid1(SALU_CYCLE_1)
	s_or_b32 s8, s8, s9
	s_cmp_lg_u32 s5, 0
	s_cselect_b32 s5, s8, 0
	s_or_b32 s4, s5, s4
	s_delay_alu instid0(SALU_CYCLE_1)
	v_mov_b32_e32 v3, s4
	global_store_b64 v[1:2], v[3:4], off
.LBB135_832:
	s_mov_b32 s4, 0
.LBB135_833:
	s_delay_alu instid0(SALU_CYCLE_1)
	s_and_not1_b32 vcc_lo, exec_lo, s4
	s_cbranch_vccnz .LBB135_835
; %bb.834:
	s_lshl_b32 s4, s2, 24
	s_delay_alu instid0(SALU_CYCLE_1)
	s_and_b32 s5, s4, 0x7f000000
	s_and_b32 s4, s4, 0x80000000
	s_clz_i32_u32 s8, s5
	s_add_i32 s10, s5, 0x1000000
	s_min_u32 s8, s8, 32
	s_ashr_i32 s10, s10, 8
	v_sub_nc_u32_e64 v3, s8, 4 clamp
	s_delay_alu instid0(VALU_DEP_1) | instskip(NEXT) | instid1(VALU_DEP_1)
	v_readfirstlane_b32 s8, v3
	s_lshl_b32 s9, s5, s8
	s_lshl_b32 s8, s8, 23
	s_lshr_b32 s9, s9, 4
	s_delay_alu instid0(SALU_CYCLE_1) | instskip(SKIP_2) | instid1(SALU_CYCLE_1)
	s_sub_i32 s8, s9, s8
	s_and_b32 s9, s10, 0x7f800000
	s_add_i32 s8, s8, 0x3c000000
	s_or_b32 s8, s8, s9
	s_cmp_lg_u32 s5, 0
	s_cselect_b32 s5, s8, 0
	s_delay_alu instid0(SALU_CYCLE_1) | instskip(NEXT) | instid1(SALU_CYCLE_1)
	s_or_b32 s4, s5, s4
	v_cvt_f16_f32_e32 v3, s4
	s_delay_alu instid0(VALU_DEP_1)
	v_and_b32_e32 v3, 0xffff, v3
	global_store_b32 v[1:2], v3, off
.LBB135_835:
	s_mov_b32 s4, 0
.LBB135_836:
	s_delay_alu instid0(SALU_CYCLE_1)
	s_and_not1_b32 vcc_lo, exec_lo, s4
	s_cbranch_vccnz .LBB135_845
; %bb.837:
	v_cmp_gt_i16_e32 vcc_lo, 6, v5
	s_mov_b32 s4, -1
	s_cbranch_vccnz .LBB135_843
; %bb.838:
	v_cmp_lt_i16_e32 vcc_lo, 6, v5
	s_cbranch_vccz .LBB135_840
; %bb.839:
	s_lshl_b32 s4, s2, 24
	s_delay_alu instid0(SALU_CYCLE_1)
	s_and_b32 s5, s4, 0x7f000000
	s_and_b32 s4, s4, 0x80000000
	s_clz_i32_u32 s8, s5
	s_add_i32 s10, s5, 0x1000000
	s_min_u32 s8, s8, 32
	s_ashr_i32 s10, s10, 8
	v_sub_nc_u32_e64 v3, s8, 4 clamp
	s_delay_alu instid0(VALU_DEP_1) | instskip(NEXT) | instid1(VALU_DEP_1)
	v_readfirstlane_b32 s8, v3
	s_lshl_b32 s9, s5, s8
	s_lshl_b32 s8, s8, 23
	s_lshr_b32 s9, s9, 4
	s_delay_alu instid0(SALU_CYCLE_1) | instskip(SKIP_2) | instid1(SALU_CYCLE_1)
	s_sub_i32 s8, s9, s8
	s_and_b32 s9, s10, 0x7f800000
	s_add_i32 s8, s8, 0x3c000000
	s_or_b32 s8, s8, s9
	s_cmp_lg_u32 s5, 0
	s_cselect_b32 s5, s8, 0
	s_delay_alu instid0(SALU_CYCLE_1) | instskip(NEXT) | instid1(SALU_CYCLE_1)
	s_or_b32 s4, s5, s4
	v_cvt_f64_f32_e32 v[3:4], s4
	s_mov_b32 s4, 0
	global_store_b64 v[1:2], v[3:4], off
.LBB135_840:
	s_and_not1_b32 vcc_lo, exec_lo, s4
	s_cbranch_vccnz .LBB135_842
; %bb.841:
	s_lshl_b32 s4, s2, 24
	s_delay_alu instid0(SALU_CYCLE_1)
	s_and_b32 s5, s4, 0x7f000000
	s_and_b32 s4, s4, 0x80000000
	s_clz_i32_u32 s8, s5
	s_add_i32 s10, s5, 0x1000000
	s_min_u32 s8, s8, 32
	s_ashr_i32 s10, s10, 8
	v_sub_nc_u32_e64 v3, s8, 4 clamp
	s_delay_alu instid0(VALU_DEP_1) | instskip(NEXT) | instid1(VALU_DEP_1)
	v_readfirstlane_b32 s8, v3
	s_lshl_b32 s9, s5, s8
	s_lshl_b32 s8, s8, 23
	s_lshr_b32 s9, s9, 4
	s_delay_alu instid0(SALU_CYCLE_1) | instskip(SKIP_2) | instid1(SALU_CYCLE_1)
	s_sub_i32 s8, s9, s8
	s_and_b32 s9, s10, 0x7f800000
	s_add_i32 s8, s8, 0x3c000000
	s_or_b32 s8, s8, s9
	s_cmp_lg_u32 s5, 0
	s_cselect_b32 s5, s8, 0
	s_delay_alu instid0(SALU_CYCLE_1) | instskip(NEXT) | instid1(SALU_CYCLE_1)
	s_or_b32 s4, s5, s4
	v_mov_b32_e32 v3, s4
	global_store_b32 v[1:2], v3, off
.LBB135_842:
	s_mov_b32 s4, 0
.LBB135_843:
	s_delay_alu instid0(SALU_CYCLE_1)
	s_and_not1_b32 vcc_lo, exec_lo, s4
	s_cbranch_vccnz .LBB135_845
; %bb.844:
	s_lshl_b32 s4, s2, 24
	s_delay_alu instid0(SALU_CYCLE_1)
	s_and_b32 s5, s4, 0x7f000000
	s_and_b32 s4, s4, 0x80000000
	s_clz_i32_u32 s8, s5
	s_add_i32 s10, s5, 0x1000000
	s_min_u32 s8, s8, 32
	s_ashr_i32 s10, s10, 8
	v_sub_nc_u32_e64 v3, s8, 4 clamp
	s_delay_alu instid0(VALU_DEP_1) | instskip(NEXT) | instid1(VALU_DEP_1)
	v_readfirstlane_b32 s8, v3
	s_lshl_b32 s9, s5, s8
	s_lshl_b32 s8, s8, 23
	s_lshr_b32 s9, s9, 4
	s_delay_alu instid0(SALU_CYCLE_1) | instskip(SKIP_2) | instid1(SALU_CYCLE_1)
	s_sub_i32 s8, s9, s8
	s_and_b32 s9, s10, 0x7f800000
	s_add_i32 s8, s8, 0x3c000000
	s_or_b32 s8, s8, s9
	s_cmp_lg_u32 s5, 0
	s_cselect_b32 s5, s8, 0
	s_delay_alu instid0(SALU_CYCLE_1) | instskip(NEXT) | instid1(SALU_CYCLE_1)
	s_or_b32 s4, s5, s4
	v_cvt_f16_f32_e32 v3, s4
	global_store_b16 v[1:2], v3, off
.LBB135_845:
	s_mov_b32 s4, 0
.LBB135_846:
	s_delay_alu instid0(SALU_CYCLE_1)
	s_and_not1_b32 vcc_lo, exec_lo, s4
	s_cbranch_vccnz .LBB135_862
; %bb.847:
	v_cmp_gt_i16_e32 vcc_lo, 2, v5
	s_mov_b32 s4, -1
	s_cbranch_vccnz .LBB135_857
; %bb.848:
	v_cmp_gt_i16_e32 vcc_lo, 3, v5
	s_cbranch_vccnz .LBB135_854
; %bb.849:
	v_cmp_lt_i16_e32 vcc_lo, 3, v5
	s_cbranch_vccz .LBB135_851
; %bb.850:
	s_lshl_b32 s4, s2, 24
	s_delay_alu instid0(SALU_CYCLE_1)
	s_and_b32 s5, s4, 0x7f000000
	s_and_b32 s4, s4, 0x80000000
	s_clz_i32_u32 s8, s5
	s_add_i32 s9, s5, 0x1000000
	s_min_u32 s8, s8, 32
	s_ashr_i32 s9, s9, 8
	v_sub_nc_u32_e64 v3, s8, 4 clamp
	s_and_b32 s9, s9, 0x7f800000
	s_delay_alu instid0(VALU_DEP_1) | instskip(NEXT) | instid1(VALU_DEP_1)
	v_readfirstlane_b32 s8, v3
	s_lshl_b32 s10, s5, s8
	s_lshl_b32 s8, s8, 23
	s_lshr_b32 s10, s10, 4
	s_delay_alu instid0(SALU_CYCLE_1) | instskip(NEXT) | instid1(SALU_CYCLE_1)
	s_sub_i32 s8, s10, s8
	s_add_i32 s8, s8, 0x3c000000
	s_delay_alu instid0(SALU_CYCLE_1) | instskip(SKIP_2) | instid1(SALU_CYCLE_1)
	s_or_b32 s8, s8, s9
	s_cmp_lg_u32 s5, 0
	s_cselect_b32 s5, s8, 0
	s_or_b32 s4, s5, s4
	s_delay_alu instid0(SALU_CYCLE_1) | instskip(SKIP_1) | instid1(VALU_DEP_1)
	v_trunc_f32_e32 v3, s4
	s_mov_b32 s4, 0
	v_mul_f32_e64 v4, 0x2f800000, |v3|
	v_ashrrev_i32_e32 v7, 31, v3
	s_delay_alu instid0(VALU_DEP_2) | instskip(NEXT) | instid1(VALU_DEP_1)
	v_floor_f32_e32 v4, v4
	v_fma_f32 v6, 0xcf800000, v4, |v3|
	v_cvt_u32_f32_e32 v4, v4
	s_delay_alu instid0(VALU_DEP_2) | instskip(NEXT) | instid1(VALU_DEP_2)
	v_cvt_u32_f32_e32 v3, v6
	v_xor_b32_e32 v4, v4, v7
	s_delay_alu instid0(VALU_DEP_2) | instskip(NEXT) | instid1(VALU_DEP_1)
	v_xor_b32_e32 v3, v3, v7
	v_sub_co_u32 v3, vcc_lo, v3, v7
	s_delay_alu instid0(VALU_DEP_3)
	v_sub_co_ci_u32_e32 v4, vcc_lo, v4, v7, vcc_lo
	global_store_b64 v[1:2], v[3:4], off
.LBB135_851:
	s_and_not1_b32 vcc_lo, exec_lo, s4
	s_cbranch_vccnz .LBB135_853
; %bb.852:
	s_lshl_b32 s4, s2, 24
	s_delay_alu instid0(SALU_CYCLE_1)
	s_and_b32 s5, s4, 0x7f000000
	s_and_b32 s4, s4, 0x80000000
	s_clz_i32_u32 s8, s5
	s_add_i32 s10, s5, 0x1000000
	s_min_u32 s8, s8, 32
	s_ashr_i32 s10, s10, 8
	v_sub_nc_u32_e64 v3, s8, 4 clamp
	s_delay_alu instid0(VALU_DEP_1) | instskip(NEXT) | instid1(VALU_DEP_1)
	v_readfirstlane_b32 s8, v3
	s_lshl_b32 s9, s5, s8
	s_lshl_b32 s8, s8, 23
	s_lshr_b32 s9, s9, 4
	s_delay_alu instid0(SALU_CYCLE_1) | instskip(SKIP_2) | instid1(SALU_CYCLE_1)
	s_sub_i32 s8, s9, s8
	s_and_b32 s9, s10, 0x7f800000
	s_add_i32 s8, s8, 0x3c000000
	s_or_b32 s8, s8, s9
	s_cmp_lg_u32 s5, 0
	s_cselect_b32 s5, s8, 0
	s_delay_alu instid0(SALU_CYCLE_1) | instskip(NEXT) | instid1(SALU_CYCLE_1)
	s_or_b32 s4, s5, s4
	v_cvt_i32_f32_e32 v3, s4
	global_store_b32 v[1:2], v3, off
.LBB135_853:
	s_mov_b32 s4, 0
.LBB135_854:
	s_delay_alu instid0(SALU_CYCLE_1)
	s_and_not1_b32 vcc_lo, exec_lo, s4
	s_cbranch_vccnz .LBB135_856
; %bb.855:
	s_lshl_b32 s4, s2, 24
	s_delay_alu instid0(SALU_CYCLE_1)
	s_and_b32 s5, s4, 0x7f000000
	s_and_b32 s4, s4, 0x80000000
	s_clz_i32_u32 s8, s5
	s_add_i32 s10, s5, 0x1000000
	s_min_u32 s8, s8, 32
	s_ashr_i32 s10, s10, 8
	v_sub_nc_u32_e64 v3, s8, 4 clamp
	s_delay_alu instid0(VALU_DEP_1) | instskip(NEXT) | instid1(VALU_DEP_1)
	v_readfirstlane_b32 s8, v3
	s_lshl_b32 s9, s5, s8
	s_lshl_b32 s8, s8, 23
	s_lshr_b32 s9, s9, 4
	s_delay_alu instid0(SALU_CYCLE_1) | instskip(SKIP_2) | instid1(SALU_CYCLE_1)
	s_sub_i32 s8, s9, s8
	s_and_b32 s9, s10, 0x7f800000
	s_add_i32 s8, s8, 0x3c000000
	s_or_b32 s8, s8, s9
	s_cmp_lg_u32 s5, 0
	s_cselect_b32 s5, s8, 0
	s_delay_alu instid0(SALU_CYCLE_1) | instskip(NEXT) | instid1(SALU_CYCLE_1)
	s_or_b32 s4, s5, s4
	v_cvt_i32_f32_e32 v3, s4
	global_store_b16 v[1:2], v3, off
.LBB135_856:
	s_mov_b32 s4, 0
.LBB135_857:
	s_delay_alu instid0(SALU_CYCLE_1)
	s_and_not1_b32 vcc_lo, exec_lo, s4
	s_cbranch_vccnz .LBB135_862
; %bb.858:
	v_cmp_lt_i16_e32 vcc_lo, 0, v5
	s_mov_b32 s4, -1
	s_cbranch_vccz .LBB135_860
; %bb.859:
	s_lshl_b32 s4, s2, 24
	s_delay_alu instid0(SALU_CYCLE_1)
	s_and_b32 s5, s4, 0x7f000000
	s_and_b32 s4, s4, 0x80000000
	s_clz_i32_u32 s8, s5
	s_add_i32 s10, s5, 0x1000000
	s_min_u32 s8, s8, 32
	s_ashr_i32 s10, s10, 8
	v_sub_nc_u32_e64 v3, s8, 4 clamp
	s_delay_alu instid0(VALU_DEP_1) | instskip(NEXT) | instid1(VALU_DEP_1)
	v_readfirstlane_b32 s8, v3
	s_lshl_b32 s9, s5, s8
	s_lshl_b32 s8, s8, 23
	s_lshr_b32 s9, s9, 4
	s_delay_alu instid0(SALU_CYCLE_1) | instskip(SKIP_2) | instid1(SALU_CYCLE_1)
	s_sub_i32 s8, s9, s8
	s_and_b32 s9, s10, 0x7f800000
	s_add_i32 s8, s8, 0x3c000000
	s_or_b32 s8, s8, s9
	s_cmp_lg_u32 s5, 0
	s_cselect_b32 s5, s8, 0
	s_delay_alu instid0(SALU_CYCLE_1) | instskip(NEXT) | instid1(SALU_CYCLE_1)
	s_or_b32 s4, s5, s4
	v_cvt_i32_f32_e32 v3, s4
	s_mov_b32 s4, 0
	global_store_b8 v[1:2], v3, off
.LBB135_860:
	s_and_not1_b32 vcc_lo, exec_lo, s4
	s_cbranch_vccnz .LBB135_862
; %bb.861:
	s_lshl_b32 s4, s2, 24
	s_delay_alu instid0(SALU_CYCLE_1)
	s_and_b32 s5, s4, 0x7f000000
	s_and_b32 s4, s4, 0x80000000
	s_clz_i32_u32 s8, s5
	s_add_i32 s9, s5, 0x1000000
	s_min_u32 s8, s8, 32
	s_ashr_i32 s9, s9, 8
	v_sub_nc_u32_e64 v3, s8, 4 clamp
	s_and_b32 s9, s9, 0x7f800000
	s_delay_alu instid0(VALU_DEP_1) | instskip(NEXT) | instid1(VALU_DEP_1)
	v_readfirstlane_b32 s8, v3
	s_lshl_b32 s10, s5, s8
	s_lshl_b32 s8, s8, 23
	s_lshr_b32 s10, s10, 4
	s_delay_alu instid0(SALU_CYCLE_1) | instskip(NEXT) | instid1(SALU_CYCLE_1)
	s_sub_i32 s8, s10, s8
	s_add_i32 s8, s8, 0x3c000000
	s_delay_alu instid0(SALU_CYCLE_1) | instskip(SKIP_2) | instid1(SALU_CYCLE_1)
	s_or_b32 s8, s8, s9
	s_cmp_lg_u32 s5, 0
	s_cselect_b32 s5, s8, 0
	s_or_b32 s4, s5, s4
	s_delay_alu instid0(SALU_CYCLE_1) | instskip(NEXT) | instid1(VALU_DEP_1)
	v_trunc_f32_e32 v3, s4
	v_mul_f32_e64 v4, 0x2f800000, |v3|
	s_delay_alu instid0(VALU_DEP_1) | instskip(NEXT) | instid1(VALU_DEP_1)
	v_floor_f32_e32 v4, v4
	v_fma_f32 v4, 0xcf800000, v4, |v3|
	v_ashrrev_i32_e32 v3, 31, v3
	s_delay_alu instid0(VALU_DEP_2) | instskip(NEXT) | instid1(VALU_DEP_1)
	v_cvt_u32_f32_e32 v4, v4
	v_xor_b32_e32 v4, v4, v3
	s_delay_alu instid0(VALU_DEP_1)
	v_sub_nc_u32_e32 v3, v4, v3
	global_store_b8 v[1:2], v3, off
.LBB135_862:
	s_mov_b32 s8, -1
.LBB135_863:
	s_delay_alu instid0(SALU_CYCLE_1)
	s_and_not1_b32 vcc_lo, exec_lo, s8
	s_cbranch_vccnz .LBB135_893
; %bb.864:
	v_cmp_gt_i16_e32 vcc_lo, 11, v5
	v_add_co_u32 v0, s0, s0, v0
	s_delay_alu instid0(VALU_DEP_1)
	v_add_co_ci_u32_e64 v1, null, s1, 0, s0
	s_mov_b32 s4, 0
	s_mov_b32 s0, -1
	s_cbranch_vccnz .LBB135_894
; %bb.865:
	v_cmp_lt_i16_e32 vcc_lo, 25, v5
	s_mov_b32 s1, -1
	s_mov_b32 s0, 0
	s_cbranch_vccz .LBB135_949
; %bb.866:
	v_cmp_lt_i16_e32 vcc_lo, 28, v5
	s_cbranch_vccz .LBB135_882
; %bb.867:
	v_cmp_lt_i16_e32 vcc_lo, 43, v5
	;; [unrolled: 3-line block ×3, first 2 shown]
	s_cbranch_vccz .LBB135_872
; %bb.869:
	v_cmp_eq_u16_e32 vcc_lo, 46, v5
	s_mov_b32 s0, -1
	s_cbranch_vccz .LBB135_871
; %bb.870:
	s_lshl_b32 s0, s2, 24
	s_delay_alu instid0(SALU_CYCLE_1)
	s_and_b32 s1, s0, 0x7f000000
	s_and_b32 s0, s0, 0x80000000
	s_clz_i32_u32 s5, s1
	s_add_i32 s8, s1, 0x1000000
	s_min_u32 s5, s5, 32
	s_ashr_i32 s8, s8, 8
	v_sub_nc_u32_e64 v2, s5, 4 clamp
	s_and_b32 s8, s8, 0x7f800000
	s_delay_alu instid0(VALU_DEP_1) | instskip(NEXT) | instid1(VALU_DEP_1)
	v_readfirstlane_b32 s5, v2
	s_lshl_b32 s9, s1, s5
	s_lshl_b32 s5, s5, 23
	s_lshr_b32 s9, s9, 4
	s_delay_alu instid0(SALU_CYCLE_1) | instskip(NEXT) | instid1(SALU_CYCLE_1)
	s_sub_i32 s5, s9, s5
	s_add_i32 s5, s5, 0x3c000000
	s_delay_alu instid0(SALU_CYCLE_1) | instskip(SKIP_2) | instid1(SALU_CYCLE_1)
	s_or_b32 s5, s5, s8
	s_cmp_lg_u32 s1, 0
	s_cselect_b32 s1, s5, 0
	s_or_b32 s0, s1, s0
	s_bfe_u32 s1, s1, 0x10010
	s_delay_alu instid0(SALU_CYCLE_1) | instskip(SKIP_2) | instid1(SALU_CYCLE_1)
	s_add_i32 s1, s0, s1
	v_cmp_o_f32_e64 s0, s0, s0
	s_addk_i32 s1, 0x7fff
	s_lshr_b32 s1, s1, 16
	s_delay_alu instid0(VALU_DEP_1) | instskip(SKIP_1) | instid1(SALU_CYCLE_1)
	s_and_b32 s0, s0, exec_lo
	s_cselect_b32 s0, s1, 0x7fc0
	v_mov_b32_e32 v2, s0
	s_mov_b32 s0, 0
	global_store_b32 v[0:1], v2, off
.LBB135_871:
	s_mov_b32 s1, 0
.LBB135_872:
	s_delay_alu instid0(SALU_CYCLE_1)
	s_and_b32 vcc_lo, exec_lo, s1
	s_cbranch_vccz .LBB135_877
; %bb.873:
	v_cmp_eq_u16_e32 vcc_lo, 44, v5
	s_mov_b32 s0, -1
	s_cbranch_vccz .LBB135_877
; %bb.874:
	s_lshl_b32 s0, s2, 24
	s_delay_alu instid0(SALU_CYCLE_1) | instskip(NEXT) | instid1(SALU_CYCLE_1)
	s_and_b32 s0, s0, 0x7f000000
	s_clz_i32_u32 s1, s0
	s_add_i32 s5, s0, 0x1000000
	s_min_u32 s1, s1, 32
	s_ashr_i32 s5, s5, 8
	v_sub_nc_u32_e64 v2, s1, 4 clamp
	s_and_b32 s5, s5, 0x7f800000
	s_delay_alu instid0(VALU_DEP_1) | instskip(SKIP_1) | instid1(VALU_DEP_2)
	v_readfirstlane_b32 s1, v2
	v_mov_b32_e32 v2, 0xff
	s_lshl_b32 s8, s0, s1
	s_lshl_b32 s1, s1, 23
	s_lshr_b32 s8, s8, 4
	s_delay_alu instid0(SALU_CYCLE_1) | instskip(NEXT) | instid1(SALU_CYCLE_1)
	s_sub_i32 s1, s8, s1
	s_add_i32 s1, s1, 0x3c000000
	s_delay_alu instid0(SALU_CYCLE_1) | instskip(SKIP_3) | instid1(SALU_CYCLE_1)
	s_or_b32 s1, s1, s5
	s_cmp_lg_u32 s0, 0
	s_mov_b32 s0, 0
	s_cselect_b32 s5, s1, 0
	s_lshr_b32 s1, s5, 23
	s_delay_alu instid0(SALU_CYCLE_1)
	s_cmpk_eq_i32 s1, 0xff
	s_cbranch_scc1 .LBB135_876
; %bb.875:
	s_bitcmp1_b32 s5, 22
	s_cselect_b32 s8, -1, 0
	s_and_b32 s5, s5, 0x3fffff
	s_delay_alu instid0(SALU_CYCLE_1) | instskip(NEXT) | instid1(SALU_CYCLE_1)
	s_or_b32 s5, s1, s5
	s_cmp_lg_u32 s5, 0
	s_cselect_b32 s5, -1, 0
	s_delay_alu instid0(SALU_CYCLE_1) | instskip(NEXT) | instid1(SALU_CYCLE_1)
	s_and_b32 s5, s8, s5
	v_cndmask_b32_e64 v2, 0, 1, s5
	s_delay_alu instid0(VALU_DEP_1)
	v_add_nc_u32_e32 v2, s1, v2
.LBB135_876:
	global_store_b8 v[0:1], v2, off
.LBB135_877:
	s_mov_b32 s1, 0
.LBB135_878:
	s_delay_alu instid0(SALU_CYCLE_1)
	s_and_b32 vcc_lo, exec_lo, s1
	s_cbranch_vccz .LBB135_881
; %bb.879:
	v_cmp_eq_u16_e32 vcc_lo, 29, v5
	s_mov_b32 s0, -1
	s_cbranch_vccz .LBB135_881
; %bb.880:
	s_lshl_b32 s0, s2, 24
	s_delay_alu instid0(SALU_CYCLE_1)
	s_and_b32 s1, s0, 0x7f000000
	s_and_b32 s0, s0, 0x80000000
	s_clz_i32_u32 s5, s1
	s_add_i32 s8, s1, 0x1000000
	s_min_u32 s5, s5, 32
	s_ashr_i32 s8, s8, 8
	v_sub_nc_u32_e64 v2, s5, 4 clamp
	s_and_b32 s8, s8, 0x7f800000
	s_delay_alu instid0(VALU_DEP_1) | instskip(NEXT) | instid1(VALU_DEP_1)
	v_readfirstlane_b32 s5, v2
	s_lshl_b32 s9, s1, s5
	s_lshl_b32 s5, s5, 23
	s_lshr_b32 s9, s9, 4
	s_delay_alu instid0(SALU_CYCLE_1) | instskip(NEXT) | instid1(SALU_CYCLE_1)
	s_sub_i32 s5, s9, s5
	s_add_i32 s5, s5, 0x3c000000
	s_delay_alu instid0(SALU_CYCLE_1) | instskip(SKIP_2) | instid1(SALU_CYCLE_1)
	s_or_b32 s5, s5, s8
	s_cmp_lg_u32 s1, 0
	s_cselect_b32 s1, s5, 0
	s_or_b32 s0, s1, s0
	s_delay_alu instid0(SALU_CYCLE_1) | instskip(SKIP_1) | instid1(VALU_DEP_1)
	v_trunc_f32_e32 v2, s0
	s_mov_b32 s0, 0
	v_mul_f32_e32 v3, 0x2f800000, v2
	s_delay_alu instid0(VALU_DEP_1) | instskip(NEXT) | instid1(VALU_DEP_1)
	v_floor_f32_e32 v3, v3
	v_fmamk_f32 v2, v3, 0xcf800000, v2
	v_cvt_u32_f32_e32 v3, v3
	s_delay_alu instid0(VALU_DEP_2)
	v_cvt_u32_f32_e32 v2, v2
	global_store_b64 v[0:1], v[2:3], off
.LBB135_881:
	s_mov_b32 s1, 0
.LBB135_882:
	s_delay_alu instid0(SALU_CYCLE_1)
	s_and_b32 vcc_lo, exec_lo, s1
	s_cbranch_vccz .LBB135_948
; %bb.883:
	v_cmp_gt_i16_e32 vcc_lo, 27, v5
	s_mov_b32 s1, -1
	s_cbranch_vccnz .LBB135_889
; %bb.884:
	v_cmp_lt_i16_e32 vcc_lo, 27, v5
	s_cbranch_vccz .LBB135_886
; %bb.885:
	s_lshl_b32 s1, s2, 24
	s_delay_alu instid0(SALU_CYCLE_1)
	s_and_b32 s5, s1, 0x7f000000
	s_and_b32 s1, s1, 0x80000000
	s_clz_i32_u32 s8, s5
	s_add_i32 s10, s5, 0x1000000
	s_min_u32 s8, s8, 32
	s_ashr_i32 s10, s10, 8
	v_sub_nc_u32_e64 v2, s8, 4 clamp
	s_delay_alu instid0(VALU_DEP_1) | instskip(NEXT) | instid1(VALU_DEP_1)
	v_readfirstlane_b32 s8, v2
	s_lshl_b32 s9, s5, s8
	s_lshl_b32 s8, s8, 23
	s_lshr_b32 s9, s9, 4
	s_delay_alu instid0(SALU_CYCLE_1) | instskip(SKIP_2) | instid1(SALU_CYCLE_1)
	s_sub_i32 s8, s9, s8
	s_and_b32 s9, s10, 0x7f800000
	s_add_i32 s8, s8, 0x3c000000
	s_or_b32 s8, s8, s9
	s_cmp_lg_u32 s5, 0
	s_cselect_b32 s5, s8, 0
	s_delay_alu instid0(SALU_CYCLE_1) | instskip(NEXT) | instid1(SALU_CYCLE_1)
	s_or_b32 s1, s5, s1
	v_cvt_u32_f32_e32 v2, s1
	s_mov_b32 s1, 0
	global_store_b32 v[0:1], v2, off
.LBB135_886:
	s_and_not1_b32 vcc_lo, exec_lo, s1
	s_cbranch_vccnz .LBB135_888
; %bb.887:
	s_lshl_b32 s1, s2, 24
	s_delay_alu instid0(SALU_CYCLE_1)
	s_and_b32 s5, s1, 0x7f000000
	s_and_b32 s1, s1, 0x80000000
	s_clz_i32_u32 s8, s5
	s_add_i32 s10, s5, 0x1000000
	s_min_u32 s8, s8, 32
	s_ashr_i32 s10, s10, 8
	v_sub_nc_u32_e64 v2, s8, 4 clamp
	s_delay_alu instid0(VALU_DEP_1) | instskip(NEXT) | instid1(VALU_DEP_1)
	v_readfirstlane_b32 s8, v2
	s_lshl_b32 s9, s5, s8
	s_lshl_b32 s8, s8, 23
	s_lshr_b32 s9, s9, 4
	s_delay_alu instid0(SALU_CYCLE_1) | instskip(SKIP_2) | instid1(SALU_CYCLE_1)
	s_sub_i32 s8, s9, s8
	s_and_b32 s9, s10, 0x7f800000
	s_add_i32 s8, s8, 0x3c000000
	s_or_b32 s8, s8, s9
	s_cmp_lg_u32 s5, 0
	s_cselect_b32 s5, s8, 0
	s_delay_alu instid0(SALU_CYCLE_1) | instskip(NEXT) | instid1(SALU_CYCLE_1)
	s_or_b32 s1, s5, s1
	v_cvt_u32_f32_e32 v2, s1
	global_store_b16 v[0:1], v2, off
.LBB135_888:
	s_mov_b32 s1, 0
.LBB135_889:
	s_delay_alu instid0(SALU_CYCLE_1)
	s_and_not1_b32 vcc_lo, exec_lo, s1
	s_cbranch_vccnz .LBB135_948
; %bb.890:
	s_lshl_b32 s1, s2, 24
	v_mov_b32_e32 v3, 0x80
	s_and_b32 s5, s1, 0x7f000000
	s_and_b32 s1, s1, 0x80000000
	s_clz_i32_u32 s8, s5
	s_add_i32 s9, s5, 0x1000000
	s_min_u32 s8, s8, 32
	s_ashr_i32 s9, s9, 8
	v_sub_nc_u32_e64 v2, s8, 4 clamp
	s_and_b32 s9, s9, 0x7f800000
	s_delay_alu instid0(VALU_DEP_1) | instskip(NEXT) | instid1(VALU_DEP_1)
	v_readfirstlane_b32 s8, v2
	s_lshl_b32 s10, s5, s8
	s_lshl_b32 s8, s8, 23
	s_lshr_b32 s10, s10, 4
	s_delay_alu instid0(SALU_CYCLE_1) | instskip(NEXT) | instid1(SALU_CYCLE_1)
	s_sub_i32 s8, s10, s8
	s_add_i32 s8, s8, 0x3c000000
	s_delay_alu instid0(SALU_CYCLE_1) | instskip(SKIP_3) | instid1(SALU_CYCLE_1)
	s_or_b32 s8, s8, s9
	s_cmp_lg_u32 s5, 0
	s_mov_b32 s5, 0
	s_cselect_b32 s8, s8, 0
	s_or_b32 s1, s8, s1
	s_delay_alu instid0(SALU_CYCLE_1) | instskip(NEXT) | instid1(SALU_CYCLE_1)
	s_and_b32 s9, s1, 0x7fffffff
	s_cmp_gt_u32 s9, 0x437fffff
	s_cbranch_scc1 .LBB135_947
; %bb.891:
	s_cmp_gt_u32 s9, 0x3bffffff
	s_cbranch_scc0 .LBB135_942
; %bb.892:
	s_bfe_u32 s5, s8, 0x10014
	s_mov_b32 s8, 0
	s_add_i32 s5, s1, s5
	s_delay_alu instid0(SALU_CYCLE_1) | instskip(NEXT) | instid1(SALU_CYCLE_1)
	s_add_i32 s5, s5, 0x487ffff
	s_lshr_b32 s9, s5, 20
	s_mov_b32 s5, -1
	s_branch .LBB135_943
.LBB135_893:
	s_mov_b32 s0, 0
	s_mov_b32 s4, 0
                                        ; implicit-def: $vgpr5
                                        ; implicit-def: $vgpr0_vgpr1
.LBB135_894:
	s_and_b32 s5, s0, exec_lo
	s_and_not1_b32 s0, s6, exec_lo
	s_and_b32 s1, s3, exec_lo
	s_and_b32 s20, s4, exec_lo
	s_or_b32 s6, s0, s1
.LBB135_895:
	s_or_b32 exec_lo, exec_lo, s7
	s_and_saveexec_b32 s0, s6
	s_cbranch_execz .LBB135_898
; %bb.896:
	; divergent unreachable
	s_or_b32 exec_lo, exec_lo, s0
	s_and_saveexec_b32 s0, s20
	s_delay_alu instid0(SALU_CYCLE_1)
	s_xor_b32 s0, exec_lo, s0
	s_cbranch_execnz .LBB135_899
.LBB135_897:
	s_or_b32 exec_lo, exec_lo, s0
	s_and_saveexec_b32 s0, s5
	s_cbranch_execnz .LBB135_900
	s_branch .LBB135_937
.LBB135_898:
	s_or_b32 exec_lo, exec_lo, s0
	s_and_saveexec_b32 s0, s20
	s_delay_alu instid0(SALU_CYCLE_1)
	s_xor_b32 s0, exec_lo, s0
	s_cbranch_execz .LBB135_897
.LBB135_899:
	s_lshl_b32 s1, s2, 24
	s_delay_alu instid0(SALU_CYCLE_1) | instskip(NEXT) | instid1(SALU_CYCLE_1)
	s_and_b32 s1, s1, 0x7f000000
	s_clz_i32_u32 s3, s1
	s_add_i32 s4, s1, 0x1000000
	s_min_u32 s3, s3, 32
	s_ashr_i32 s4, s4, 8
	v_sub_nc_u32_e64 v2, s3, 4 clamp
	s_and_b32 s4, s4, 0x7f800000
	s_delay_alu instid0(VALU_DEP_1) | instskip(NEXT) | instid1(VALU_DEP_1)
	v_readfirstlane_b32 s3, v2
	s_lshl_b32 s6, s1, s3
	s_lshl_b32 s3, s3, 23
	s_lshr_b32 s6, s6, 4
	s_delay_alu instid0(SALU_CYCLE_1) | instskip(NEXT) | instid1(SALU_CYCLE_1)
	s_sub_i32 s3, s6, s3
	s_add_i32 s3, s3, 0x3c000000
	s_cmp_lg_u32 s1, 0
	s_cselect_b32 s1, -1, 0
	s_and_b32 s3, s3, 0x7ff00000
	s_delay_alu instid0(SALU_CYCLE_1) | instskip(NEXT) | instid1(SALU_CYCLE_1)
	s_or_b32 s3, s3, s4
	s_cmp_lg_u32 s3, 0
	s_cselect_b32 s3, -1, 0
	s_delay_alu instid0(SALU_CYCLE_1) | instskip(NEXT) | instid1(SALU_CYCLE_1)
	s_and_b32 s1, s1, s3
	v_cndmask_b32_e64 v2, 0, 1, s1
	global_store_b8 v[0:1], v2, off
	s_or_b32 exec_lo, exec_lo, s0
	s_and_saveexec_b32 s0, s5
	s_cbranch_execz .LBB135_937
.LBB135_900:
	v_cmp_gt_i16_e32 vcc_lo, 5, v5
	s_mov_b32 s0, -1
	s_cbranch_vccnz .LBB135_921
; %bb.901:
	v_cmp_gt_i16_e32 vcc_lo, 8, v5
	s_cbranch_vccnz .LBB135_911
; %bb.902:
	v_cmp_gt_i16_e32 vcc_lo, 9, v5
	s_cbranch_vccnz .LBB135_908
; %bb.903:
	v_cmp_lt_i16_e32 vcc_lo, 9, v5
	s_cbranch_vccz .LBB135_905
; %bb.904:
	s_lshl_b32 s0, s2, 24
	v_mov_b32_e32 v8, 0
	s_and_b32 s1, s0, 0x7f000000
	s_and_b32 s0, s0, 0x80000000
	s_clz_i32_u32 s3, s1
	s_add_i32 s5, s1, 0x1000000
	s_min_u32 s3, s3, 32
	s_ashr_i32 s5, s5, 8
	v_sub_nc_u32_e64 v2, s3, 4 clamp
	v_mov_b32_e32 v9, v8
	s_delay_alu instid0(VALU_DEP_2) | instskip(NEXT) | instid1(VALU_DEP_1)
	v_readfirstlane_b32 s3, v2
	s_lshl_b32 s4, s1, s3
	s_lshl_b32 s3, s3, 23
	s_lshr_b32 s4, s4, 4
	s_delay_alu instid0(SALU_CYCLE_1) | instskip(SKIP_2) | instid1(SALU_CYCLE_1)
	s_sub_i32 s3, s4, s3
	s_and_b32 s4, s5, 0x7f800000
	s_add_i32 s3, s3, 0x3c000000
	s_or_b32 s3, s3, s4
	s_cmp_lg_u32 s1, 0
	s_cselect_b32 s1, s3, 0
	s_delay_alu instid0(SALU_CYCLE_1) | instskip(NEXT) | instid1(SALU_CYCLE_1)
	s_or_b32 s0, s1, s0
	v_cvt_f64_f32_e32 v[6:7], s0
	s_mov_b32 s0, 0
	global_store_b128 v[0:1], v[6:9], off
.LBB135_905:
	s_and_not1_b32 vcc_lo, exec_lo, s0
	s_cbranch_vccnz .LBB135_907
; %bb.906:
	s_lshl_b32 s0, s2, 24
	v_mov_b32_e32 v3, 0
	s_and_b32 s1, s0, 0x7f000000
	s_and_b32 s0, s0, 0x80000000
	s_clz_i32_u32 s3, s1
	s_add_i32 s4, s1, 0x1000000
	s_min_u32 s3, s3, 32
	s_ashr_i32 s4, s4, 8
	v_sub_nc_u32_e64 v2, s3, 4 clamp
	s_and_b32 s4, s4, 0x7f800000
	s_delay_alu instid0(VALU_DEP_1) | instskip(NEXT) | instid1(VALU_DEP_1)
	v_readfirstlane_b32 s3, v2
	s_lshl_b32 s5, s1, s3
	s_lshl_b32 s3, s3, 23
	s_lshr_b32 s5, s5, 4
	s_delay_alu instid0(SALU_CYCLE_1) | instskip(NEXT) | instid1(SALU_CYCLE_1)
	s_sub_i32 s3, s5, s3
	s_add_i32 s3, s3, 0x3c000000
	s_delay_alu instid0(SALU_CYCLE_1) | instskip(SKIP_2) | instid1(SALU_CYCLE_1)
	s_or_b32 s3, s3, s4
	s_cmp_lg_u32 s1, 0
	s_cselect_b32 s1, s3, 0
	s_or_b32 s0, s1, s0
	s_delay_alu instid0(SALU_CYCLE_1)
	v_mov_b32_e32 v2, s0
	global_store_b64 v[0:1], v[2:3], off
.LBB135_907:
	s_mov_b32 s0, 0
.LBB135_908:
	s_delay_alu instid0(SALU_CYCLE_1)
	s_and_not1_b32 vcc_lo, exec_lo, s0
	s_cbranch_vccnz .LBB135_910
; %bb.909:
	s_lshl_b32 s0, s2, 24
	s_delay_alu instid0(SALU_CYCLE_1)
	s_and_b32 s1, s0, 0x7f000000
	s_and_b32 s0, s0, 0x80000000
	s_clz_i32_u32 s3, s1
	s_add_i32 s5, s1, 0x1000000
	s_min_u32 s3, s3, 32
	s_ashr_i32 s5, s5, 8
	v_sub_nc_u32_e64 v2, s3, 4 clamp
	s_delay_alu instid0(VALU_DEP_1) | instskip(NEXT) | instid1(VALU_DEP_1)
	v_readfirstlane_b32 s3, v2
	s_lshl_b32 s4, s1, s3
	s_lshl_b32 s3, s3, 23
	s_lshr_b32 s4, s4, 4
	s_delay_alu instid0(SALU_CYCLE_1) | instskip(SKIP_2) | instid1(SALU_CYCLE_1)
	s_sub_i32 s3, s4, s3
	s_and_b32 s4, s5, 0x7f800000
	s_add_i32 s3, s3, 0x3c000000
	s_or_b32 s3, s3, s4
	s_cmp_lg_u32 s1, 0
	s_cselect_b32 s1, s3, 0
	s_delay_alu instid0(SALU_CYCLE_1) | instskip(NEXT) | instid1(SALU_CYCLE_1)
	s_or_b32 s0, s1, s0
	v_cvt_f16_f32_e32 v2, s0
	s_delay_alu instid0(VALU_DEP_1)
	v_and_b32_e32 v2, 0xffff, v2
	global_store_b32 v[0:1], v2, off
.LBB135_910:
	s_mov_b32 s0, 0
.LBB135_911:
	s_delay_alu instid0(SALU_CYCLE_1)
	s_and_not1_b32 vcc_lo, exec_lo, s0
	s_cbranch_vccnz .LBB135_920
; %bb.912:
	v_cmp_gt_i16_e32 vcc_lo, 6, v5
	s_mov_b32 s0, -1
	s_cbranch_vccnz .LBB135_918
; %bb.913:
	v_cmp_lt_i16_e32 vcc_lo, 6, v5
	s_cbranch_vccz .LBB135_915
; %bb.914:
	s_lshl_b32 s0, s2, 24
	s_delay_alu instid0(SALU_CYCLE_1)
	s_and_b32 s1, s0, 0x7f000000
	s_and_b32 s0, s0, 0x80000000
	s_clz_i32_u32 s3, s1
	s_add_i32 s5, s1, 0x1000000
	s_min_u32 s3, s3, 32
	s_ashr_i32 s5, s5, 8
	v_sub_nc_u32_e64 v2, s3, 4 clamp
	s_delay_alu instid0(VALU_DEP_1) | instskip(NEXT) | instid1(VALU_DEP_1)
	v_readfirstlane_b32 s3, v2
	s_lshl_b32 s4, s1, s3
	s_lshl_b32 s3, s3, 23
	s_lshr_b32 s4, s4, 4
	s_delay_alu instid0(SALU_CYCLE_1) | instskip(SKIP_2) | instid1(SALU_CYCLE_1)
	s_sub_i32 s3, s4, s3
	s_and_b32 s4, s5, 0x7f800000
	s_add_i32 s3, s3, 0x3c000000
	s_or_b32 s3, s3, s4
	s_cmp_lg_u32 s1, 0
	s_cselect_b32 s1, s3, 0
	s_delay_alu instid0(SALU_CYCLE_1) | instskip(NEXT) | instid1(SALU_CYCLE_1)
	s_or_b32 s0, s1, s0
	v_cvt_f64_f32_e32 v[2:3], s0
	s_mov_b32 s0, 0
	global_store_b64 v[0:1], v[2:3], off
.LBB135_915:
	s_and_not1_b32 vcc_lo, exec_lo, s0
	s_cbranch_vccnz .LBB135_917
; %bb.916:
	s_lshl_b32 s0, s2, 24
	s_delay_alu instid0(SALU_CYCLE_1)
	s_and_b32 s1, s0, 0x7f000000
	s_and_b32 s0, s0, 0x80000000
	s_clz_i32_u32 s3, s1
	s_add_i32 s5, s1, 0x1000000
	s_min_u32 s3, s3, 32
	s_ashr_i32 s5, s5, 8
	v_sub_nc_u32_e64 v2, s3, 4 clamp
	s_delay_alu instid0(VALU_DEP_1) | instskip(NEXT) | instid1(VALU_DEP_1)
	v_readfirstlane_b32 s3, v2
	s_lshl_b32 s4, s1, s3
	s_lshl_b32 s3, s3, 23
	s_lshr_b32 s4, s4, 4
	s_delay_alu instid0(SALU_CYCLE_1) | instskip(SKIP_2) | instid1(SALU_CYCLE_1)
	s_sub_i32 s3, s4, s3
	s_and_b32 s4, s5, 0x7f800000
	s_add_i32 s3, s3, 0x3c000000
	s_or_b32 s3, s3, s4
	s_cmp_lg_u32 s1, 0
	s_cselect_b32 s1, s3, 0
	s_delay_alu instid0(SALU_CYCLE_1) | instskip(NEXT) | instid1(SALU_CYCLE_1)
	s_or_b32 s0, s1, s0
	v_mov_b32_e32 v2, s0
	global_store_b32 v[0:1], v2, off
.LBB135_917:
	s_mov_b32 s0, 0
.LBB135_918:
	s_delay_alu instid0(SALU_CYCLE_1)
	s_and_not1_b32 vcc_lo, exec_lo, s0
	s_cbranch_vccnz .LBB135_920
; %bb.919:
	s_lshl_b32 s0, s2, 24
	s_delay_alu instid0(SALU_CYCLE_1)
	s_and_b32 s1, s0, 0x7f000000
	s_and_b32 s0, s0, 0x80000000
	s_clz_i32_u32 s3, s1
	s_add_i32 s5, s1, 0x1000000
	s_min_u32 s3, s3, 32
	s_ashr_i32 s5, s5, 8
	v_sub_nc_u32_e64 v2, s3, 4 clamp
	s_delay_alu instid0(VALU_DEP_1) | instskip(NEXT) | instid1(VALU_DEP_1)
	v_readfirstlane_b32 s3, v2
	s_lshl_b32 s4, s1, s3
	s_lshl_b32 s3, s3, 23
	s_lshr_b32 s4, s4, 4
	s_delay_alu instid0(SALU_CYCLE_1) | instskip(SKIP_2) | instid1(SALU_CYCLE_1)
	s_sub_i32 s3, s4, s3
	s_and_b32 s4, s5, 0x7f800000
	s_add_i32 s3, s3, 0x3c000000
	s_or_b32 s3, s3, s4
	s_cmp_lg_u32 s1, 0
	s_cselect_b32 s1, s3, 0
	s_delay_alu instid0(SALU_CYCLE_1) | instskip(NEXT) | instid1(SALU_CYCLE_1)
	s_or_b32 s0, s1, s0
	v_cvt_f16_f32_e32 v2, s0
	global_store_b16 v[0:1], v2, off
.LBB135_920:
	s_mov_b32 s0, 0
.LBB135_921:
	s_delay_alu instid0(SALU_CYCLE_1)
	s_and_not1_b32 vcc_lo, exec_lo, s0
	s_cbranch_vccnz .LBB135_937
; %bb.922:
	v_cmp_gt_i16_e32 vcc_lo, 2, v5
	s_mov_b32 s0, -1
	s_cbranch_vccnz .LBB135_932
; %bb.923:
	v_cmp_gt_i16_e32 vcc_lo, 3, v5
	s_cbranch_vccnz .LBB135_929
; %bb.924:
	v_cmp_lt_i16_e32 vcc_lo, 3, v5
	s_cbranch_vccz .LBB135_926
; %bb.925:
	s_lshl_b32 s0, s2, 24
	s_delay_alu instid0(SALU_CYCLE_1)
	s_and_b32 s1, s0, 0x7f000000
	s_and_b32 s0, s0, 0x80000000
	s_clz_i32_u32 s3, s1
	s_add_i32 s4, s1, 0x1000000
	s_min_u32 s3, s3, 32
	s_ashr_i32 s4, s4, 8
	v_sub_nc_u32_e64 v2, s3, 4 clamp
	s_and_b32 s4, s4, 0x7f800000
	s_delay_alu instid0(VALU_DEP_1) | instskip(NEXT) | instid1(VALU_DEP_1)
	v_readfirstlane_b32 s3, v2
	s_lshl_b32 s5, s1, s3
	s_lshl_b32 s3, s3, 23
	s_lshr_b32 s5, s5, 4
	s_delay_alu instid0(SALU_CYCLE_1) | instskip(NEXT) | instid1(SALU_CYCLE_1)
	s_sub_i32 s3, s5, s3
	s_add_i32 s3, s3, 0x3c000000
	s_delay_alu instid0(SALU_CYCLE_1) | instskip(SKIP_2) | instid1(SALU_CYCLE_1)
	s_or_b32 s3, s3, s4
	s_cmp_lg_u32 s1, 0
	s_cselect_b32 s1, s3, 0
	s_or_b32 s0, s1, s0
	s_delay_alu instid0(SALU_CYCLE_1) | instskip(SKIP_1) | instid1(VALU_DEP_1)
	v_trunc_f32_e32 v2, s0
	s_mov_b32 s0, 0
	v_mul_f32_e64 v3, 0x2f800000, |v2|
	v_ashrrev_i32_e32 v6, 31, v2
	s_delay_alu instid0(VALU_DEP_2) | instskip(NEXT) | instid1(VALU_DEP_1)
	v_floor_f32_e32 v3, v3
	v_fma_f32 v4, 0xcf800000, v3, |v2|
	v_cvt_u32_f32_e32 v3, v3
	s_delay_alu instid0(VALU_DEP_2) | instskip(NEXT) | instid1(VALU_DEP_2)
	v_cvt_u32_f32_e32 v2, v4
	v_xor_b32_e32 v3, v3, v6
	s_delay_alu instid0(VALU_DEP_2) | instskip(NEXT) | instid1(VALU_DEP_1)
	v_xor_b32_e32 v2, v2, v6
	v_sub_co_u32 v2, vcc_lo, v2, v6
	s_delay_alu instid0(VALU_DEP_3)
	v_sub_co_ci_u32_e32 v3, vcc_lo, v3, v6, vcc_lo
	global_store_b64 v[0:1], v[2:3], off
.LBB135_926:
	s_and_not1_b32 vcc_lo, exec_lo, s0
	s_cbranch_vccnz .LBB135_928
; %bb.927:
	s_lshl_b32 s0, s2, 24
	s_delay_alu instid0(SALU_CYCLE_1)
	s_and_b32 s1, s0, 0x7f000000
	s_and_b32 s0, s0, 0x80000000
	s_clz_i32_u32 s3, s1
	s_add_i32 s5, s1, 0x1000000
	s_min_u32 s3, s3, 32
	s_ashr_i32 s5, s5, 8
	v_sub_nc_u32_e64 v2, s3, 4 clamp
	s_delay_alu instid0(VALU_DEP_1) | instskip(NEXT) | instid1(VALU_DEP_1)
	v_readfirstlane_b32 s3, v2
	s_lshl_b32 s4, s1, s3
	s_lshl_b32 s3, s3, 23
	s_lshr_b32 s4, s4, 4
	s_delay_alu instid0(SALU_CYCLE_1) | instskip(SKIP_2) | instid1(SALU_CYCLE_1)
	s_sub_i32 s3, s4, s3
	s_and_b32 s4, s5, 0x7f800000
	s_add_i32 s3, s3, 0x3c000000
	s_or_b32 s3, s3, s4
	s_cmp_lg_u32 s1, 0
	s_cselect_b32 s1, s3, 0
	s_delay_alu instid0(SALU_CYCLE_1) | instskip(NEXT) | instid1(SALU_CYCLE_1)
	s_or_b32 s0, s1, s0
	v_cvt_i32_f32_e32 v2, s0
	global_store_b32 v[0:1], v2, off
.LBB135_928:
	s_mov_b32 s0, 0
.LBB135_929:
	s_delay_alu instid0(SALU_CYCLE_1)
	s_and_not1_b32 vcc_lo, exec_lo, s0
	s_cbranch_vccnz .LBB135_931
; %bb.930:
	s_lshl_b32 s0, s2, 24
	s_delay_alu instid0(SALU_CYCLE_1)
	s_and_b32 s1, s0, 0x7f000000
	s_and_b32 s0, s0, 0x80000000
	s_clz_i32_u32 s3, s1
	s_add_i32 s5, s1, 0x1000000
	s_min_u32 s3, s3, 32
	s_ashr_i32 s5, s5, 8
	v_sub_nc_u32_e64 v2, s3, 4 clamp
	s_delay_alu instid0(VALU_DEP_1) | instskip(NEXT) | instid1(VALU_DEP_1)
	v_readfirstlane_b32 s3, v2
	s_lshl_b32 s4, s1, s3
	s_lshl_b32 s3, s3, 23
	s_lshr_b32 s4, s4, 4
	s_delay_alu instid0(SALU_CYCLE_1) | instskip(SKIP_2) | instid1(SALU_CYCLE_1)
	s_sub_i32 s3, s4, s3
	s_and_b32 s4, s5, 0x7f800000
	s_add_i32 s3, s3, 0x3c000000
	s_or_b32 s3, s3, s4
	s_cmp_lg_u32 s1, 0
	s_cselect_b32 s1, s3, 0
	s_delay_alu instid0(SALU_CYCLE_1) | instskip(NEXT) | instid1(SALU_CYCLE_1)
	s_or_b32 s0, s1, s0
	v_cvt_i32_f32_e32 v2, s0
	global_store_b16 v[0:1], v2, off
.LBB135_931:
	s_mov_b32 s0, 0
.LBB135_932:
	s_delay_alu instid0(SALU_CYCLE_1)
	s_and_not1_b32 vcc_lo, exec_lo, s0
	s_cbranch_vccnz .LBB135_937
; %bb.933:
	v_cmp_lt_i16_e32 vcc_lo, 0, v5
	s_mov_b32 s0, -1
	s_cbranch_vccz .LBB135_935
; %bb.934:
	s_lshl_b32 s0, s2, 24
	s_delay_alu instid0(SALU_CYCLE_1)
	s_and_b32 s1, s0, 0x7f000000
	s_and_b32 s0, s0, 0x80000000
	s_clz_i32_u32 s3, s1
	s_add_i32 s5, s1, 0x1000000
	s_min_u32 s3, s3, 32
	s_ashr_i32 s5, s5, 8
	v_sub_nc_u32_e64 v2, s3, 4 clamp
	s_delay_alu instid0(VALU_DEP_1) | instskip(NEXT) | instid1(VALU_DEP_1)
	v_readfirstlane_b32 s3, v2
	s_lshl_b32 s4, s1, s3
	s_lshl_b32 s3, s3, 23
	s_lshr_b32 s4, s4, 4
	s_delay_alu instid0(SALU_CYCLE_1) | instskip(SKIP_2) | instid1(SALU_CYCLE_1)
	s_sub_i32 s3, s4, s3
	s_and_b32 s4, s5, 0x7f800000
	s_add_i32 s3, s3, 0x3c000000
	s_or_b32 s3, s3, s4
	s_cmp_lg_u32 s1, 0
	s_cselect_b32 s1, s3, 0
	s_delay_alu instid0(SALU_CYCLE_1) | instskip(NEXT) | instid1(SALU_CYCLE_1)
	s_or_b32 s0, s1, s0
	v_cvt_i32_f32_e32 v2, s0
	s_mov_b32 s0, 0
	global_store_b8 v[0:1], v2, off
.LBB135_935:
	s_and_not1_b32 vcc_lo, exec_lo, s0
	s_cbranch_vccnz .LBB135_937
; %bb.936:
	s_lshl_b32 s0, s2, 24
	s_delay_alu instid0(SALU_CYCLE_1)
	s_and_b32 s1, s0, 0x7f000000
	s_and_b32 s0, s0, 0x80000000
	s_clz_i32_u32 s2, s1
	s_add_i32 s3, s1, 0x1000000
	s_min_u32 s2, s2, 32
	s_ashr_i32 s3, s3, 8
	v_sub_nc_u32_e64 v2, s2, 4 clamp
	s_and_b32 s3, s3, 0x7f800000
	s_delay_alu instid0(VALU_DEP_1) | instskip(NEXT) | instid1(VALU_DEP_1)
	v_readfirstlane_b32 s2, v2
	s_lshl_b32 s4, s1, s2
	s_lshl_b32 s2, s2, 23
	s_lshr_b32 s4, s4, 4
	s_delay_alu instid0(SALU_CYCLE_1) | instskip(NEXT) | instid1(SALU_CYCLE_1)
	s_sub_i32 s2, s4, s2
	s_add_i32 s2, s2, 0x3c000000
	s_delay_alu instid0(SALU_CYCLE_1) | instskip(SKIP_2) | instid1(SALU_CYCLE_1)
	s_or_b32 s2, s2, s3
	s_cmp_lg_u32 s1, 0
	s_cselect_b32 s1, s2, 0
	s_or_b32 s0, s1, s0
	s_delay_alu instid0(SALU_CYCLE_1) | instskip(NEXT) | instid1(VALU_DEP_1)
	v_trunc_f32_e32 v2, s0
	v_mul_f32_e64 v3, 0x2f800000, |v2|
	s_delay_alu instid0(VALU_DEP_1) | instskip(NEXT) | instid1(VALU_DEP_1)
	v_floor_f32_e32 v3, v3
	v_fma_f32 v3, 0xcf800000, v3, |v2|
	v_ashrrev_i32_e32 v2, 31, v2
	s_delay_alu instid0(VALU_DEP_2) | instskip(NEXT) | instid1(VALU_DEP_1)
	v_cvt_u32_f32_e32 v3, v3
	v_xor_b32_e32 v3, v3, v2
	s_delay_alu instid0(VALU_DEP_1)
	v_sub_nc_u32_e32 v2, v3, v2
	global_store_b8 v[0:1], v2, off
	s_nop 0
	s_sendmsg sendmsg(MSG_DEALLOC_VGPRS)
	s_endpgm
.LBB135_937:
	s_nop 0
	s_sendmsg sendmsg(MSG_DEALLOC_VGPRS)
	s_endpgm
.LBB135_938:
	s_cbranch_execnz .LBB135_940
; %bb.939:
	s_or_b32 s3, s3, exec_lo
	s_cbranch_execz .LBB135_822
	s_branch .LBB135_823
.LBB135_940:
	s_trap 2
	s_sendmsg_rtn_b32 s0, sendmsg(MSG_RTN_GET_DOORBELL)
	s_mov_b32 ttmp2, m0
	s_waitcnt lgkmcnt(0)
	s_and_b32 s0, s0, 0x3ff
	s_delay_alu instid0(SALU_CYCLE_1) | instskip(NEXT) | instid1(SALU_CYCLE_1)
	s_bitset1_b32 s0, 10
	s_mov_b32 m0, s0
	s_sendmsg sendmsg(MSG_INTERRUPT)
	s_mov_b32 m0, ttmp2
.LBB135_941:                            ; =>This Inner Loop Header: Depth=1
	s_sethalt 5
	s_branch .LBB135_941
.LBB135_942:
	s_mov_b32 s8, -1
                                        ; implicit-def: $sgpr9
.LBB135_943:
	v_mov_b32_e32 v2, s9
	s_and_not1_b32 vcc_lo, exec_lo, s8
                                        ; implicit-def: $sgpr8
	s_cbranch_vccnz .LBB135_945
; %bb.944:
	v_add_f32_e64 v2, 0x46000000, |s1|
	s_mov_b32 s8, 0
	s_delay_alu instid0(VALU_DEP_1) | instskip(NEXT) | instid1(VALU_DEP_1)
	v_and_b32_e32 v2, 0xff, v2
	v_cmp_ne_u32_e64 s5, 0, v2
.LBB135_945:
	v_mov_b32_e32 v3, s8
	s_delay_alu instid0(VALU_DEP_2)
	s_and_not1_b32 vcc_lo, exec_lo, s5
	s_cbranch_vccnz .LBB135_947
; %bb.946:
	s_lshr_b32 s1, s1, 24
	s_delay_alu instid0(SALU_CYCLE_1) | instskip(NEXT) | instid1(SALU_CYCLE_1)
	s_and_b32 s1, s1, 0x80
	v_or_b32_e32 v3, s1, v2
.LBB135_947:
	global_store_b8 v[0:1], v3, off
.LBB135_948:
	s_mov_b32 s1, 0
.LBB135_949:
	s_delay_alu instid0(SALU_CYCLE_1)
	s_and_b32 vcc_lo, exec_lo, s1
	s_cbranch_vccz .LBB135_985
; %bb.950:
	v_cmp_lt_i16_e32 vcc_lo, 22, v5
	s_mov_b32 s1, -1
	s_cbranch_vccz .LBB135_978
; %bb.951:
	v_cmp_gt_i16_e32 vcc_lo, 24, v5
	s_cbranch_vccnz .LBB135_965
; %bb.952:
	v_cmp_lt_i16_e32 vcc_lo, 24, v5
	s_cbranch_vccz .LBB135_962
; %bb.953:
	s_lshl_b32 s1, s2, 24
	v_mov_b32_e32 v3, 0x80
	s_and_b32 s4, s1, 0x7f000000
	s_and_b32 s1, s1, 0x80000000
	s_clz_i32_u32 s5, s4
	s_add_i32 s8, s4, 0x1000000
	s_min_u32 s5, s5, 32
	s_ashr_i32 s8, s8, 8
	v_sub_nc_u32_e64 v2, s5, 4 clamp
	s_and_b32 s8, s8, 0x7f800000
	s_delay_alu instid0(VALU_DEP_1) | instskip(NEXT) | instid1(VALU_DEP_1)
	v_readfirstlane_b32 s5, v2
	s_lshl_b32 s9, s4, s5
	s_lshl_b32 s5, s5, 23
	s_lshr_b32 s9, s9, 4
	s_delay_alu instid0(SALU_CYCLE_1) | instskip(NEXT) | instid1(SALU_CYCLE_1)
	s_sub_i32 s5, s9, s5
	s_add_i32 s5, s5, 0x3c000000
	s_delay_alu instid0(SALU_CYCLE_1) | instskip(SKIP_2) | instid1(SALU_CYCLE_1)
	s_or_b32 s5, s5, s8
	s_cmp_lg_u32 s4, 0
	s_cselect_b32 s5, s5, 0
	s_or_b32 s4, s5, s1
	s_mov_b32 s1, 0
	s_and_b32 s8, s4, 0x7fffffff
	s_delay_alu instid0(SALU_CYCLE_1)
	s_cmp_gt_u32 s8, 0x477fffff
	s_cbranch_scc1 .LBB135_961
; %bb.954:
	s_cmp_gt_u32 s8, 0x37ffffff
	s_cbranch_scc0 .LBB135_956
; %bb.955:
	s_bfe_u32 s5, s5, 0x10015
	s_mov_b32 s8, 0
	s_add_i32 s5, s4, s5
	s_delay_alu instid0(SALU_CYCLE_1) | instskip(NEXT) | instid1(SALU_CYCLE_1)
	s_add_i32 s5, s5, 0x88fffff
	s_lshr_b32 s9, s5, 21
	s_mov_b32 s5, -1
	s_branch .LBB135_957
.LBB135_956:
	s_mov_b32 s8, -1
	s_mov_b32 s5, 0
                                        ; implicit-def: $sgpr9
.LBB135_957:
	v_mov_b32_e32 v2, s9
	s_and_not1_b32 vcc_lo, exec_lo, s8
                                        ; implicit-def: $sgpr8
	s_cbranch_vccnz .LBB135_959
; %bb.958:
	v_add_f32_e64 v2, 0x42800000, |s4|
	s_mov_b32 s8, 0
	s_delay_alu instid0(VALU_DEP_1) | instskip(NEXT) | instid1(VALU_DEP_1)
	v_and_b32_e32 v2, 0xff, v2
	v_cmp_ne_u32_e64 s5, 0, v2
.LBB135_959:
	v_mov_b32_e32 v3, s8
	s_delay_alu instid0(VALU_DEP_2)
	s_and_not1_b32 vcc_lo, exec_lo, s5
	s_cbranch_vccnz .LBB135_961
; %bb.960:
	s_lshr_b32 s4, s4, 24
	s_delay_alu instid0(SALU_CYCLE_1) | instskip(NEXT) | instid1(SALU_CYCLE_1)
	s_and_b32 s4, s4, 0x80
	v_or_b32_e32 v3, s4, v2
.LBB135_961:
	global_store_b8 v[0:1], v3, off
.LBB135_962:
	s_and_b32 vcc_lo, exec_lo, s1
	s_cbranch_vccz .LBB135_964
; %bb.963:
	v_mov_b32_e32 v2, s2
	global_store_b8 v[0:1], v2, off
.LBB135_964:
	s_mov_b32 s1, 0
.LBB135_965:
	s_delay_alu instid0(SALU_CYCLE_1)
	s_and_not1_b32 vcc_lo, exec_lo, s1
	s_cbranch_vccnz .LBB135_977
; %bb.966:
	s_lshl_b32 s1, s2, 24
	s_delay_alu instid0(SALU_CYCLE_1)
	s_and_b32 s4, s1, 0x7f000000
	s_and_b32 s1, s1, 0x80000000
	s_clz_i32_u32 s5, s4
	s_add_i32 s9, s4, 0x1000000
	s_min_u32 s5, s5, 32
	s_ashr_i32 s9, s9, 8
	v_sub_nc_u32_e64 v2, s5, 4 clamp
	s_delay_alu instid0(VALU_DEP_1) | instskip(NEXT) | instid1(VALU_DEP_1)
	v_readfirstlane_b32 s5, v2
	s_lshl_b32 s8, s4, s5
	s_lshl_b32 s5, s5, 23
	s_lshr_b32 s8, s8, 4
	s_delay_alu instid0(SALU_CYCLE_1) | instskip(SKIP_2) | instid1(SALU_CYCLE_1)
	s_sub_i32 s5, s8, s5
	s_and_b32 s8, s9, 0x7f800000
	s_add_i32 s5, s5, 0x3c000000
	s_or_b32 s5, s5, s8
	s_cmp_lg_u32 s4, 0
	s_cselect_b32 s5, s5, 0
	s_delay_alu instid0(SALU_CYCLE_1) | instskip(NEXT) | instid1(SALU_CYCLE_1)
	s_or_b32 s1, s5, s1
	s_and_b32 s4, s1, 0x7fffffff
	s_delay_alu instid0(SALU_CYCLE_1)
	s_cmp_lt_u32 s4, 0x47800000
	s_cbranch_scc0 .LBB135_969
; %bb.967:
	s_cmp_gt_u32 s4, 0x387fffff
	s_cbranch_scc0 .LBB135_970
; %bb.968:
	s_bfe_u32 s5, s5, 0x10015
	s_delay_alu instid0(SALU_CYCLE_1) | instskip(NEXT) | instid1(SALU_CYCLE_1)
	s_add_i32 s5, s1, s5
	s_add_i32 s5, s5, 0x80fffff
	s_delay_alu instid0(SALU_CYCLE_1)
	s_lshr_b32 s8, s5, 21
	s_mov_b32 s5, 0
	s_branch .LBB135_971
.LBB135_969:
	s_mov_b32 s5, -1
                                        ; implicit-def: $vgpr2
	s_branch .LBB135_974
.LBB135_970:
	s_mov_b32 s5, -1
                                        ; implicit-def: $sgpr8
.LBB135_971:
	v_mov_b32_e32 v2, s8
	s_and_not1_b32 vcc_lo, exec_lo, s5
	s_cbranch_vccnz .LBB135_973
; %bb.972:
	v_add_f32_e64 v2, 0x43000000, |s1|
.LBB135_973:
	s_mov_b32 s5, 0
.LBB135_974:
	s_delay_alu instid0(SALU_CYCLE_1)
	s_and_not1_b32 vcc_lo, exec_lo, s5
	s_cbranch_vccnz .LBB135_976
; %bb.975:
	s_cmp_gt_u32 s4, 0x7f800000
	s_movk_i32 s4, 0x7f
	s_delay_alu instid0(SALU_CYCLE_1) | instskip(NEXT) | instid1(SALU_CYCLE_1)
	s_cselect_b32 s4, s4, 0x7c
	v_mov_b32_e32 v2, s4
.LBB135_976:
	s_lshr_b32 s1, s1, 24
	s_delay_alu instid0(SALU_CYCLE_1)
	s_and_b32 s1, s1, 0x80
	s_delay_alu instid0(VALU_DEP_1) | instid1(SALU_CYCLE_1)
	v_or_b32_e32 v2, s1, v2
	global_store_b8 v[0:1], v2, off
.LBB135_977:
	s_mov_b32 s1, 0
.LBB135_978:
	s_delay_alu instid0(SALU_CYCLE_1)
	s_and_not1_b32 vcc_lo, exec_lo, s1
	s_mov_b32 s4, 0
	s_cbranch_vccnz .LBB135_985
; %bb.979:
	v_cmp_lt_i16_e32 vcc_lo, 14, v5
	s_mov_b32 s1, -1
	s_cbranch_vccz .LBB135_983
; %bb.980:
	v_cmp_eq_u16_e32 vcc_lo, 15, v5
	s_mov_b32 s0, -1
	s_cbranch_vccz .LBB135_982
; %bb.981:
	s_lshl_b32 s0, s2, 24
	s_delay_alu instid0(SALU_CYCLE_1)
	s_and_b32 s1, s0, 0x7f000000
	s_and_b32 s0, s0, 0x80000000
	s_clz_i32_u32 s4, s1
	s_add_i32 s5, s1, 0x1000000
	s_min_u32 s4, s4, 32
	s_ashr_i32 s5, s5, 8
	v_sub_nc_u32_e64 v2, s4, 4 clamp
	s_and_b32 s5, s5, 0x7f800000
	s_delay_alu instid0(VALU_DEP_1) | instskip(NEXT) | instid1(VALU_DEP_1)
	v_readfirstlane_b32 s4, v2
	s_lshl_b32 s8, s1, s4
	s_lshl_b32 s4, s4, 23
	s_lshr_b32 s8, s8, 4
	s_delay_alu instid0(SALU_CYCLE_1) | instskip(NEXT) | instid1(SALU_CYCLE_1)
	s_sub_i32 s4, s8, s4
	s_add_i32 s4, s4, 0x3c000000
	s_delay_alu instid0(SALU_CYCLE_1) | instskip(SKIP_2) | instid1(SALU_CYCLE_1)
	s_or_b32 s4, s4, s5
	s_cmp_lg_u32 s1, 0
	s_cselect_b32 s1, s4, 0
	s_or_b32 s0, s1, s0
	s_bfe_u32 s1, s1, 0x10010
	s_delay_alu instid0(SALU_CYCLE_1) | instskip(SKIP_2) | instid1(SALU_CYCLE_1)
	s_add_i32 s1, s0, s1
	v_cmp_o_f32_e64 s0, s0, s0
	s_addk_i32 s1, 0x7fff
	s_lshr_b32 s1, s1, 16
	s_delay_alu instid0(VALU_DEP_1) | instskip(SKIP_1) | instid1(SALU_CYCLE_1)
	s_and_b32 s0, s0, exec_lo
	s_cselect_b32 s0, s1, 0x7fc0
	v_mov_b32_e32 v2, s0
	s_mov_b32 s0, 0
	global_store_b16 v[0:1], v2, off
.LBB135_982:
	s_mov_b32 s1, 0
.LBB135_983:
	s_delay_alu instid0(SALU_CYCLE_1)
	s_and_b32 vcc_lo, exec_lo, s1
	s_mov_b32 s4, 0
	s_cbranch_vccz .LBB135_985
; %bb.984:
	v_cmp_ne_u16_e64 s0, 11, v5
	s_mov_b32 s4, -1
.LBB135_985:
	s_delay_alu instid0(VALU_DEP_1)
	s_and_b32 vcc_lo, exec_lo, s0
	s_cbranch_vccnz .LBB135_987
.LBB135_986:
	s_mov_b32 s0, 0
	s_branch .LBB135_894
.LBB135_987:
	s_cbranch_execnz .LBB135_989
; %bb.988:
	s_mov_b32 s4, 0
	s_or_b32 s3, s3, exec_lo
	s_branch .LBB135_986
.LBB135_989:
	s_trap 2
	s_sendmsg_rtn_b32 s0, sendmsg(MSG_RTN_GET_DOORBELL)
	s_mov_b32 ttmp2, m0
	s_waitcnt lgkmcnt(0)
	s_and_b32 s0, s0, 0x3ff
	s_delay_alu instid0(SALU_CYCLE_1) | instskip(NEXT) | instid1(SALU_CYCLE_1)
	s_bitset1_b32 s0, 10
	s_mov_b32 m0, s0
	s_sendmsg sendmsg(MSG_INTERRUPT)
	s_mov_b32 m0, ttmp2
.LBB135_990:                            ; =>This Inner Loop Header: Depth=1
	s_sethalt 5
	s_branch .LBB135_990
	.section	.rodata,"a",@progbits
	.p2align	6, 0x0
	.amdhsa_kernel _ZN2at6native32elementwise_kernel_manual_unrollILi128ELi4EZNS0_15gpu_kernel_implINS0_11FillFunctorIN3c1013Float8_e4m3fnEEEEEvRNS_18TensorIteratorBaseERKT_EUlibE0_EEviT1_
		.amdhsa_group_segment_fixed_size 0
		.amdhsa_private_segment_fixed_size 0
		.amdhsa_kernarg_size 288
		.amdhsa_user_sgpr_count 15
		.amdhsa_user_sgpr_dispatch_ptr 0
		.amdhsa_user_sgpr_queue_ptr 0
		.amdhsa_user_sgpr_kernarg_segment_ptr 1
		.amdhsa_user_sgpr_dispatch_id 0
		.amdhsa_user_sgpr_private_segment_size 0
		.amdhsa_wavefront_size32 1
		.amdhsa_uses_dynamic_stack 0
		.amdhsa_enable_private_segment 0
		.amdhsa_system_sgpr_workgroup_id_x 1
		.amdhsa_system_sgpr_workgroup_id_y 0
		.amdhsa_system_sgpr_workgroup_id_z 0
		.amdhsa_system_sgpr_workgroup_info 0
		.amdhsa_system_vgpr_workitem_id 0
		.amdhsa_next_free_vgpr 25
		.amdhsa_next_free_sgpr 72
		.amdhsa_reserve_vcc 1
		.amdhsa_float_round_mode_32 0
		.amdhsa_float_round_mode_16_64 0
		.amdhsa_float_denorm_mode_32 3
		.amdhsa_float_denorm_mode_16_64 3
		.amdhsa_dx10_clamp 1
		.amdhsa_ieee_mode 1
		.amdhsa_fp16_overflow 0
		.amdhsa_workgroup_processor_mode 1
		.amdhsa_memory_ordered 1
		.amdhsa_forward_progress 0
		.amdhsa_shared_vgpr_count 0
		.amdhsa_exception_fp_ieee_invalid_op 0
		.amdhsa_exception_fp_denorm_src 0
		.amdhsa_exception_fp_ieee_div_zero 0
		.amdhsa_exception_fp_ieee_overflow 0
		.amdhsa_exception_fp_ieee_underflow 0
		.amdhsa_exception_fp_ieee_inexact 0
		.amdhsa_exception_int_div_zero 0
	.end_amdhsa_kernel
	.section	.text._ZN2at6native32elementwise_kernel_manual_unrollILi128ELi4EZNS0_15gpu_kernel_implINS0_11FillFunctorIN3c1013Float8_e4m3fnEEEEEvRNS_18TensorIteratorBaseERKT_EUlibE0_EEviT1_,"axG",@progbits,_ZN2at6native32elementwise_kernel_manual_unrollILi128ELi4EZNS0_15gpu_kernel_implINS0_11FillFunctorIN3c1013Float8_e4m3fnEEEEEvRNS_18TensorIteratorBaseERKT_EUlibE0_EEviT1_,comdat
.Lfunc_end135:
	.size	_ZN2at6native32elementwise_kernel_manual_unrollILi128ELi4EZNS0_15gpu_kernel_implINS0_11FillFunctorIN3c1013Float8_e4m3fnEEEEEvRNS_18TensorIteratorBaseERKT_EUlibE0_EEviT1_, .Lfunc_end135-_ZN2at6native32elementwise_kernel_manual_unrollILi128ELi4EZNS0_15gpu_kernel_implINS0_11FillFunctorIN3c1013Float8_e4m3fnEEEEEvRNS_18TensorIteratorBaseERKT_EUlibE0_EEviT1_
                                        ; -- End function
	.section	.AMDGPU.csdata,"",@progbits
; Kernel info:
; codeLenInByte = 28336
; NumSgprs: 74
; NumVgprs: 25
; ScratchSize: 0
; MemoryBound: 0
; FloatMode: 240
; IeeeMode: 1
; LDSByteSize: 0 bytes/workgroup (compile time only)
; SGPRBlocks: 9
; VGPRBlocks: 3
; NumSGPRsForWavesPerEU: 74
; NumVGPRsForWavesPerEU: 25
; Occupancy: 16
; WaveLimiterHint : 1
; COMPUTE_PGM_RSRC2:SCRATCH_EN: 0
; COMPUTE_PGM_RSRC2:USER_SGPR: 15
; COMPUTE_PGM_RSRC2:TRAP_HANDLER: 0
; COMPUTE_PGM_RSRC2:TGID_X_EN: 1
; COMPUTE_PGM_RSRC2:TGID_Y_EN: 0
; COMPUTE_PGM_RSRC2:TGID_Z_EN: 0
; COMPUTE_PGM_RSRC2:TIDIG_COMP_CNT: 0
	.section	.text._ZN2at6native29vectorized_elementwise_kernelILi16ENS0_11FillFunctorIN3c1015Float8_e4m3fnuzEEESt5arrayIPcLm1EEEEviT0_T1_,"axG",@progbits,_ZN2at6native29vectorized_elementwise_kernelILi16ENS0_11FillFunctorIN3c1015Float8_e4m3fnuzEEESt5arrayIPcLm1EEEEviT0_T1_,comdat
	.protected	_ZN2at6native29vectorized_elementwise_kernelILi16ENS0_11FillFunctorIN3c1015Float8_e4m3fnuzEEESt5arrayIPcLm1EEEEviT0_T1_ ; -- Begin function _ZN2at6native29vectorized_elementwise_kernelILi16ENS0_11FillFunctorIN3c1015Float8_e4m3fnuzEEESt5arrayIPcLm1EEEEviT0_T1_
	.globl	_ZN2at6native29vectorized_elementwise_kernelILi16ENS0_11FillFunctorIN3c1015Float8_e4m3fnuzEEESt5arrayIPcLm1EEEEviT0_T1_
	.p2align	8
	.type	_ZN2at6native29vectorized_elementwise_kernelILi16ENS0_11FillFunctorIN3c1015Float8_e4m3fnuzEEESt5arrayIPcLm1EEEEviT0_T1_,@function
_ZN2at6native29vectorized_elementwise_kernelILi16ENS0_11FillFunctorIN3c1015Float8_e4m3fnuzEEESt5arrayIPcLm1EEEEviT0_T1_: ; @_ZN2at6native29vectorized_elementwise_kernelILi16ENS0_11FillFunctorIN3c1015Float8_e4m3fnuzEEESt5arrayIPcLm1EEEEviT0_T1_
; %bb.0:
	s_load_b128 s[0:3], s[0:1], 0x0
	s_lshl_b32 s4, s15, 12
	s_waitcnt lgkmcnt(0)
	s_sub_i32 s0, s0, s4
	s_delay_alu instid0(SALU_CYCLE_1)
	s_cmpk_gt_i32 s0, 0xfff
	s_cbranch_scc0 .LBB136_4
; %bb.1:
	v_lshlrev_b16 v1, 8, s1
	v_and_b32_e64 v2, 0xff, s1
	v_dual_mov_b32 v8, s1 :: v_dual_lshlrev_b32 v7, 4, v0
	s_ashr_i32 s5, s4, 31
	s_add_u32 s8, s2, s4
	s_delay_alu instid0(VALU_DEP_2) | instskip(SKIP_1) | instid1(VALU_DEP_1)
	v_or_b32_e32 v6, v2, v1
	s_addc_u32 s9, s3, s5
	v_and_b32_e32 v1, 0xffff, v6
	v_lshlrev_b32_e32 v2, 16, v6
	s_delay_alu instid0(VALU_DEP_1) | instskip(SKIP_1) | instid1(VALU_DEP_1)
	v_or_b32_e32 v3, v1, v2
	v_add_co_u32 v1, s5, s8, v7
	v_add_co_ci_u32_e64 v2, null, s9, 0, s5
	s_delay_alu instid0(VALU_DEP_3) | instskip(SKIP_1) | instid1(VALU_DEP_4)
	v_mov_b32_e32 v5, v3
	v_mov_b32_e32 v4, v3
	v_add_co_u32 v1, vcc_lo, v1, 15
	s_delay_alu instid0(VALU_DEP_4)
	v_add_co_ci_u32_e32 v2, vcc_lo, 0, v2, vcc_lo
	s_mov_b32 s5, -1
	s_clause 0x2
	global_store_b8 v7, v8, s[8:9] offset:14
	global_store_b16 v7, v6, s[8:9] offset:12
	global_store_b96 v7, v[3:5], s[8:9]
	s_cbranch_execz .LBB136_5
; %bb.2:
	s_and_saveexec_b32 s0, s5
	s_cbranch_execz .LBB136_24
.LBB136_3:
	v_mov_b32_e32 v0, s1
	global_store_b8 v[1:2], v0, off
	s_nop 0
	s_sendmsg sendmsg(MSG_DEALLOC_VGPRS)
	s_endpgm
.LBB136_4:
	s_mov_b32 s5, 0
                                        ; implicit-def: $vgpr1_vgpr2
.LBB136_5:
	s_mov_b32 s6, exec_lo
	v_cmpx_gt_i32_e64 s0, v0
	s_cbranch_execz .LBB136_25
; %bb.6:
	v_or_b32_e32 v1, 0x100, v0
	v_or_b32_e32 v2, s4, v0
	s_delay_alu instid0(VALU_DEP_2) | instskip(SKIP_2) | instid1(SALU_CYCLE_1)
	v_dual_mov_b32 v3, s1 :: v_dual_mov_b32 v0, v1
	global_store_b8 v2, v3, s[2:3]
	s_or_b32 exec_lo, exec_lo, s6
	s_mov_b32 s6, exec_lo
	v_cmpx_gt_i32_e64 s0, v0
	s_cbranch_execnz .LBB136_26
.LBB136_7:
	s_or_b32 exec_lo, exec_lo, s6
	s_delay_alu instid0(SALU_CYCLE_1)
	s_mov_b32 s6, exec_lo
	v_cmpx_gt_i32_e64 s0, v0
	s_cbranch_execz .LBB136_27
.LBB136_8:
	v_dual_mov_b32 v2, s1 :: v_dual_add_nc_u32 v1, s4, v0
	v_add_nc_u32_e32 v0, 0x100, v0
	global_store_b8 v1, v2, s[2:3]
	s_or_b32 exec_lo, exec_lo, s6
	s_delay_alu instid0(SALU_CYCLE_1)
	s_mov_b32 s6, exec_lo
	v_cmpx_gt_i32_e64 s0, v0
	s_cbranch_execnz .LBB136_28
.LBB136_9:
	s_or_b32 exec_lo, exec_lo, s6
	s_delay_alu instid0(SALU_CYCLE_1)
	s_mov_b32 s6, exec_lo
	v_cmpx_gt_i32_e64 s0, v0
	s_cbranch_execz .LBB136_29
.LBB136_10:
	v_dual_mov_b32 v2, s1 :: v_dual_add_nc_u32 v1, s4, v0
	v_add_nc_u32_e32 v0, 0x100, v0
	global_store_b8 v1, v2, s[2:3]
	s_or_b32 exec_lo, exec_lo, s6
	s_delay_alu instid0(SALU_CYCLE_1)
	s_mov_b32 s6, exec_lo
	v_cmpx_gt_i32_e64 s0, v0
	s_cbranch_execnz .LBB136_30
.LBB136_11:
	s_or_b32 exec_lo, exec_lo, s6
	s_delay_alu instid0(SALU_CYCLE_1)
	s_mov_b32 s6, exec_lo
	v_cmpx_gt_i32_e64 s0, v0
	s_cbranch_execz .LBB136_31
.LBB136_12:
	v_dual_mov_b32 v2, s1 :: v_dual_add_nc_u32 v1, s4, v0
	v_add_nc_u32_e32 v0, 0x100, v0
	global_store_b8 v1, v2, s[2:3]
	s_or_b32 exec_lo, exec_lo, s6
	s_delay_alu instid0(SALU_CYCLE_1)
	s_mov_b32 s6, exec_lo
	v_cmpx_gt_i32_e64 s0, v0
	s_cbranch_execnz .LBB136_32
.LBB136_13:
	s_or_b32 exec_lo, exec_lo, s6
	s_delay_alu instid0(SALU_CYCLE_1)
	s_mov_b32 s6, exec_lo
	v_cmpx_gt_i32_e64 s0, v0
	s_cbranch_execz .LBB136_33
.LBB136_14:
	v_dual_mov_b32 v2, s1 :: v_dual_add_nc_u32 v1, s4, v0
	v_add_nc_u32_e32 v0, 0x100, v0
	global_store_b8 v1, v2, s[2:3]
	s_or_b32 exec_lo, exec_lo, s6
	s_delay_alu instid0(SALU_CYCLE_1)
	s_mov_b32 s6, exec_lo
	v_cmpx_gt_i32_e64 s0, v0
	s_cbranch_execnz .LBB136_34
.LBB136_15:
	s_or_b32 exec_lo, exec_lo, s6
	s_delay_alu instid0(SALU_CYCLE_1)
	s_mov_b32 s6, exec_lo
	v_cmpx_gt_i32_e64 s0, v0
	s_cbranch_execz .LBB136_35
.LBB136_16:
	v_dual_mov_b32 v2, s1 :: v_dual_add_nc_u32 v1, s4, v0
	v_add_nc_u32_e32 v0, 0x100, v0
	global_store_b8 v1, v2, s[2:3]
	s_or_b32 exec_lo, exec_lo, s6
	s_delay_alu instid0(SALU_CYCLE_1)
	s_mov_b32 s6, exec_lo
	v_cmpx_gt_i32_e64 s0, v0
	s_cbranch_execnz .LBB136_36
.LBB136_17:
	s_or_b32 exec_lo, exec_lo, s6
	s_delay_alu instid0(SALU_CYCLE_1)
	s_mov_b32 s6, exec_lo
	v_cmpx_gt_i32_e64 s0, v0
	s_cbranch_execz .LBB136_37
.LBB136_18:
	v_dual_mov_b32 v2, s1 :: v_dual_add_nc_u32 v1, s4, v0
	v_add_nc_u32_e32 v0, 0x100, v0
	global_store_b8 v1, v2, s[2:3]
	s_or_b32 exec_lo, exec_lo, s6
	s_delay_alu instid0(SALU_CYCLE_1)
	s_mov_b32 s6, exec_lo
	v_cmpx_gt_i32_e64 s0, v0
	s_cbranch_execnz .LBB136_38
.LBB136_19:
	s_or_b32 exec_lo, exec_lo, s6
	s_delay_alu instid0(SALU_CYCLE_1)
	s_mov_b32 s6, exec_lo
	v_cmpx_gt_i32_e64 s0, v0
	s_cbranch_execz .LBB136_21
.LBB136_20:
	v_dual_mov_b32 v2, s1 :: v_dual_add_nc_u32 v1, s4, v0
	v_add_nc_u32_e32 v0, 0x100, v0
	global_store_b8 v1, v2, s[2:3]
.LBB136_21:
	s_or_b32 exec_lo, exec_lo, s6
	v_cmp_gt_i32_e32 vcc_lo, s0, v0
                                        ; implicit-def: $vgpr1_vgpr2
	s_and_saveexec_b32 s0, vcc_lo
; %bb.22:
	v_add_nc_u32_e32 v0, s4, v0
	s_or_b32 s5, s5, exec_lo
	s_delay_alu instid0(VALU_DEP_1) | instskip(NEXT) | instid1(VALU_DEP_1)
	v_add_co_u32 v1, s2, s2, v0
	v_add_co_ci_u32_e64 v2, null, s3, 0, s2
; %bb.23:
	s_or_b32 exec_lo, exec_lo, s0
	s_and_saveexec_b32 s0, s5
	s_cbranch_execnz .LBB136_3
.LBB136_24:
	s_nop 0
	s_sendmsg sendmsg(MSG_DEALLOC_VGPRS)
	s_endpgm
.LBB136_25:
	s_or_b32 exec_lo, exec_lo, s6
	s_delay_alu instid0(SALU_CYCLE_1)
	s_mov_b32 s6, exec_lo
	v_cmpx_gt_i32_e64 s0, v0
	s_cbranch_execz .LBB136_7
.LBB136_26:
	v_dual_mov_b32 v2, s1 :: v_dual_add_nc_u32 v1, s4, v0
	v_add_nc_u32_e32 v0, 0x100, v0
	global_store_b8 v1, v2, s[2:3]
	s_or_b32 exec_lo, exec_lo, s6
	s_delay_alu instid0(SALU_CYCLE_1)
	s_mov_b32 s6, exec_lo
	v_cmpx_gt_i32_e64 s0, v0
	s_cbranch_execnz .LBB136_8
.LBB136_27:
	s_or_b32 exec_lo, exec_lo, s6
	s_delay_alu instid0(SALU_CYCLE_1)
	s_mov_b32 s6, exec_lo
	v_cmpx_gt_i32_e64 s0, v0
	s_cbranch_execz .LBB136_9
.LBB136_28:
	v_dual_mov_b32 v2, s1 :: v_dual_add_nc_u32 v1, s4, v0
	v_add_nc_u32_e32 v0, 0x100, v0
	global_store_b8 v1, v2, s[2:3]
	s_or_b32 exec_lo, exec_lo, s6
	s_delay_alu instid0(SALU_CYCLE_1)
	s_mov_b32 s6, exec_lo
	v_cmpx_gt_i32_e64 s0, v0
	s_cbranch_execnz .LBB136_10
.LBB136_29:
	s_or_b32 exec_lo, exec_lo, s6
	s_delay_alu instid0(SALU_CYCLE_1)
	s_mov_b32 s6, exec_lo
	v_cmpx_gt_i32_e64 s0, v0
	s_cbranch_execz .LBB136_11
.LBB136_30:
	v_dual_mov_b32 v2, s1 :: v_dual_add_nc_u32 v1, s4, v0
	v_add_nc_u32_e32 v0, 0x100, v0
	global_store_b8 v1, v2, s[2:3]
	s_or_b32 exec_lo, exec_lo, s6
	s_delay_alu instid0(SALU_CYCLE_1)
	s_mov_b32 s6, exec_lo
	v_cmpx_gt_i32_e64 s0, v0
	s_cbranch_execnz .LBB136_12
.LBB136_31:
	s_or_b32 exec_lo, exec_lo, s6
	s_delay_alu instid0(SALU_CYCLE_1)
	s_mov_b32 s6, exec_lo
	v_cmpx_gt_i32_e64 s0, v0
	s_cbranch_execz .LBB136_13
.LBB136_32:
	v_dual_mov_b32 v2, s1 :: v_dual_add_nc_u32 v1, s4, v0
	v_add_nc_u32_e32 v0, 0x100, v0
	global_store_b8 v1, v2, s[2:3]
	s_or_b32 exec_lo, exec_lo, s6
	s_delay_alu instid0(SALU_CYCLE_1)
	s_mov_b32 s6, exec_lo
	v_cmpx_gt_i32_e64 s0, v0
	s_cbranch_execnz .LBB136_14
.LBB136_33:
	s_or_b32 exec_lo, exec_lo, s6
	s_delay_alu instid0(SALU_CYCLE_1)
	s_mov_b32 s6, exec_lo
	v_cmpx_gt_i32_e64 s0, v0
	s_cbranch_execz .LBB136_15
.LBB136_34:
	v_dual_mov_b32 v2, s1 :: v_dual_add_nc_u32 v1, s4, v0
	v_add_nc_u32_e32 v0, 0x100, v0
	global_store_b8 v1, v2, s[2:3]
	s_or_b32 exec_lo, exec_lo, s6
	s_delay_alu instid0(SALU_CYCLE_1)
	s_mov_b32 s6, exec_lo
	v_cmpx_gt_i32_e64 s0, v0
	s_cbranch_execnz .LBB136_16
.LBB136_35:
	s_or_b32 exec_lo, exec_lo, s6
	s_delay_alu instid0(SALU_CYCLE_1)
	s_mov_b32 s6, exec_lo
	v_cmpx_gt_i32_e64 s0, v0
	s_cbranch_execz .LBB136_17
.LBB136_36:
	v_dual_mov_b32 v2, s1 :: v_dual_add_nc_u32 v1, s4, v0
	v_add_nc_u32_e32 v0, 0x100, v0
	global_store_b8 v1, v2, s[2:3]
	s_or_b32 exec_lo, exec_lo, s6
	s_delay_alu instid0(SALU_CYCLE_1)
	s_mov_b32 s6, exec_lo
	v_cmpx_gt_i32_e64 s0, v0
	s_cbranch_execnz .LBB136_18
.LBB136_37:
	s_or_b32 exec_lo, exec_lo, s6
	s_delay_alu instid0(SALU_CYCLE_1)
	s_mov_b32 s6, exec_lo
	v_cmpx_gt_i32_e64 s0, v0
	s_cbranch_execz .LBB136_19
.LBB136_38:
	v_dual_mov_b32 v2, s1 :: v_dual_add_nc_u32 v1, s4, v0
	v_add_nc_u32_e32 v0, 0x100, v0
	global_store_b8 v1, v2, s[2:3]
	s_or_b32 exec_lo, exec_lo, s6
	s_delay_alu instid0(SALU_CYCLE_1)
	s_mov_b32 s6, exec_lo
	v_cmpx_gt_i32_e64 s0, v0
	s_cbranch_execz .LBB136_21
	s_branch .LBB136_20
	.section	.rodata,"a",@progbits
	.p2align	6, 0x0
	.amdhsa_kernel _ZN2at6native29vectorized_elementwise_kernelILi16ENS0_11FillFunctorIN3c1015Float8_e4m3fnuzEEESt5arrayIPcLm1EEEEviT0_T1_
		.amdhsa_group_segment_fixed_size 0
		.amdhsa_private_segment_fixed_size 0
		.amdhsa_kernarg_size 16
		.amdhsa_user_sgpr_count 15
		.amdhsa_user_sgpr_dispatch_ptr 0
		.amdhsa_user_sgpr_queue_ptr 0
		.amdhsa_user_sgpr_kernarg_segment_ptr 1
		.amdhsa_user_sgpr_dispatch_id 0
		.amdhsa_user_sgpr_private_segment_size 0
		.amdhsa_wavefront_size32 1
		.amdhsa_uses_dynamic_stack 0
		.amdhsa_enable_private_segment 0
		.amdhsa_system_sgpr_workgroup_id_x 1
		.amdhsa_system_sgpr_workgroup_id_y 0
		.amdhsa_system_sgpr_workgroup_id_z 0
		.amdhsa_system_sgpr_workgroup_info 0
		.amdhsa_system_vgpr_workitem_id 0
		.amdhsa_next_free_vgpr 9
		.amdhsa_next_free_sgpr 16
		.amdhsa_reserve_vcc 1
		.amdhsa_float_round_mode_32 0
		.amdhsa_float_round_mode_16_64 0
		.amdhsa_float_denorm_mode_32 3
		.amdhsa_float_denorm_mode_16_64 3
		.amdhsa_dx10_clamp 1
		.amdhsa_ieee_mode 1
		.amdhsa_fp16_overflow 0
		.amdhsa_workgroup_processor_mode 1
		.amdhsa_memory_ordered 1
		.amdhsa_forward_progress 0
		.amdhsa_shared_vgpr_count 0
		.amdhsa_exception_fp_ieee_invalid_op 0
		.amdhsa_exception_fp_denorm_src 0
		.amdhsa_exception_fp_ieee_div_zero 0
		.amdhsa_exception_fp_ieee_overflow 0
		.amdhsa_exception_fp_ieee_underflow 0
		.amdhsa_exception_fp_ieee_inexact 0
		.amdhsa_exception_int_div_zero 0
	.end_amdhsa_kernel
	.section	.text._ZN2at6native29vectorized_elementwise_kernelILi16ENS0_11FillFunctorIN3c1015Float8_e4m3fnuzEEESt5arrayIPcLm1EEEEviT0_T1_,"axG",@progbits,_ZN2at6native29vectorized_elementwise_kernelILi16ENS0_11FillFunctorIN3c1015Float8_e4m3fnuzEEESt5arrayIPcLm1EEEEviT0_T1_,comdat
.Lfunc_end136:
	.size	_ZN2at6native29vectorized_elementwise_kernelILi16ENS0_11FillFunctorIN3c1015Float8_e4m3fnuzEEESt5arrayIPcLm1EEEEviT0_T1_, .Lfunc_end136-_ZN2at6native29vectorized_elementwise_kernelILi16ENS0_11FillFunctorIN3c1015Float8_e4m3fnuzEEESt5arrayIPcLm1EEEEviT0_T1_
                                        ; -- End function
	.section	.AMDGPU.csdata,"",@progbits
; Kernel info:
; codeLenInByte = 1336
; NumSgprs: 18
; NumVgprs: 9
; ScratchSize: 0
; MemoryBound: 0
; FloatMode: 240
; IeeeMode: 1
; LDSByteSize: 0 bytes/workgroup (compile time only)
; SGPRBlocks: 2
; VGPRBlocks: 1
; NumSGPRsForWavesPerEU: 18
; NumVGPRsForWavesPerEU: 9
; Occupancy: 16
; WaveLimiterHint : 0
; COMPUTE_PGM_RSRC2:SCRATCH_EN: 0
; COMPUTE_PGM_RSRC2:USER_SGPR: 15
; COMPUTE_PGM_RSRC2:TRAP_HANDLER: 0
; COMPUTE_PGM_RSRC2:TGID_X_EN: 1
; COMPUTE_PGM_RSRC2:TGID_Y_EN: 0
; COMPUTE_PGM_RSRC2:TGID_Z_EN: 0
; COMPUTE_PGM_RSRC2:TIDIG_COMP_CNT: 0
	.section	.text._ZN2at6native29vectorized_elementwise_kernelILi8ENS0_11FillFunctorIN3c1015Float8_e4m3fnuzEEESt5arrayIPcLm1EEEEviT0_T1_,"axG",@progbits,_ZN2at6native29vectorized_elementwise_kernelILi8ENS0_11FillFunctorIN3c1015Float8_e4m3fnuzEEESt5arrayIPcLm1EEEEviT0_T1_,comdat
	.protected	_ZN2at6native29vectorized_elementwise_kernelILi8ENS0_11FillFunctorIN3c1015Float8_e4m3fnuzEEESt5arrayIPcLm1EEEEviT0_T1_ ; -- Begin function _ZN2at6native29vectorized_elementwise_kernelILi8ENS0_11FillFunctorIN3c1015Float8_e4m3fnuzEEESt5arrayIPcLm1EEEEviT0_T1_
	.globl	_ZN2at6native29vectorized_elementwise_kernelILi8ENS0_11FillFunctorIN3c1015Float8_e4m3fnuzEEESt5arrayIPcLm1EEEEviT0_T1_
	.p2align	8
	.type	_ZN2at6native29vectorized_elementwise_kernelILi8ENS0_11FillFunctorIN3c1015Float8_e4m3fnuzEEESt5arrayIPcLm1EEEEviT0_T1_,@function
_ZN2at6native29vectorized_elementwise_kernelILi8ENS0_11FillFunctorIN3c1015Float8_e4m3fnuzEEESt5arrayIPcLm1EEEEviT0_T1_: ; @_ZN2at6native29vectorized_elementwise_kernelILi8ENS0_11FillFunctorIN3c1015Float8_e4m3fnuzEEESt5arrayIPcLm1EEEEviT0_T1_
; %bb.0:
	s_load_b128 s[0:3], s[0:1], 0x0
	s_lshl_b32 s4, s15, 12
	s_mov_b32 s5, -1
	s_waitcnt lgkmcnt(0)
	s_sub_i32 s0, s0, s4
	s_delay_alu instid0(SALU_CYCLE_1)
	s_cmpk_gt_i32 s0, 0xfff
	s_cbranch_scc0 .LBB137_2
; %bb.1:
	s_ashr_i32 s5, s4, 31
	s_add_u32 s6, s2, s4
	s_addc_u32 s7, s3, s5
	s_and_b32 s5, s1, 0xff
	s_delay_alu instid0(SALU_CYCLE_1)
	s_mul_i32 s8, s5, 0x1010101
	s_mov_b32 s5, 0
	s_mov_b32 s9, s8
	v_mov_b32_e32 v1, s8
	v_dual_mov_b32 v2, s9 :: v_dual_lshlrev_b32 v3, 3, v0
	s_clause 0x1
	global_store_b64 v3, v[1:2], s[6:7]
	global_store_b64 v3, v[1:2], s[6:7] offset:2048
.LBB137_2:
	s_and_not1_b32 vcc_lo, exec_lo, s5
	s_cbranch_vccnz .LBB137_20
; %bb.3:
	s_mov_b32 s5, exec_lo
	v_cmpx_gt_i32_e64 s0, v0
	s_cbranch_execnz .LBB137_21
; %bb.4:
	s_or_b32 exec_lo, exec_lo, s5
	s_delay_alu instid0(SALU_CYCLE_1)
	s_mov_b32 s5, exec_lo
	v_cmpx_gt_i32_e64 s0, v0
	s_cbranch_execnz .LBB137_22
.LBB137_5:
	s_or_b32 exec_lo, exec_lo, s5
	s_delay_alu instid0(SALU_CYCLE_1)
	s_mov_b32 s5, exec_lo
	v_cmpx_gt_i32_e64 s0, v0
	s_cbranch_execnz .LBB137_23
.LBB137_6:
	s_or_b32 exec_lo, exec_lo, s5
	s_delay_alu instid0(SALU_CYCLE_1)
	s_mov_b32 s5, exec_lo
	v_cmpx_gt_i32_e64 s0, v0
	s_cbranch_execnz .LBB137_24
.LBB137_7:
	s_or_b32 exec_lo, exec_lo, s5
	s_delay_alu instid0(SALU_CYCLE_1)
	s_mov_b32 s5, exec_lo
	v_cmpx_gt_i32_e64 s0, v0
	s_cbranch_execnz .LBB137_25
.LBB137_8:
	s_or_b32 exec_lo, exec_lo, s5
	s_delay_alu instid0(SALU_CYCLE_1)
	s_mov_b32 s5, exec_lo
	v_cmpx_gt_i32_e64 s0, v0
	s_cbranch_execnz .LBB137_26
.LBB137_9:
	s_or_b32 exec_lo, exec_lo, s5
	s_delay_alu instid0(SALU_CYCLE_1)
	s_mov_b32 s5, exec_lo
	v_cmpx_gt_i32_e64 s0, v0
	s_cbranch_execnz .LBB137_27
.LBB137_10:
	s_or_b32 exec_lo, exec_lo, s5
	s_delay_alu instid0(SALU_CYCLE_1)
	s_mov_b32 s5, exec_lo
	v_cmpx_gt_i32_e64 s0, v0
	s_cbranch_execnz .LBB137_28
.LBB137_11:
	s_or_b32 exec_lo, exec_lo, s5
	s_delay_alu instid0(SALU_CYCLE_1)
	s_mov_b32 s5, exec_lo
	v_cmpx_gt_i32_e64 s0, v0
	s_cbranch_execnz .LBB137_29
.LBB137_12:
	s_or_b32 exec_lo, exec_lo, s5
	s_delay_alu instid0(SALU_CYCLE_1)
	s_mov_b32 s5, exec_lo
	v_cmpx_gt_i32_e64 s0, v0
	s_cbranch_execnz .LBB137_30
.LBB137_13:
	s_or_b32 exec_lo, exec_lo, s5
	s_delay_alu instid0(SALU_CYCLE_1)
	s_mov_b32 s5, exec_lo
	v_cmpx_gt_i32_e64 s0, v0
	s_cbranch_execnz .LBB137_31
.LBB137_14:
	s_or_b32 exec_lo, exec_lo, s5
	s_delay_alu instid0(SALU_CYCLE_1)
	s_mov_b32 s5, exec_lo
	v_cmpx_gt_i32_e64 s0, v0
	s_cbranch_execnz .LBB137_32
.LBB137_15:
	s_or_b32 exec_lo, exec_lo, s5
	s_delay_alu instid0(SALU_CYCLE_1)
	s_mov_b32 s5, exec_lo
	v_cmpx_gt_i32_e64 s0, v0
	s_cbranch_execnz .LBB137_33
.LBB137_16:
	s_or_b32 exec_lo, exec_lo, s5
	s_delay_alu instid0(SALU_CYCLE_1)
	s_mov_b32 s5, exec_lo
	v_cmpx_gt_i32_e64 s0, v0
	s_cbranch_execnz .LBB137_34
.LBB137_17:
	s_or_b32 exec_lo, exec_lo, s5
	s_delay_alu instid0(SALU_CYCLE_1)
	s_mov_b32 s5, exec_lo
	v_cmpx_gt_i32_e64 s0, v0
	s_cbranch_execnz .LBB137_35
.LBB137_18:
	s_or_b32 exec_lo, exec_lo, s5
	v_cmp_gt_i32_e32 vcc_lo, s0, v0
	s_and_saveexec_b32 s0, vcc_lo
	s_cbranch_execz .LBB137_20
.LBB137_19:
	v_dual_mov_b32 v1, s1 :: v_dual_add_nc_u32 v0, s4, v0
	global_store_b8 v0, v1, s[2:3]
.LBB137_20:
	s_nop 0
	s_sendmsg sendmsg(MSG_DEALLOC_VGPRS)
	s_endpgm
.LBB137_21:
	v_or_b32_e32 v1, 0x100, v0
	v_or_b32_e32 v2, s4, v0
	s_delay_alu instid0(VALU_DEP_2) | instskip(SKIP_2) | instid1(SALU_CYCLE_1)
	v_dual_mov_b32 v3, s1 :: v_dual_mov_b32 v0, v1
	global_store_b8 v2, v3, s[2:3]
	s_or_b32 exec_lo, exec_lo, s5
	s_mov_b32 s5, exec_lo
	v_cmpx_gt_i32_e64 s0, v0
	s_cbranch_execz .LBB137_5
.LBB137_22:
	v_dual_mov_b32 v2, s1 :: v_dual_add_nc_u32 v1, s4, v0
	v_add_nc_u32_e32 v0, 0x100, v0
	global_store_b8 v1, v2, s[2:3]
	s_or_b32 exec_lo, exec_lo, s5
	s_delay_alu instid0(SALU_CYCLE_1)
	s_mov_b32 s5, exec_lo
	v_cmpx_gt_i32_e64 s0, v0
	s_cbranch_execz .LBB137_6
.LBB137_23:
	v_dual_mov_b32 v2, s1 :: v_dual_add_nc_u32 v1, s4, v0
	v_add_nc_u32_e32 v0, 0x100, v0
	global_store_b8 v1, v2, s[2:3]
	s_or_b32 exec_lo, exec_lo, s5
	s_delay_alu instid0(SALU_CYCLE_1)
	s_mov_b32 s5, exec_lo
	v_cmpx_gt_i32_e64 s0, v0
	s_cbranch_execz .LBB137_7
.LBB137_24:
	v_dual_mov_b32 v2, s1 :: v_dual_add_nc_u32 v1, s4, v0
	v_add_nc_u32_e32 v0, 0x100, v0
	global_store_b8 v1, v2, s[2:3]
	s_or_b32 exec_lo, exec_lo, s5
	s_delay_alu instid0(SALU_CYCLE_1)
	s_mov_b32 s5, exec_lo
	v_cmpx_gt_i32_e64 s0, v0
	s_cbranch_execz .LBB137_8
.LBB137_25:
	v_dual_mov_b32 v2, s1 :: v_dual_add_nc_u32 v1, s4, v0
	v_add_nc_u32_e32 v0, 0x100, v0
	global_store_b8 v1, v2, s[2:3]
	s_or_b32 exec_lo, exec_lo, s5
	s_delay_alu instid0(SALU_CYCLE_1)
	s_mov_b32 s5, exec_lo
	v_cmpx_gt_i32_e64 s0, v0
	s_cbranch_execz .LBB137_9
.LBB137_26:
	v_dual_mov_b32 v2, s1 :: v_dual_add_nc_u32 v1, s4, v0
	v_add_nc_u32_e32 v0, 0x100, v0
	global_store_b8 v1, v2, s[2:3]
	s_or_b32 exec_lo, exec_lo, s5
	s_delay_alu instid0(SALU_CYCLE_1)
	s_mov_b32 s5, exec_lo
	v_cmpx_gt_i32_e64 s0, v0
	s_cbranch_execz .LBB137_10
.LBB137_27:
	v_dual_mov_b32 v2, s1 :: v_dual_add_nc_u32 v1, s4, v0
	v_add_nc_u32_e32 v0, 0x100, v0
	global_store_b8 v1, v2, s[2:3]
	s_or_b32 exec_lo, exec_lo, s5
	s_delay_alu instid0(SALU_CYCLE_1)
	s_mov_b32 s5, exec_lo
	v_cmpx_gt_i32_e64 s0, v0
	s_cbranch_execz .LBB137_11
.LBB137_28:
	v_dual_mov_b32 v2, s1 :: v_dual_add_nc_u32 v1, s4, v0
	v_add_nc_u32_e32 v0, 0x100, v0
	global_store_b8 v1, v2, s[2:3]
	s_or_b32 exec_lo, exec_lo, s5
	s_delay_alu instid0(SALU_CYCLE_1)
	s_mov_b32 s5, exec_lo
	v_cmpx_gt_i32_e64 s0, v0
	s_cbranch_execz .LBB137_12
.LBB137_29:
	v_dual_mov_b32 v2, s1 :: v_dual_add_nc_u32 v1, s4, v0
	v_add_nc_u32_e32 v0, 0x100, v0
	global_store_b8 v1, v2, s[2:3]
	s_or_b32 exec_lo, exec_lo, s5
	s_delay_alu instid0(SALU_CYCLE_1)
	s_mov_b32 s5, exec_lo
	v_cmpx_gt_i32_e64 s0, v0
	s_cbranch_execz .LBB137_13
.LBB137_30:
	v_dual_mov_b32 v2, s1 :: v_dual_add_nc_u32 v1, s4, v0
	v_add_nc_u32_e32 v0, 0x100, v0
	global_store_b8 v1, v2, s[2:3]
	s_or_b32 exec_lo, exec_lo, s5
	s_delay_alu instid0(SALU_CYCLE_1)
	s_mov_b32 s5, exec_lo
	v_cmpx_gt_i32_e64 s0, v0
	s_cbranch_execz .LBB137_14
.LBB137_31:
	v_dual_mov_b32 v2, s1 :: v_dual_add_nc_u32 v1, s4, v0
	v_add_nc_u32_e32 v0, 0x100, v0
	global_store_b8 v1, v2, s[2:3]
	s_or_b32 exec_lo, exec_lo, s5
	s_delay_alu instid0(SALU_CYCLE_1)
	s_mov_b32 s5, exec_lo
	v_cmpx_gt_i32_e64 s0, v0
	s_cbranch_execz .LBB137_15
.LBB137_32:
	v_dual_mov_b32 v2, s1 :: v_dual_add_nc_u32 v1, s4, v0
	v_add_nc_u32_e32 v0, 0x100, v0
	global_store_b8 v1, v2, s[2:3]
	s_or_b32 exec_lo, exec_lo, s5
	s_delay_alu instid0(SALU_CYCLE_1)
	s_mov_b32 s5, exec_lo
	v_cmpx_gt_i32_e64 s0, v0
	s_cbranch_execz .LBB137_16
.LBB137_33:
	v_dual_mov_b32 v2, s1 :: v_dual_add_nc_u32 v1, s4, v0
	v_add_nc_u32_e32 v0, 0x100, v0
	global_store_b8 v1, v2, s[2:3]
	s_or_b32 exec_lo, exec_lo, s5
	s_delay_alu instid0(SALU_CYCLE_1)
	s_mov_b32 s5, exec_lo
	v_cmpx_gt_i32_e64 s0, v0
	s_cbranch_execz .LBB137_17
.LBB137_34:
	v_dual_mov_b32 v2, s1 :: v_dual_add_nc_u32 v1, s4, v0
	v_add_nc_u32_e32 v0, 0x100, v0
	global_store_b8 v1, v2, s[2:3]
	s_or_b32 exec_lo, exec_lo, s5
	s_delay_alu instid0(SALU_CYCLE_1)
	s_mov_b32 s5, exec_lo
	v_cmpx_gt_i32_e64 s0, v0
	s_cbranch_execz .LBB137_18
.LBB137_35:
	v_dual_mov_b32 v2, s1 :: v_dual_add_nc_u32 v1, s4, v0
	v_add_nc_u32_e32 v0, 0x100, v0
	global_store_b8 v1, v2, s[2:3]
	s_or_b32 exec_lo, exec_lo, s5
	v_cmp_gt_i32_e32 vcc_lo, s0, v0
	s_and_saveexec_b32 s0, vcc_lo
	s_cbranch_execnz .LBB137_19
	s_branch .LBB137_20
	.section	.rodata,"a",@progbits
	.p2align	6, 0x0
	.amdhsa_kernel _ZN2at6native29vectorized_elementwise_kernelILi8ENS0_11FillFunctorIN3c1015Float8_e4m3fnuzEEESt5arrayIPcLm1EEEEviT0_T1_
		.amdhsa_group_segment_fixed_size 0
		.amdhsa_private_segment_fixed_size 0
		.amdhsa_kernarg_size 16
		.amdhsa_user_sgpr_count 15
		.amdhsa_user_sgpr_dispatch_ptr 0
		.amdhsa_user_sgpr_queue_ptr 0
		.amdhsa_user_sgpr_kernarg_segment_ptr 1
		.amdhsa_user_sgpr_dispatch_id 0
		.amdhsa_user_sgpr_private_segment_size 0
		.amdhsa_wavefront_size32 1
		.amdhsa_uses_dynamic_stack 0
		.amdhsa_enable_private_segment 0
		.amdhsa_system_sgpr_workgroup_id_x 1
		.amdhsa_system_sgpr_workgroup_id_y 0
		.amdhsa_system_sgpr_workgroup_id_z 0
		.amdhsa_system_sgpr_workgroup_info 0
		.amdhsa_system_vgpr_workitem_id 0
		.amdhsa_next_free_vgpr 4
		.amdhsa_next_free_sgpr 16
		.amdhsa_reserve_vcc 1
		.amdhsa_float_round_mode_32 0
		.amdhsa_float_round_mode_16_64 0
		.amdhsa_float_denorm_mode_32 3
		.amdhsa_float_denorm_mode_16_64 3
		.amdhsa_dx10_clamp 1
		.amdhsa_ieee_mode 1
		.amdhsa_fp16_overflow 0
		.amdhsa_workgroup_processor_mode 1
		.amdhsa_memory_ordered 1
		.amdhsa_forward_progress 0
		.amdhsa_shared_vgpr_count 0
		.amdhsa_exception_fp_ieee_invalid_op 0
		.amdhsa_exception_fp_denorm_src 0
		.amdhsa_exception_fp_ieee_div_zero 0
		.amdhsa_exception_fp_ieee_overflow 0
		.amdhsa_exception_fp_ieee_underflow 0
		.amdhsa_exception_fp_ieee_inexact 0
		.amdhsa_exception_int_div_zero 0
	.end_amdhsa_kernel
	.section	.text._ZN2at6native29vectorized_elementwise_kernelILi8ENS0_11FillFunctorIN3c1015Float8_e4m3fnuzEEESt5arrayIPcLm1EEEEviT0_T1_,"axG",@progbits,_ZN2at6native29vectorized_elementwise_kernelILi8ENS0_11FillFunctorIN3c1015Float8_e4m3fnuzEEESt5arrayIPcLm1EEEEviT0_T1_,comdat
.Lfunc_end137:
	.size	_ZN2at6native29vectorized_elementwise_kernelILi8ENS0_11FillFunctorIN3c1015Float8_e4m3fnuzEEESt5arrayIPcLm1EEEEviT0_T1_, .Lfunc_end137-_ZN2at6native29vectorized_elementwise_kernelILi8ENS0_11FillFunctorIN3c1015Float8_e4m3fnuzEEESt5arrayIPcLm1EEEEviT0_T1_
                                        ; -- End function
	.section	.AMDGPU.csdata,"",@progbits
; Kernel info:
; codeLenInByte = 1232
; NumSgprs: 18
; NumVgprs: 4
; ScratchSize: 0
; MemoryBound: 0
; FloatMode: 240
; IeeeMode: 1
; LDSByteSize: 0 bytes/workgroup (compile time only)
; SGPRBlocks: 2
; VGPRBlocks: 0
; NumSGPRsForWavesPerEU: 18
; NumVGPRsForWavesPerEU: 4
; Occupancy: 16
; WaveLimiterHint : 1
; COMPUTE_PGM_RSRC2:SCRATCH_EN: 0
; COMPUTE_PGM_RSRC2:USER_SGPR: 15
; COMPUTE_PGM_RSRC2:TRAP_HANDLER: 0
; COMPUTE_PGM_RSRC2:TGID_X_EN: 1
; COMPUTE_PGM_RSRC2:TGID_Y_EN: 0
; COMPUTE_PGM_RSRC2:TGID_Z_EN: 0
; COMPUTE_PGM_RSRC2:TIDIG_COMP_CNT: 0
	.section	.text._ZN2at6native29vectorized_elementwise_kernelILi4ENS0_11FillFunctorIN3c1015Float8_e4m3fnuzEEESt5arrayIPcLm1EEEEviT0_T1_,"axG",@progbits,_ZN2at6native29vectorized_elementwise_kernelILi4ENS0_11FillFunctorIN3c1015Float8_e4m3fnuzEEESt5arrayIPcLm1EEEEviT0_T1_,comdat
	.protected	_ZN2at6native29vectorized_elementwise_kernelILi4ENS0_11FillFunctorIN3c1015Float8_e4m3fnuzEEESt5arrayIPcLm1EEEEviT0_T1_ ; -- Begin function _ZN2at6native29vectorized_elementwise_kernelILi4ENS0_11FillFunctorIN3c1015Float8_e4m3fnuzEEESt5arrayIPcLm1EEEEviT0_T1_
	.globl	_ZN2at6native29vectorized_elementwise_kernelILi4ENS0_11FillFunctorIN3c1015Float8_e4m3fnuzEEESt5arrayIPcLm1EEEEviT0_T1_
	.p2align	8
	.type	_ZN2at6native29vectorized_elementwise_kernelILi4ENS0_11FillFunctorIN3c1015Float8_e4m3fnuzEEESt5arrayIPcLm1EEEEviT0_T1_,@function
_ZN2at6native29vectorized_elementwise_kernelILi4ENS0_11FillFunctorIN3c1015Float8_e4m3fnuzEEESt5arrayIPcLm1EEEEviT0_T1_: ; @_ZN2at6native29vectorized_elementwise_kernelILi4ENS0_11FillFunctorIN3c1015Float8_e4m3fnuzEEESt5arrayIPcLm1EEEEviT0_T1_
; %bb.0:
	s_load_b128 s[0:3], s[0:1], 0x0
	s_lshl_b32 s4, s15, 12
	s_mov_b32 s5, -1
	s_waitcnt lgkmcnt(0)
	s_sub_i32 s0, s0, s4
	s_delay_alu instid0(SALU_CYCLE_1)
	s_cmpk_gt_i32 s0, 0xfff
	s_cbranch_scc0 .LBB138_2
; %bb.1:
	s_ashr_i32 s5, s4, 31
	s_add_u32 s6, s2, s4
	s_addc_u32 s7, s3, s5
	s_and_b32 s5, s1, 0xff
	s_delay_alu instid0(SALU_CYCLE_1) | instskip(NEXT) | instid1(SALU_CYCLE_1)
	s_mul_i32 s5, s5, 0x1010101
	v_dual_mov_b32 v2, s5 :: v_dual_lshlrev_b32 v1, 2, v0
	s_mov_b32 s5, 0
	s_clause 0x3
	global_store_b32 v1, v2, s[6:7]
	global_store_b32 v1, v2, s[6:7] offset:1024
	global_store_b32 v1, v2, s[6:7] offset:2048
	;; [unrolled: 1-line block ×3, first 2 shown]
.LBB138_2:
	s_and_not1_b32 vcc_lo, exec_lo, s5
	s_cbranch_vccnz .LBB138_20
; %bb.3:
	s_mov_b32 s5, exec_lo
	v_cmpx_gt_i32_e64 s0, v0
	s_cbranch_execnz .LBB138_21
; %bb.4:
	s_or_b32 exec_lo, exec_lo, s5
	s_delay_alu instid0(SALU_CYCLE_1)
	s_mov_b32 s5, exec_lo
	v_cmpx_gt_i32_e64 s0, v0
	s_cbranch_execnz .LBB138_22
.LBB138_5:
	s_or_b32 exec_lo, exec_lo, s5
	s_delay_alu instid0(SALU_CYCLE_1)
	s_mov_b32 s5, exec_lo
	v_cmpx_gt_i32_e64 s0, v0
	s_cbranch_execnz .LBB138_23
.LBB138_6:
	s_or_b32 exec_lo, exec_lo, s5
	s_delay_alu instid0(SALU_CYCLE_1)
	s_mov_b32 s5, exec_lo
	v_cmpx_gt_i32_e64 s0, v0
	s_cbranch_execnz .LBB138_24
.LBB138_7:
	s_or_b32 exec_lo, exec_lo, s5
	s_delay_alu instid0(SALU_CYCLE_1)
	s_mov_b32 s5, exec_lo
	v_cmpx_gt_i32_e64 s0, v0
	s_cbranch_execnz .LBB138_25
.LBB138_8:
	s_or_b32 exec_lo, exec_lo, s5
	s_delay_alu instid0(SALU_CYCLE_1)
	s_mov_b32 s5, exec_lo
	v_cmpx_gt_i32_e64 s0, v0
	s_cbranch_execnz .LBB138_26
.LBB138_9:
	s_or_b32 exec_lo, exec_lo, s5
	s_delay_alu instid0(SALU_CYCLE_1)
	s_mov_b32 s5, exec_lo
	v_cmpx_gt_i32_e64 s0, v0
	s_cbranch_execnz .LBB138_27
.LBB138_10:
	s_or_b32 exec_lo, exec_lo, s5
	s_delay_alu instid0(SALU_CYCLE_1)
	s_mov_b32 s5, exec_lo
	v_cmpx_gt_i32_e64 s0, v0
	s_cbranch_execnz .LBB138_28
.LBB138_11:
	s_or_b32 exec_lo, exec_lo, s5
	s_delay_alu instid0(SALU_CYCLE_1)
	s_mov_b32 s5, exec_lo
	v_cmpx_gt_i32_e64 s0, v0
	s_cbranch_execnz .LBB138_29
.LBB138_12:
	s_or_b32 exec_lo, exec_lo, s5
	s_delay_alu instid0(SALU_CYCLE_1)
	s_mov_b32 s5, exec_lo
	v_cmpx_gt_i32_e64 s0, v0
	s_cbranch_execnz .LBB138_30
.LBB138_13:
	s_or_b32 exec_lo, exec_lo, s5
	s_delay_alu instid0(SALU_CYCLE_1)
	s_mov_b32 s5, exec_lo
	v_cmpx_gt_i32_e64 s0, v0
	s_cbranch_execnz .LBB138_31
.LBB138_14:
	s_or_b32 exec_lo, exec_lo, s5
	s_delay_alu instid0(SALU_CYCLE_1)
	s_mov_b32 s5, exec_lo
	v_cmpx_gt_i32_e64 s0, v0
	s_cbranch_execnz .LBB138_32
.LBB138_15:
	s_or_b32 exec_lo, exec_lo, s5
	s_delay_alu instid0(SALU_CYCLE_1)
	s_mov_b32 s5, exec_lo
	v_cmpx_gt_i32_e64 s0, v0
	s_cbranch_execnz .LBB138_33
.LBB138_16:
	s_or_b32 exec_lo, exec_lo, s5
	s_delay_alu instid0(SALU_CYCLE_1)
	s_mov_b32 s5, exec_lo
	v_cmpx_gt_i32_e64 s0, v0
	s_cbranch_execnz .LBB138_34
.LBB138_17:
	s_or_b32 exec_lo, exec_lo, s5
	s_delay_alu instid0(SALU_CYCLE_1)
	s_mov_b32 s5, exec_lo
	v_cmpx_gt_i32_e64 s0, v0
	s_cbranch_execnz .LBB138_35
.LBB138_18:
	s_or_b32 exec_lo, exec_lo, s5
	v_cmp_gt_i32_e32 vcc_lo, s0, v0
	s_and_saveexec_b32 s0, vcc_lo
	s_cbranch_execz .LBB138_20
.LBB138_19:
	v_dual_mov_b32 v1, s1 :: v_dual_add_nc_u32 v0, s4, v0
	global_store_b8 v0, v1, s[2:3]
.LBB138_20:
	s_nop 0
	s_sendmsg sendmsg(MSG_DEALLOC_VGPRS)
	s_endpgm
.LBB138_21:
	v_or_b32_e32 v1, 0x100, v0
	v_or_b32_e32 v2, s4, v0
	s_delay_alu instid0(VALU_DEP_2) | instskip(SKIP_2) | instid1(SALU_CYCLE_1)
	v_dual_mov_b32 v3, s1 :: v_dual_mov_b32 v0, v1
	global_store_b8 v2, v3, s[2:3]
	s_or_b32 exec_lo, exec_lo, s5
	s_mov_b32 s5, exec_lo
	v_cmpx_gt_i32_e64 s0, v0
	s_cbranch_execz .LBB138_5
.LBB138_22:
	v_dual_mov_b32 v2, s1 :: v_dual_add_nc_u32 v1, s4, v0
	v_add_nc_u32_e32 v0, 0x100, v0
	global_store_b8 v1, v2, s[2:3]
	s_or_b32 exec_lo, exec_lo, s5
	s_delay_alu instid0(SALU_CYCLE_1)
	s_mov_b32 s5, exec_lo
	v_cmpx_gt_i32_e64 s0, v0
	s_cbranch_execz .LBB138_6
.LBB138_23:
	v_dual_mov_b32 v2, s1 :: v_dual_add_nc_u32 v1, s4, v0
	v_add_nc_u32_e32 v0, 0x100, v0
	global_store_b8 v1, v2, s[2:3]
	s_or_b32 exec_lo, exec_lo, s5
	s_delay_alu instid0(SALU_CYCLE_1)
	s_mov_b32 s5, exec_lo
	v_cmpx_gt_i32_e64 s0, v0
	s_cbranch_execz .LBB138_7
.LBB138_24:
	v_dual_mov_b32 v2, s1 :: v_dual_add_nc_u32 v1, s4, v0
	v_add_nc_u32_e32 v0, 0x100, v0
	global_store_b8 v1, v2, s[2:3]
	s_or_b32 exec_lo, exec_lo, s5
	s_delay_alu instid0(SALU_CYCLE_1)
	s_mov_b32 s5, exec_lo
	v_cmpx_gt_i32_e64 s0, v0
	s_cbranch_execz .LBB138_8
.LBB138_25:
	v_dual_mov_b32 v2, s1 :: v_dual_add_nc_u32 v1, s4, v0
	v_add_nc_u32_e32 v0, 0x100, v0
	global_store_b8 v1, v2, s[2:3]
	s_or_b32 exec_lo, exec_lo, s5
	s_delay_alu instid0(SALU_CYCLE_1)
	s_mov_b32 s5, exec_lo
	v_cmpx_gt_i32_e64 s0, v0
	s_cbranch_execz .LBB138_9
.LBB138_26:
	v_dual_mov_b32 v2, s1 :: v_dual_add_nc_u32 v1, s4, v0
	v_add_nc_u32_e32 v0, 0x100, v0
	global_store_b8 v1, v2, s[2:3]
	s_or_b32 exec_lo, exec_lo, s5
	s_delay_alu instid0(SALU_CYCLE_1)
	s_mov_b32 s5, exec_lo
	v_cmpx_gt_i32_e64 s0, v0
	s_cbranch_execz .LBB138_10
.LBB138_27:
	v_dual_mov_b32 v2, s1 :: v_dual_add_nc_u32 v1, s4, v0
	v_add_nc_u32_e32 v0, 0x100, v0
	global_store_b8 v1, v2, s[2:3]
	s_or_b32 exec_lo, exec_lo, s5
	s_delay_alu instid0(SALU_CYCLE_1)
	s_mov_b32 s5, exec_lo
	v_cmpx_gt_i32_e64 s0, v0
	s_cbranch_execz .LBB138_11
.LBB138_28:
	v_dual_mov_b32 v2, s1 :: v_dual_add_nc_u32 v1, s4, v0
	v_add_nc_u32_e32 v0, 0x100, v0
	global_store_b8 v1, v2, s[2:3]
	s_or_b32 exec_lo, exec_lo, s5
	s_delay_alu instid0(SALU_CYCLE_1)
	s_mov_b32 s5, exec_lo
	v_cmpx_gt_i32_e64 s0, v0
	s_cbranch_execz .LBB138_12
.LBB138_29:
	v_dual_mov_b32 v2, s1 :: v_dual_add_nc_u32 v1, s4, v0
	v_add_nc_u32_e32 v0, 0x100, v0
	global_store_b8 v1, v2, s[2:3]
	s_or_b32 exec_lo, exec_lo, s5
	s_delay_alu instid0(SALU_CYCLE_1)
	s_mov_b32 s5, exec_lo
	v_cmpx_gt_i32_e64 s0, v0
	s_cbranch_execz .LBB138_13
.LBB138_30:
	v_dual_mov_b32 v2, s1 :: v_dual_add_nc_u32 v1, s4, v0
	v_add_nc_u32_e32 v0, 0x100, v0
	global_store_b8 v1, v2, s[2:3]
	s_or_b32 exec_lo, exec_lo, s5
	s_delay_alu instid0(SALU_CYCLE_1)
	s_mov_b32 s5, exec_lo
	v_cmpx_gt_i32_e64 s0, v0
	s_cbranch_execz .LBB138_14
.LBB138_31:
	v_dual_mov_b32 v2, s1 :: v_dual_add_nc_u32 v1, s4, v0
	v_add_nc_u32_e32 v0, 0x100, v0
	global_store_b8 v1, v2, s[2:3]
	s_or_b32 exec_lo, exec_lo, s5
	s_delay_alu instid0(SALU_CYCLE_1)
	s_mov_b32 s5, exec_lo
	v_cmpx_gt_i32_e64 s0, v0
	s_cbranch_execz .LBB138_15
.LBB138_32:
	v_dual_mov_b32 v2, s1 :: v_dual_add_nc_u32 v1, s4, v0
	v_add_nc_u32_e32 v0, 0x100, v0
	global_store_b8 v1, v2, s[2:3]
	s_or_b32 exec_lo, exec_lo, s5
	s_delay_alu instid0(SALU_CYCLE_1)
	s_mov_b32 s5, exec_lo
	v_cmpx_gt_i32_e64 s0, v0
	s_cbranch_execz .LBB138_16
.LBB138_33:
	v_dual_mov_b32 v2, s1 :: v_dual_add_nc_u32 v1, s4, v0
	v_add_nc_u32_e32 v0, 0x100, v0
	global_store_b8 v1, v2, s[2:3]
	s_or_b32 exec_lo, exec_lo, s5
	s_delay_alu instid0(SALU_CYCLE_1)
	s_mov_b32 s5, exec_lo
	v_cmpx_gt_i32_e64 s0, v0
	s_cbranch_execz .LBB138_17
.LBB138_34:
	v_dual_mov_b32 v2, s1 :: v_dual_add_nc_u32 v1, s4, v0
	v_add_nc_u32_e32 v0, 0x100, v0
	global_store_b8 v1, v2, s[2:3]
	s_or_b32 exec_lo, exec_lo, s5
	s_delay_alu instid0(SALU_CYCLE_1)
	s_mov_b32 s5, exec_lo
	v_cmpx_gt_i32_e64 s0, v0
	s_cbranch_execz .LBB138_18
.LBB138_35:
	v_dual_mov_b32 v2, s1 :: v_dual_add_nc_u32 v1, s4, v0
	v_add_nc_u32_e32 v0, 0x100, v0
	global_store_b8 v1, v2, s[2:3]
	s_or_b32 exec_lo, exec_lo, s5
	v_cmp_gt_i32_e32 vcc_lo, s0, v0
	s_and_saveexec_b32 s0, vcc_lo
	s_cbranch_execnz .LBB138_19
	s_branch .LBB138_20
	.section	.rodata,"a",@progbits
	.p2align	6, 0x0
	.amdhsa_kernel _ZN2at6native29vectorized_elementwise_kernelILi4ENS0_11FillFunctorIN3c1015Float8_e4m3fnuzEEESt5arrayIPcLm1EEEEviT0_T1_
		.amdhsa_group_segment_fixed_size 0
		.amdhsa_private_segment_fixed_size 0
		.amdhsa_kernarg_size 16
		.amdhsa_user_sgpr_count 15
		.amdhsa_user_sgpr_dispatch_ptr 0
		.amdhsa_user_sgpr_queue_ptr 0
		.amdhsa_user_sgpr_kernarg_segment_ptr 1
		.amdhsa_user_sgpr_dispatch_id 0
		.amdhsa_user_sgpr_private_segment_size 0
		.amdhsa_wavefront_size32 1
		.amdhsa_uses_dynamic_stack 0
		.amdhsa_enable_private_segment 0
		.amdhsa_system_sgpr_workgroup_id_x 1
		.amdhsa_system_sgpr_workgroup_id_y 0
		.amdhsa_system_sgpr_workgroup_id_z 0
		.amdhsa_system_sgpr_workgroup_info 0
		.amdhsa_system_vgpr_workitem_id 0
		.amdhsa_next_free_vgpr 4
		.amdhsa_next_free_sgpr 16
		.amdhsa_reserve_vcc 1
		.amdhsa_float_round_mode_32 0
		.amdhsa_float_round_mode_16_64 0
		.amdhsa_float_denorm_mode_32 3
		.amdhsa_float_denorm_mode_16_64 3
		.amdhsa_dx10_clamp 1
		.amdhsa_ieee_mode 1
		.amdhsa_fp16_overflow 0
		.amdhsa_workgroup_processor_mode 1
		.amdhsa_memory_ordered 1
		.amdhsa_forward_progress 0
		.amdhsa_shared_vgpr_count 0
		.amdhsa_exception_fp_ieee_invalid_op 0
		.amdhsa_exception_fp_denorm_src 0
		.amdhsa_exception_fp_ieee_div_zero 0
		.amdhsa_exception_fp_ieee_overflow 0
		.amdhsa_exception_fp_ieee_underflow 0
		.amdhsa_exception_fp_ieee_inexact 0
		.amdhsa_exception_int_div_zero 0
	.end_amdhsa_kernel
	.section	.text._ZN2at6native29vectorized_elementwise_kernelILi4ENS0_11FillFunctorIN3c1015Float8_e4m3fnuzEEESt5arrayIPcLm1EEEEviT0_T1_,"axG",@progbits,_ZN2at6native29vectorized_elementwise_kernelILi4ENS0_11FillFunctorIN3c1015Float8_e4m3fnuzEEESt5arrayIPcLm1EEEEviT0_T1_,comdat
.Lfunc_end138:
	.size	_ZN2at6native29vectorized_elementwise_kernelILi4ENS0_11FillFunctorIN3c1015Float8_e4m3fnuzEEESt5arrayIPcLm1EEEEviT0_T1_, .Lfunc_end138-_ZN2at6native29vectorized_elementwise_kernelILi4ENS0_11FillFunctorIN3c1015Float8_e4m3fnuzEEESt5arrayIPcLm1EEEEviT0_T1_
                                        ; -- End function
	.section	.AMDGPU.csdata,"",@progbits
; Kernel info:
; codeLenInByte = 1240
; NumSgprs: 18
; NumVgprs: 4
; ScratchSize: 0
; MemoryBound: 0
; FloatMode: 240
; IeeeMode: 1
; LDSByteSize: 0 bytes/workgroup (compile time only)
; SGPRBlocks: 2
; VGPRBlocks: 0
; NumSGPRsForWavesPerEU: 18
; NumVGPRsForWavesPerEU: 4
; Occupancy: 16
; WaveLimiterHint : 1
; COMPUTE_PGM_RSRC2:SCRATCH_EN: 0
; COMPUTE_PGM_RSRC2:USER_SGPR: 15
; COMPUTE_PGM_RSRC2:TRAP_HANDLER: 0
; COMPUTE_PGM_RSRC2:TGID_X_EN: 1
; COMPUTE_PGM_RSRC2:TGID_Y_EN: 0
; COMPUTE_PGM_RSRC2:TGID_Z_EN: 0
; COMPUTE_PGM_RSRC2:TIDIG_COMP_CNT: 0
	.section	.text._ZN2at6native29vectorized_elementwise_kernelILi2ENS0_11FillFunctorIN3c1015Float8_e4m3fnuzEEESt5arrayIPcLm1EEEEviT0_T1_,"axG",@progbits,_ZN2at6native29vectorized_elementwise_kernelILi2ENS0_11FillFunctorIN3c1015Float8_e4m3fnuzEEESt5arrayIPcLm1EEEEviT0_T1_,comdat
	.protected	_ZN2at6native29vectorized_elementwise_kernelILi2ENS0_11FillFunctorIN3c1015Float8_e4m3fnuzEEESt5arrayIPcLm1EEEEviT0_T1_ ; -- Begin function _ZN2at6native29vectorized_elementwise_kernelILi2ENS0_11FillFunctorIN3c1015Float8_e4m3fnuzEEESt5arrayIPcLm1EEEEviT0_T1_
	.globl	_ZN2at6native29vectorized_elementwise_kernelILi2ENS0_11FillFunctorIN3c1015Float8_e4m3fnuzEEESt5arrayIPcLm1EEEEviT0_T1_
	.p2align	8
	.type	_ZN2at6native29vectorized_elementwise_kernelILi2ENS0_11FillFunctorIN3c1015Float8_e4m3fnuzEEESt5arrayIPcLm1EEEEviT0_T1_,@function
_ZN2at6native29vectorized_elementwise_kernelILi2ENS0_11FillFunctorIN3c1015Float8_e4m3fnuzEEESt5arrayIPcLm1EEEEviT0_T1_: ; @_ZN2at6native29vectorized_elementwise_kernelILi2ENS0_11FillFunctorIN3c1015Float8_e4m3fnuzEEESt5arrayIPcLm1EEEEviT0_T1_
; %bb.0:
	s_load_b128 s[0:3], s[0:1], 0x0
	s_lshl_b32 s4, s15, 12
	s_mov_b32 s5, -1
	s_waitcnt lgkmcnt(0)
	s_sub_i32 s0, s0, s4
	s_delay_alu instid0(SALU_CYCLE_1)
	s_cmpk_gt_i32 s0, 0xfff
	s_cbranch_scc0 .LBB139_2
; %bb.1:
	v_and_b32_e64 v1, 0xff, s1
	v_lshlrev_b32_e32 v2, 1, v0
	s_ashr_i32 s5, s4, 31
	s_add_u32 s6, s2, s4
	s_addc_u32 s7, s3, s5
	v_mul_lo_u16 v1, 0x101, v1
	s_mov_b32 s5, 0
	s_clause 0x7
	global_store_b16 v2, v1, s[6:7]
	global_store_b16 v2, v1, s[6:7] offset:512
	global_store_b16 v2, v1, s[6:7] offset:1024
	;; [unrolled: 1-line block ×7, first 2 shown]
.LBB139_2:
	s_and_not1_b32 vcc_lo, exec_lo, s5
	s_cbranch_vccnz .LBB139_20
; %bb.3:
	s_mov_b32 s5, exec_lo
	v_cmpx_gt_i32_e64 s0, v0
	s_cbranch_execnz .LBB139_21
; %bb.4:
	s_or_b32 exec_lo, exec_lo, s5
	s_delay_alu instid0(SALU_CYCLE_1)
	s_mov_b32 s5, exec_lo
	v_cmpx_gt_i32_e64 s0, v0
	s_cbranch_execnz .LBB139_22
.LBB139_5:
	s_or_b32 exec_lo, exec_lo, s5
	s_delay_alu instid0(SALU_CYCLE_1)
	s_mov_b32 s5, exec_lo
	v_cmpx_gt_i32_e64 s0, v0
	s_cbranch_execnz .LBB139_23
.LBB139_6:
	s_or_b32 exec_lo, exec_lo, s5
	s_delay_alu instid0(SALU_CYCLE_1)
	s_mov_b32 s5, exec_lo
	v_cmpx_gt_i32_e64 s0, v0
	s_cbranch_execnz .LBB139_24
.LBB139_7:
	s_or_b32 exec_lo, exec_lo, s5
	s_delay_alu instid0(SALU_CYCLE_1)
	s_mov_b32 s5, exec_lo
	v_cmpx_gt_i32_e64 s0, v0
	s_cbranch_execnz .LBB139_25
.LBB139_8:
	s_or_b32 exec_lo, exec_lo, s5
	s_delay_alu instid0(SALU_CYCLE_1)
	s_mov_b32 s5, exec_lo
	v_cmpx_gt_i32_e64 s0, v0
	s_cbranch_execnz .LBB139_26
.LBB139_9:
	s_or_b32 exec_lo, exec_lo, s5
	s_delay_alu instid0(SALU_CYCLE_1)
	s_mov_b32 s5, exec_lo
	v_cmpx_gt_i32_e64 s0, v0
	s_cbranch_execnz .LBB139_27
.LBB139_10:
	s_or_b32 exec_lo, exec_lo, s5
	s_delay_alu instid0(SALU_CYCLE_1)
	s_mov_b32 s5, exec_lo
	v_cmpx_gt_i32_e64 s0, v0
	s_cbranch_execnz .LBB139_28
.LBB139_11:
	s_or_b32 exec_lo, exec_lo, s5
	s_delay_alu instid0(SALU_CYCLE_1)
	s_mov_b32 s5, exec_lo
	v_cmpx_gt_i32_e64 s0, v0
	s_cbranch_execnz .LBB139_29
.LBB139_12:
	s_or_b32 exec_lo, exec_lo, s5
	s_delay_alu instid0(SALU_CYCLE_1)
	s_mov_b32 s5, exec_lo
	v_cmpx_gt_i32_e64 s0, v0
	s_cbranch_execnz .LBB139_30
.LBB139_13:
	s_or_b32 exec_lo, exec_lo, s5
	s_delay_alu instid0(SALU_CYCLE_1)
	s_mov_b32 s5, exec_lo
	v_cmpx_gt_i32_e64 s0, v0
	s_cbranch_execnz .LBB139_31
.LBB139_14:
	s_or_b32 exec_lo, exec_lo, s5
	s_delay_alu instid0(SALU_CYCLE_1)
	s_mov_b32 s5, exec_lo
	v_cmpx_gt_i32_e64 s0, v0
	s_cbranch_execnz .LBB139_32
.LBB139_15:
	s_or_b32 exec_lo, exec_lo, s5
	s_delay_alu instid0(SALU_CYCLE_1)
	s_mov_b32 s5, exec_lo
	v_cmpx_gt_i32_e64 s0, v0
	s_cbranch_execnz .LBB139_33
.LBB139_16:
	s_or_b32 exec_lo, exec_lo, s5
	s_delay_alu instid0(SALU_CYCLE_1)
	s_mov_b32 s5, exec_lo
	v_cmpx_gt_i32_e64 s0, v0
	s_cbranch_execnz .LBB139_34
.LBB139_17:
	s_or_b32 exec_lo, exec_lo, s5
	s_delay_alu instid0(SALU_CYCLE_1)
	s_mov_b32 s5, exec_lo
	v_cmpx_gt_i32_e64 s0, v0
	s_cbranch_execnz .LBB139_35
.LBB139_18:
	s_or_b32 exec_lo, exec_lo, s5
	v_cmp_gt_i32_e32 vcc_lo, s0, v0
	s_and_saveexec_b32 s0, vcc_lo
	s_cbranch_execz .LBB139_20
.LBB139_19:
	v_dual_mov_b32 v1, s1 :: v_dual_add_nc_u32 v0, s4, v0
	global_store_b8 v0, v1, s[2:3]
.LBB139_20:
	s_nop 0
	s_sendmsg sendmsg(MSG_DEALLOC_VGPRS)
	s_endpgm
.LBB139_21:
	v_or_b32_e32 v1, 0x100, v0
	v_or_b32_e32 v2, s4, v0
	s_delay_alu instid0(VALU_DEP_2) | instskip(SKIP_2) | instid1(SALU_CYCLE_1)
	v_dual_mov_b32 v3, s1 :: v_dual_mov_b32 v0, v1
	global_store_b8 v2, v3, s[2:3]
	s_or_b32 exec_lo, exec_lo, s5
	s_mov_b32 s5, exec_lo
	v_cmpx_gt_i32_e64 s0, v0
	s_cbranch_execz .LBB139_5
.LBB139_22:
	v_dual_mov_b32 v2, s1 :: v_dual_add_nc_u32 v1, s4, v0
	v_add_nc_u32_e32 v0, 0x100, v0
	global_store_b8 v1, v2, s[2:3]
	s_or_b32 exec_lo, exec_lo, s5
	s_delay_alu instid0(SALU_CYCLE_1)
	s_mov_b32 s5, exec_lo
	v_cmpx_gt_i32_e64 s0, v0
	s_cbranch_execz .LBB139_6
.LBB139_23:
	v_dual_mov_b32 v2, s1 :: v_dual_add_nc_u32 v1, s4, v0
	v_add_nc_u32_e32 v0, 0x100, v0
	global_store_b8 v1, v2, s[2:3]
	s_or_b32 exec_lo, exec_lo, s5
	s_delay_alu instid0(SALU_CYCLE_1)
	s_mov_b32 s5, exec_lo
	v_cmpx_gt_i32_e64 s0, v0
	s_cbranch_execz .LBB139_7
.LBB139_24:
	v_dual_mov_b32 v2, s1 :: v_dual_add_nc_u32 v1, s4, v0
	v_add_nc_u32_e32 v0, 0x100, v0
	global_store_b8 v1, v2, s[2:3]
	s_or_b32 exec_lo, exec_lo, s5
	s_delay_alu instid0(SALU_CYCLE_1)
	s_mov_b32 s5, exec_lo
	v_cmpx_gt_i32_e64 s0, v0
	s_cbranch_execz .LBB139_8
.LBB139_25:
	v_dual_mov_b32 v2, s1 :: v_dual_add_nc_u32 v1, s4, v0
	v_add_nc_u32_e32 v0, 0x100, v0
	global_store_b8 v1, v2, s[2:3]
	s_or_b32 exec_lo, exec_lo, s5
	s_delay_alu instid0(SALU_CYCLE_1)
	s_mov_b32 s5, exec_lo
	v_cmpx_gt_i32_e64 s0, v0
	s_cbranch_execz .LBB139_9
.LBB139_26:
	v_dual_mov_b32 v2, s1 :: v_dual_add_nc_u32 v1, s4, v0
	v_add_nc_u32_e32 v0, 0x100, v0
	global_store_b8 v1, v2, s[2:3]
	s_or_b32 exec_lo, exec_lo, s5
	s_delay_alu instid0(SALU_CYCLE_1)
	s_mov_b32 s5, exec_lo
	v_cmpx_gt_i32_e64 s0, v0
	s_cbranch_execz .LBB139_10
.LBB139_27:
	v_dual_mov_b32 v2, s1 :: v_dual_add_nc_u32 v1, s4, v0
	v_add_nc_u32_e32 v0, 0x100, v0
	global_store_b8 v1, v2, s[2:3]
	s_or_b32 exec_lo, exec_lo, s5
	s_delay_alu instid0(SALU_CYCLE_1)
	s_mov_b32 s5, exec_lo
	v_cmpx_gt_i32_e64 s0, v0
	s_cbranch_execz .LBB139_11
.LBB139_28:
	v_dual_mov_b32 v2, s1 :: v_dual_add_nc_u32 v1, s4, v0
	v_add_nc_u32_e32 v0, 0x100, v0
	global_store_b8 v1, v2, s[2:3]
	s_or_b32 exec_lo, exec_lo, s5
	s_delay_alu instid0(SALU_CYCLE_1)
	s_mov_b32 s5, exec_lo
	v_cmpx_gt_i32_e64 s0, v0
	s_cbranch_execz .LBB139_12
.LBB139_29:
	v_dual_mov_b32 v2, s1 :: v_dual_add_nc_u32 v1, s4, v0
	v_add_nc_u32_e32 v0, 0x100, v0
	global_store_b8 v1, v2, s[2:3]
	s_or_b32 exec_lo, exec_lo, s5
	s_delay_alu instid0(SALU_CYCLE_1)
	s_mov_b32 s5, exec_lo
	v_cmpx_gt_i32_e64 s0, v0
	s_cbranch_execz .LBB139_13
.LBB139_30:
	v_dual_mov_b32 v2, s1 :: v_dual_add_nc_u32 v1, s4, v0
	v_add_nc_u32_e32 v0, 0x100, v0
	global_store_b8 v1, v2, s[2:3]
	s_or_b32 exec_lo, exec_lo, s5
	s_delay_alu instid0(SALU_CYCLE_1)
	s_mov_b32 s5, exec_lo
	v_cmpx_gt_i32_e64 s0, v0
	s_cbranch_execz .LBB139_14
.LBB139_31:
	v_dual_mov_b32 v2, s1 :: v_dual_add_nc_u32 v1, s4, v0
	v_add_nc_u32_e32 v0, 0x100, v0
	global_store_b8 v1, v2, s[2:3]
	s_or_b32 exec_lo, exec_lo, s5
	s_delay_alu instid0(SALU_CYCLE_1)
	s_mov_b32 s5, exec_lo
	v_cmpx_gt_i32_e64 s0, v0
	s_cbranch_execz .LBB139_15
.LBB139_32:
	v_dual_mov_b32 v2, s1 :: v_dual_add_nc_u32 v1, s4, v0
	v_add_nc_u32_e32 v0, 0x100, v0
	global_store_b8 v1, v2, s[2:3]
	s_or_b32 exec_lo, exec_lo, s5
	s_delay_alu instid0(SALU_CYCLE_1)
	s_mov_b32 s5, exec_lo
	v_cmpx_gt_i32_e64 s0, v0
	s_cbranch_execz .LBB139_16
.LBB139_33:
	v_dual_mov_b32 v2, s1 :: v_dual_add_nc_u32 v1, s4, v0
	v_add_nc_u32_e32 v0, 0x100, v0
	global_store_b8 v1, v2, s[2:3]
	s_or_b32 exec_lo, exec_lo, s5
	s_delay_alu instid0(SALU_CYCLE_1)
	s_mov_b32 s5, exec_lo
	v_cmpx_gt_i32_e64 s0, v0
	s_cbranch_execz .LBB139_17
.LBB139_34:
	v_dual_mov_b32 v2, s1 :: v_dual_add_nc_u32 v1, s4, v0
	v_add_nc_u32_e32 v0, 0x100, v0
	global_store_b8 v1, v2, s[2:3]
	s_or_b32 exec_lo, exec_lo, s5
	s_delay_alu instid0(SALU_CYCLE_1)
	s_mov_b32 s5, exec_lo
	v_cmpx_gt_i32_e64 s0, v0
	s_cbranch_execz .LBB139_18
.LBB139_35:
	v_dual_mov_b32 v2, s1 :: v_dual_add_nc_u32 v1, s4, v0
	v_add_nc_u32_e32 v0, 0x100, v0
	global_store_b8 v1, v2, s[2:3]
	s_or_b32 exec_lo, exec_lo, s5
	v_cmp_gt_i32_e32 vcc_lo, s0, v0
	s_and_saveexec_b32 s0, vcc_lo
	s_cbranch_execnz .LBB139_19
	s_branch .LBB139_20
	.section	.rodata,"a",@progbits
	.p2align	6, 0x0
	.amdhsa_kernel _ZN2at6native29vectorized_elementwise_kernelILi2ENS0_11FillFunctorIN3c1015Float8_e4m3fnuzEEESt5arrayIPcLm1EEEEviT0_T1_
		.amdhsa_group_segment_fixed_size 0
		.amdhsa_private_segment_fixed_size 0
		.amdhsa_kernarg_size 16
		.amdhsa_user_sgpr_count 15
		.amdhsa_user_sgpr_dispatch_ptr 0
		.amdhsa_user_sgpr_queue_ptr 0
		.amdhsa_user_sgpr_kernarg_segment_ptr 1
		.amdhsa_user_sgpr_dispatch_id 0
		.amdhsa_user_sgpr_private_segment_size 0
		.amdhsa_wavefront_size32 1
		.amdhsa_uses_dynamic_stack 0
		.amdhsa_enable_private_segment 0
		.amdhsa_system_sgpr_workgroup_id_x 1
		.amdhsa_system_sgpr_workgroup_id_y 0
		.amdhsa_system_sgpr_workgroup_id_z 0
		.amdhsa_system_sgpr_workgroup_info 0
		.amdhsa_system_vgpr_workitem_id 0
		.amdhsa_next_free_vgpr 4
		.amdhsa_next_free_sgpr 16
		.amdhsa_reserve_vcc 1
		.amdhsa_float_round_mode_32 0
		.amdhsa_float_round_mode_16_64 0
		.amdhsa_float_denorm_mode_32 3
		.amdhsa_float_denorm_mode_16_64 3
		.amdhsa_dx10_clamp 1
		.amdhsa_ieee_mode 1
		.amdhsa_fp16_overflow 0
		.amdhsa_workgroup_processor_mode 1
		.amdhsa_memory_ordered 1
		.amdhsa_forward_progress 0
		.amdhsa_shared_vgpr_count 0
		.amdhsa_exception_fp_ieee_invalid_op 0
		.amdhsa_exception_fp_denorm_src 0
		.amdhsa_exception_fp_ieee_div_zero 0
		.amdhsa_exception_fp_ieee_overflow 0
		.amdhsa_exception_fp_ieee_underflow 0
		.amdhsa_exception_fp_ieee_inexact 0
		.amdhsa_exception_int_div_zero 0
	.end_amdhsa_kernel
	.section	.text._ZN2at6native29vectorized_elementwise_kernelILi2ENS0_11FillFunctorIN3c1015Float8_e4m3fnuzEEESt5arrayIPcLm1EEEEviT0_T1_,"axG",@progbits,_ZN2at6native29vectorized_elementwise_kernelILi2ENS0_11FillFunctorIN3c1015Float8_e4m3fnuzEEESt5arrayIPcLm1EEEEviT0_T1_,comdat
.Lfunc_end139:
	.size	_ZN2at6native29vectorized_elementwise_kernelILi2ENS0_11FillFunctorIN3c1015Float8_e4m3fnuzEEESt5arrayIPcLm1EEEEviT0_T1_, .Lfunc_end139-_ZN2at6native29vectorized_elementwise_kernelILi2ENS0_11FillFunctorIN3c1015Float8_e4m3fnuzEEESt5arrayIPcLm1EEEEviT0_T1_
                                        ; -- End function
	.section	.AMDGPU.csdata,"",@progbits
; Kernel info:
; codeLenInByte = 1272
; NumSgprs: 18
; NumVgprs: 4
; ScratchSize: 0
; MemoryBound: 0
; FloatMode: 240
; IeeeMode: 1
; LDSByteSize: 0 bytes/workgroup (compile time only)
; SGPRBlocks: 2
; VGPRBlocks: 0
; NumSGPRsForWavesPerEU: 18
; NumVGPRsForWavesPerEU: 4
; Occupancy: 16
; WaveLimiterHint : 1
; COMPUTE_PGM_RSRC2:SCRATCH_EN: 0
; COMPUTE_PGM_RSRC2:USER_SGPR: 15
; COMPUTE_PGM_RSRC2:TRAP_HANDLER: 0
; COMPUTE_PGM_RSRC2:TGID_X_EN: 1
; COMPUTE_PGM_RSRC2:TGID_Y_EN: 0
; COMPUTE_PGM_RSRC2:TGID_Z_EN: 0
; COMPUTE_PGM_RSRC2:TIDIG_COMP_CNT: 0
	.section	.text._ZN2at6native27unrolled_elementwise_kernelINS0_11FillFunctorIN3c1015Float8_e4m3fnuzEEESt5arrayIPcLm1EELi4E23TrivialOffsetCalculatorILi0EjES9_ILi1EjENS0_6memory15LoadWithoutCastENSC_16StoreWithoutCastEEEviT_T0_T2_T3_T4_T5_,"axG",@progbits,_ZN2at6native27unrolled_elementwise_kernelINS0_11FillFunctorIN3c1015Float8_e4m3fnuzEEESt5arrayIPcLm1EELi4E23TrivialOffsetCalculatorILi0EjES9_ILi1EjENS0_6memory15LoadWithoutCastENSC_16StoreWithoutCastEEEviT_T0_T2_T3_T4_T5_,comdat
	.protected	_ZN2at6native27unrolled_elementwise_kernelINS0_11FillFunctorIN3c1015Float8_e4m3fnuzEEESt5arrayIPcLm1EELi4E23TrivialOffsetCalculatorILi0EjES9_ILi1EjENS0_6memory15LoadWithoutCastENSC_16StoreWithoutCastEEEviT_T0_T2_T3_T4_T5_ ; -- Begin function _ZN2at6native27unrolled_elementwise_kernelINS0_11FillFunctorIN3c1015Float8_e4m3fnuzEEESt5arrayIPcLm1EELi4E23TrivialOffsetCalculatorILi0EjES9_ILi1EjENS0_6memory15LoadWithoutCastENSC_16StoreWithoutCastEEEviT_T0_T2_T3_T4_T5_
	.globl	_ZN2at6native27unrolled_elementwise_kernelINS0_11FillFunctorIN3c1015Float8_e4m3fnuzEEESt5arrayIPcLm1EELi4E23TrivialOffsetCalculatorILi0EjES9_ILi1EjENS0_6memory15LoadWithoutCastENSC_16StoreWithoutCastEEEviT_T0_T2_T3_T4_T5_
	.p2align	8
	.type	_ZN2at6native27unrolled_elementwise_kernelINS0_11FillFunctorIN3c1015Float8_e4m3fnuzEEESt5arrayIPcLm1EELi4E23TrivialOffsetCalculatorILi0EjES9_ILi1EjENS0_6memory15LoadWithoutCastENSC_16StoreWithoutCastEEEviT_T0_T2_T3_T4_T5_,@function
_ZN2at6native27unrolled_elementwise_kernelINS0_11FillFunctorIN3c1015Float8_e4m3fnuzEEESt5arrayIPcLm1EELi4E23TrivialOffsetCalculatorILi0EjES9_ILi1EjENS0_6memory15LoadWithoutCastENSC_16StoreWithoutCastEEEviT_T0_T2_T3_T4_T5_: ; @_ZN2at6native27unrolled_elementwise_kernelINS0_11FillFunctorIN3c1015Float8_e4m3fnuzEEESt5arrayIPcLm1EELi4E23TrivialOffsetCalculatorILi0EjES9_ILi1EjENS0_6memory15LoadWithoutCastENSC_16StoreWithoutCastEEEviT_T0_T2_T3_T4_T5_
; %bb.0:
	s_load_b128 s[0:3], s[0:1], 0x0
	s_lshl_b32 s4, s15, 10
	s_mov_b32 s5, exec_lo
	s_waitcnt lgkmcnt(0)
	s_sub_i32 s0, s0, s4
	s_delay_alu instid0(SALU_CYCLE_1)
	v_cmpx_gt_i32_e64 s0, v0
	s_cbranch_execnz .LBB140_5
; %bb.1:
	s_or_b32 exec_lo, exec_lo, s5
	s_delay_alu instid0(SALU_CYCLE_1)
	s_mov_b32 s5, exec_lo
	v_cmpx_gt_i32_e64 s0, v0
	s_cbranch_execnz .LBB140_6
.LBB140_2:
	s_or_b32 exec_lo, exec_lo, s5
	s_delay_alu instid0(SALU_CYCLE_1)
	s_mov_b32 s5, exec_lo
	v_cmpx_gt_i32_e64 s0, v0
	s_cbranch_execnz .LBB140_7
.LBB140_3:
	s_or_b32 exec_lo, exec_lo, s5
	v_cmp_gt_i32_e32 vcc_lo, s0, v0
	s_and_saveexec_b32 s0, vcc_lo
	s_cbranch_execnz .LBB140_8
.LBB140_4:
	s_nop 0
	s_sendmsg sendmsg(MSG_DEALLOC_VGPRS)
	s_endpgm
.LBB140_5:
	v_or_b32_e32 v1, s4, v0
	v_mov_b32_e32 v2, s1
	v_or_b32_e32 v0, 0x100, v0
	global_store_b8 v1, v2, s[2:3]
	s_or_b32 exec_lo, exec_lo, s5
	s_delay_alu instid0(SALU_CYCLE_1)
	s_mov_b32 s5, exec_lo
	v_cmpx_gt_i32_e64 s0, v0
	s_cbranch_execz .LBB140_2
.LBB140_6:
	v_add_nc_u32_e32 v1, 0x100, v0
	v_dual_mov_b32 v3, s1 :: v_dual_add_nc_u32 v2, s4, v0
	s_delay_alu instid0(VALU_DEP_2) | instskip(SKIP_2) | instid1(SALU_CYCLE_1)
	v_mov_b32_e32 v0, v1
	global_store_b8 v2, v3, s[2:3]
	s_or_b32 exec_lo, exec_lo, s5
	s_mov_b32 s5, exec_lo
	v_cmpx_gt_i32_e64 s0, v0
	s_cbranch_execz .LBB140_3
.LBB140_7:
	v_add_nc_u32_e32 v1, 0x100, v0
	v_dual_mov_b32 v3, s1 :: v_dual_add_nc_u32 v2, s4, v0
	s_delay_alu instid0(VALU_DEP_2)
	v_mov_b32_e32 v0, v1
	global_store_b8 v2, v3, s[2:3]
	s_or_b32 exec_lo, exec_lo, s5
	v_cmp_gt_i32_e32 vcc_lo, s0, v0
	s_and_saveexec_b32 s0, vcc_lo
	s_cbranch_execz .LBB140_4
.LBB140_8:
	v_dual_mov_b32 v1, s1 :: v_dual_add_nc_u32 v0, s4, v0
	global_store_b8 v0, v1, s[2:3]
	s_nop 0
	s_sendmsg sendmsg(MSG_DEALLOC_VGPRS)
	s_endpgm
	.section	.rodata,"a",@progbits
	.p2align	6, 0x0
	.amdhsa_kernel _ZN2at6native27unrolled_elementwise_kernelINS0_11FillFunctorIN3c1015Float8_e4m3fnuzEEESt5arrayIPcLm1EELi4E23TrivialOffsetCalculatorILi0EjES9_ILi1EjENS0_6memory15LoadWithoutCastENSC_16StoreWithoutCastEEEviT_T0_T2_T3_T4_T5_
		.amdhsa_group_segment_fixed_size 0
		.amdhsa_private_segment_fixed_size 0
		.amdhsa_kernarg_size 20
		.amdhsa_user_sgpr_count 15
		.amdhsa_user_sgpr_dispatch_ptr 0
		.amdhsa_user_sgpr_queue_ptr 0
		.amdhsa_user_sgpr_kernarg_segment_ptr 1
		.amdhsa_user_sgpr_dispatch_id 0
		.amdhsa_user_sgpr_private_segment_size 0
		.amdhsa_wavefront_size32 1
		.amdhsa_uses_dynamic_stack 0
		.amdhsa_enable_private_segment 0
		.amdhsa_system_sgpr_workgroup_id_x 1
		.amdhsa_system_sgpr_workgroup_id_y 0
		.amdhsa_system_sgpr_workgroup_id_z 0
		.amdhsa_system_sgpr_workgroup_info 0
		.amdhsa_system_vgpr_workitem_id 0
		.amdhsa_next_free_vgpr 4
		.amdhsa_next_free_sgpr 16
		.amdhsa_reserve_vcc 1
		.amdhsa_float_round_mode_32 0
		.amdhsa_float_round_mode_16_64 0
		.amdhsa_float_denorm_mode_32 3
		.amdhsa_float_denorm_mode_16_64 3
		.amdhsa_dx10_clamp 1
		.amdhsa_ieee_mode 1
		.amdhsa_fp16_overflow 0
		.amdhsa_workgroup_processor_mode 1
		.amdhsa_memory_ordered 1
		.amdhsa_forward_progress 0
		.amdhsa_shared_vgpr_count 0
		.amdhsa_exception_fp_ieee_invalid_op 0
		.amdhsa_exception_fp_denorm_src 0
		.amdhsa_exception_fp_ieee_div_zero 0
		.amdhsa_exception_fp_ieee_overflow 0
		.amdhsa_exception_fp_ieee_underflow 0
		.amdhsa_exception_fp_ieee_inexact 0
		.amdhsa_exception_int_div_zero 0
	.end_amdhsa_kernel
	.section	.text._ZN2at6native27unrolled_elementwise_kernelINS0_11FillFunctorIN3c1015Float8_e4m3fnuzEEESt5arrayIPcLm1EELi4E23TrivialOffsetCalculatorILi0EjES9_ILi1EjENS0_6memory15LoadWithoutCastENSC_16StoreWithoutCastEEEviT_T0_T2_T3_T4_T5_,"axG",@progbits,_ZN2at6native27unrolled_elementwise_kernelINS0_11FillFunctorIN3c1015Float8_e4m3fnuzEEESt5arrayIPcLm1EELi4E23TrivialOffsetCalculatorILi0EjES9_ILi1EjENS0_6memory15LoadWithoutCastENSC_16StoreWithoutCastEEEviT_T0_T2_T3_T4_T5_,comdat
.Lfunc_end140:
	.size	_ZN2at6native27unrolled_elementwise_kernelINS0_11FillFunctorIN3c1015Float8_e4m3fnuzEEESt5arrayIPcLm1EELi4E23TrivialOffsetCalculatorILi0EjES9_ILi1EjENS0_6memory15LoadWithoutCastENSC_16StoreWithoutCastEEEviT_T0_T2_T3_T4_T5_, .Lfunc_end140-_ZN2at6native27unrolled_elementwise_kernelINS0_11FillFunctorIN3c1015Float8_e4m3fnuzEEESt5arrayIPcLm1EELi4E23TrivialOffsetCalculatorILi0EjES9_ILi1EjENS0_6memory15LoadWithoutCastENSC_16StoreWithoutCastEEEviT_T0_T2_T3_T4_T5_
                                        ; -- End function
	.section	.AMDGPU.csdata,"",@progbits
; Kernel info:
; codeLenInByte = 292
; NumSgprs: 18
; NumVgprs: 4
; ScratchSize: 0
; MemoryBound: 0
; FloatMode: 240
; IeeeMode: 1
; LDSByteSize: 0 bytes/workgroup (compile time only)
; SGPRBlocks: 2
; VGPRBlocks: 0
; NumSGPRsForWavesPerEU: 18
; NumVGPRsForWavesPerEU: 4
; Occupancy: 16
; WaveLimiterHint : 0
; COMPUTE_PGM_RSRC2:SCRATCH_EN: 0
; COMPUTE_PGM_RSRC2:USER_SGPR: 15
; COMPUTE_PGM_RSRC2:TRAP_HANDLER: 0
; COMPUTE_PGM_RSRC2:TGID_X_EN: 1
; COMPUTE_PGM_RSRC2:TGID_Y_EN: 0
; COMPUTE_PGM_RSRC2:TGID_Z_EN: 0
; COMPUTE_PGM_RSRC2:TIDIG_COMP_CNT: 0
	.section	.text._ZN2at6native32elementwise_kernel_manual_unrollILi128ELi8EZNS0_22gpu_kernel_impl_nocastINS0_11FillFunctorIN3c1015Float8_e4m3fnuzEEEEEvRNS_18TensorIteratorBaseERKT_EUlibE_EEviT1_,"axG",@progbits,_ZN2at6native32elementwise_kernel_manual_unrollILi128ELi8EZNS0_22gpu_kernel_impl_nocastINS0_11FillFunctorIN3c1015Float8_e4m3fnuzEEEEEvRNS_18TensorIteratorBaseERKT_EUlibE_EEviT1_,comdat
	.protected	_ZN2at6native32elementwise_kernel_manual_unrollILi128ELi8EZNS0_22gpu_kernel_impl_nocastINS0_11FillFunctorIN3c1015Float8_e4m3fnuzEEEEEvRNS_18TensorIteratorBaseERKT_EUlibE_EEviT1_ ; -- Begin function _ZN2at6native32elementwise_kernel_manual_unrollILi128ELi8EZNS0_22gpu_kernel_impl_nocastINS0_11FillFunctorIN3c1015Float8_e4m3fnuzEEEEEvRNS_18TensorIteratorBaseERKT_EUlibE_EEviT1_
	.globl	_ZN2at6native32elementwise_kernel_manual_unrollILi128ELi8EZNS0_22gpu_kernel_impl_nocastINS0_11FillFunctorIN3c1015Float8_e4m3fnuzEEEEEvRNS_18TensorIteratorBaseERKT_EUlibE_EEviT1_
	.p2align	8
	.type	_ZN2at6native32elementwise_kernel_manual_unrollILi128ELi8EZNS0_22gpu_kernel_impl_nocastINS0_11FillFunctorIN3c1015Float8_e4m3fnuzEEEEEvRNS_18TensorIteratorBaseERKT_EUlibE_EEviT1_,@function
_ZN2at6native32elementwise_kernel_manual_unrollILi128ELi8EZNS0_22gpu_kernel_impl_nocastINS0_11FillFunctorIN3c1015Float8_e4m3fnuzEEEEEvRNS_18TensorIteratorBaseERKT_EUlibE_EEviT1_: ; @_ZN2at6native32elementwise_kernel_manual_unrollILi128ELi8EZNS0_22gpu_kernel_impl_nocastINS0_11FillFunctorIN3c1015Float8_e4m3fnuzEEEEEvRNS_18TensorIteratorBaseERKT_EUlibE_EEviT1_
; %bb.0:
	s_clause 0x1
	s_load_b32 s18, s[0:1], 0x8
	s_load_b32 s24, s[0:1], 0x0
	v_lshl_or_b32 v6, s15, 10, v0
	s_or_b32 s0, s0, 8
	s_mov_b32 s2, exec_lo
	s_delay_alu instid0(VALU_DEP_1) | instskip(SKIP_2) | instid1(SALU_CYCLE_1)
	v_or_b32_e32 v8, 0x380, v6
	s_waitcnt lgkmcnt(0)
	s_add_i32 s19, s18, -1
	s_cmp_gt_u32 s19, 1
	s_cselect_b32 s20, -1, 0
	v_cmpx_le_i32_e64 s24, v8
	s_xor_b32 s21, exec_lo, s2
	s_cbranch_execz .LBB141_7
; %bb.1:
	s_clause 0x4
	s_load_b128 s[4:7], s[0:1], 0x4
	s_load_b64 s[10:11], s[0:1], 0x14
	s_load_b64 s[8:9], s[0:1], 0xc4
	;; [unrolled: 1-line block ×3, first 2 shown]
	s_load_b32 s22, s[0:1], 0x110
	s_cmp_lg_u32 s18, 0
	s_mov_b32 s27, exec_lo
	s_cselect_b32 s26, -1, 0
	s_add_u32 s12, s0, 0xc4
	s_addc_u32 s13, s1, 0
	s_min_u32 s25, s19, 15
	s_cmp_gt_u32 s18, 1
	s_cselect_b32 s23, -1, 0
	v_cmpx_gt_i32_e64 s24, v6
	s_cbranch_execz .LBB141_14
; %bb.2:
	s_and_not1_b32 vcc_lo, exec_lo, s20
	s_cbranch_vccnz .LBB141_21
; %bb.3:
	v_mov_b32_e32 v0, 0
	s_and_not1_b32 vcc_lo, exec_lo, s26
	s_cbranch_vccnz .LBB141_125
; %bb.4:
	s_add_i32 s29, s25, 1
	s_cmp_eq_u32 s19, 2
	s_mov_b32 s28, 0
	s_cbranch_scc1 .LBB141_121
; %bb.5:
	v_dual_mov_b32 v0, 0 :: v_dual_mov_b32 v1, v6
	s_and_b32 s28, s29, 28
	s_mov_b32 s30, 0
	s_mov_b64 s[14:15], s[0:1]
	s_mov_b64 s[16:17], s[12:13]
.LBB141_6:                              ; =>This Inner Loop Header: Depth=1
	s_clause 0x1
	s_load_b256 s[36:43], s[14:15], 0x4
	s_load_b128 s[44:47], s[14:15], 0x24
	s_load_b128 s[48:51], s[16:17], 0x0
	s_add_u32 s14, s14, 48
	s_addc_u32 s15, s15, 0
	s_add_i32 s30, s30, 4
	s_add_u32 s16, s16, 16
	s_addc_u32 s17, s17, 0
	s_cmp_lg_u32 s28, s30
	s_waitcnt lgkmcnt(0)
	v_mul_hi_u32 v2, s37, v1
	s_delay_alu instid0(VALU_DEP_1) | instskip(NEXT) | instid1(VALU_DEP_1)
	v_add_nc_u32_e32 v2, v1, v2
	v_lshrrev_b32_e32 v2, s38, v2
	s_delay_alu instid0(VALU_DEP_1) | instskip(SKIP_1) | instid1(VALU_DEP_2)
	v_mul_hi_u32 v3, s40, v2
	v_mul_lo_u32 v7, v2, s36
	v_add_nc_u32_e32 v3, v2, v3
	s_delay_alu instid0(VALU_DEP_2) | instskip(NEXT) | instid1(VALU_DEP_2)
	v_sub_nc_u32_e32 v7, v1, v7
	v_lshrrev_b32_e32 v3, s41, v3
	s_delay_alu instid0(VALU_DEP_2) | instskip(NEXT) | instid1(VALU_DEP_2)
	v_mul_lo_u32 v7, v7, s48
	v_mul_hi_u32 v4, s43, v3
	v_mul_lo_u32 v8, v3, s39
	s_delay_alu instid0(VALU_DEP_2) | instskip(NEXT) | instid1(VALU_DEP_2)
	v_add_nc_u32_e32 v4, v3, v4
	v_sub_nc_u32_e32 v2, v2, v8
	s_delay_alu instid0(VALU_DEP_2) | instskip(NEXT) | instid1(VALU_DEP_2)
	v_lshrrev_b32_e32 v4, s44, v4
	v_mul_lo_u32 v2, v2, s49
	s_delay_alu instid0(VALU_DEP_2) | instskip(NEXT) | instid1(VALU_DEP_2)
	v_mul_hi_u32 v5, s46, v4
	v_add3_u32 v0, v7, v0, v2
	s_delay_alu instid0(VALU_DEP_2) | instskip(NEXT) | instid1(VALU_DEP_1)
	v_add_nc_u32_e32 v5, v4, v5
	v_lshrrev_b32_e32 v1, s47, v5
	v_mul_lo_u32 v5, v4, s42
	s_delay_alu instid0(VALU_DEP_2) | instskip(NEXT) | instid1(VALU_DEP_2)
	v_mul_lo_u32 v9, v1, s45
	v_sub_nc_u32_e32 v3, v3, v5
	s_delay_alu instid0(VALU_DEP_2) | instskip(NEXT) | instid1(VALU_DEP_2)
	v_sub_nc_u32_e32 v4, v4, v9
	v_mul_lo_u32 v3, v3, s50
	s_delay_alu instid0(VALU_DEP_2) | instskip(NEXT) | instid1(VALU_DEP_1)
	v_mul_lo_u32 v4, v4, s51
	v_add3_u32 v0, v3, v0, v4
	s_cbranch_scc1 .LBB141_6
	s_branch .LBB141_122
.LBB141_7:
	s_and_not1_saveexec_b32 s2, s21
	s_cbranch_execz .LBB141_206
.LBB141_8:
	v_cndmask_b32_e64 v7, 0, 1, s20
	s_and_not1_b32 vcc_lo, exec_lo, s20
	s_cbranch_vccnz .LBB141_20
; %bb.9:
	v_mov_b32_e32 v0, 0
	s_cmp_eq_u32 s18, 0
	s_mov_b32 s6, 0
	s_cbranch_scc1 .LBB141_26
; %bb.10:
	s_min_u32 s7, s19, 15
	v_mov_b32_e32 v0, 0
	s_add_i32 s7, s7, 1
	s_cmp_eq_u32 s19, 2
	s_mov_b32 s8, 0
	s_cbranch_scc1 .LBB141_23
; %bb.11:
	v_dual_mov_b32 v0, 0 :: v_dual_mov_b32 v1, v6
	s_add_u32 s2, s0, 0xc4
	s_addc_u32 s3, s1, 0
	s_and_b32 s8, s7, 28
	s_mov_b32 s9, 0
	s_mov_b64 s[4:5], s[0:1]
.LBB141_12:                             ; =>This Inner Loop Header: Depth=1
	s_clause 0x1
	s_load_b256 s[20:27], s[4:5], 0x4
	s_load_b128 s[12:15], s[4:5], 0x24
	s_load_b128 s[28:31], s[2:3], 0x0
	s_add_u32 s4, s4, 48
	s_addc_u32 s5, s5, 0
	s_add_i32 s9, s9, 4
	s_add_u32 s2, s2, 16
	s_addc_u32 s3, s3, 0
	s_cmp_lg_u32 s8, s9
	s_waitcnt lgkmcnt(0)
	v_mul_hi_u32 v2, s21, v1
	s_delay_alu instid0(VALU_DEP_1) | instskip(NEXT) | instid1(VALU_DEP_1)
	v_add_nc_u32_e32 v2, v1, v2
	v_lshrrev_b32_e32 v2, s22, v2
	s_delay_alu instid0(VALU_DEP_1) | instskip(SKIP_1) | instid1(VALU_DEP_2)
	v_mul_hi_u32 v3, s24, v2
	v_mul_lo_u32 v9, v2, s20
	v_add_nc_u32_e32 v3, v2, v3
	s_delay_alu instid0(VALU_DEP_2) | instskip(NEXT) | instid1(VALU_DEP_2)
	v_sub_nc_u32_e32 v9, v1, v9
	v_lshrrev_b32_e32 v3, s25, v3
	s_delay_alu instid0(VALU_DEP_2) | instskip(NEXT) | instid1(VALU_DEP_2)
	v_mul_lo_u32 v9, v9, s28
	v_mul_hi_u32 v4, s27, v3
	v_mul_lo_u32 v10, v3, s23
	s_delay_alu instid0(VALU_DEP_2) | instskip(NEXT) | instid1(VALU_DEP_2)
	v_add_nc_u32_e32 v4, v3, v4
	v_sub_nc_u32_e32 v2, v2, v10
	s_delay_alu instid0(VALU_DEP_2) | instskip(NEXT) | instid1(VALU_DEP_2)
	v_lshrrev_b32_e32 v4, s12, v4
	v_mul_lo_u32 v2, v2, s29
	s_delay_alu instid0(VALU_DEP_2) | instskip(NEXT) | instid1(VALU_DEP_2)
	v_mul_hi_u32 v5, s14, v4
	v_add3_u32 v0, v9, v0, v2
	s_delay_alu instid0(VALU_DEP_2) | instskip(NEXT) | instid1(VALU_DEP_1)
	v_add_nc_u32_e32 v5, v4, v5
	v_lshrrev_b32_e32 v1, s15, v5
	v_mul_lo_u32 v5, v4, s26
	s_delay_alu instid0(VALU_DEP_2) | instskip(NEXT) | instid1(VALU_DEP_2)
	v_mul_lo_u32 v11, v1, s13
	v_sub_nc_u32_e32 v3, v3, v5
	s_delay_alu instid0(VALU_DEP_2) | instskip(NEXT) | instid1(VALU_DEP_2)
	v_sub_nc_u32_e32 v4, v4, v11
	v_mul_lo_u32 v3, v3, s30
	s_delay_alu instid0(VALU_DEP_2) | instskip(NEXT) | instid1(VALU_DEP_1)
	v_mul_lo_u32 v4, v4, s31
	v_add3_u32 v0, v3, v0, v4
	s_cbranch_scc1 .LBB141_12
; %bb.13:
	s_and_b32 s7, s7, 3
	s_delay_alu instid0(SALU_CYCLE_1)
	s_cmp_eq_u32 s7, 0
	s_cbranch_scc0 .LBB141_24
	s_branch .LBB141_26
.LBB141_14:
	s_or_b32 exec_lo, exec_lo, s27
	s_delay_alu instid0(SALU_CYCLE_1)
	s_mov_b32 s27, exec_lo
	v_cmpx_gt_i32_e64 s24, v6
	s_cbranch_execz .LBB141_129
.LBB141_15:
	s_and_not1_b32 vcc_lo, exec_lo, s20
	s_cbranch_vccnz .LBB141_22
; %bb.16:
	v_mov_b32_e32 v0, 0
	s_and_not1_b32 vcc_lo, exec_lo, s26
	s_cbranch_vccnz .LBB141_140
; %bb.17:
	s_add_i32 s29, s25, 1
	s_cmp_eq_u32 s19, 2
	s_mov_b32 s28, 0
	s_cbranch_scc1 .LBB141_136
; %bb.18:
	v_dual_mov_b32 v0, 0 :: v_dual_mov_b32 v1, v6
	s_and_b32 s28, s29, 28
	s_mov_b32 s30, 0
	s_mov_b64 s[14:15], s[0:1]
	s_mov_b64 s[16:17], s[12:13]
.LBB141_19:                             ; =>This Inner Loop Header: Depth=1
	s_clause 0x1
	s_load_b256 s[36:43], s[14:15], 0x4
	s_load_b128 s[44:47], s[14:15], 0x24
	s_load_b128 s[48:51], s[16:17], 0x0
	s_add_u32 s14, s14, 48
	s_addc_u32 s15, s15, 0
	s_add_i32 s30, s30, 4
	s_add_u32 s16, s16, 16
	s_addc_u32 s17, s17, 0
	s_cmp_eq_u32 s28, s30
	s_waitcnt lgkmcnt(0)
	v_mul_hi_u32 v2, s37, v1
	s_delay_alu instid0(VALU_DEP_1) | instskip(NEXT) | instid1(VALU_DEP_1)
	v_add_nc_u32_e32 v2, v1, v2
	v_lshrrev_b32_e32 v2, s38, v2
	s_delay_alu instid0(VALU_DEP_1) | instskip(SKIP_1) | instid1(VALU_DEP_2)
	v_mul_hi_u32 v3, s40, v2
	v_mul_lo_u32 v7, v2, s36
	v_add_nc_u32_e32 v3, v2, v3
	s_delay_alu instid0(VALU_DEP_2) | instskip(NEXT) | instid1(VALU_DEP_2)
	v_sub_nc_u32_e32 v7, v1, v7
	v_lshrrev_b32_e32 v3, s41, v3
	s_delay_alu instid0(VALU_DEP_2) | instskip(NEXT) | instid1(VALU_DEP_2)
	v_mul_lo_u32 v7, v7, s48
	v_mul_hi_u32 v4, s43, v3
	v_mul_lo_u32 v8, v3, s39
	s_delay_alu instid0(VALU_DEP_2) | instskip(NEXT) | instid1(VALU_DEP_2)
	v_add_nc_u32_e32 v4, v3, v4
	v_sub_nc_u32_e32 v2, v2, v8
	s_delay_alu instid0(VALU_DEP_2) | instskip(NEXT) | instid1(VALU_DEP_2)
	v_lshrrev_b32_e32 v4, s44, v4
	v_mul_lo_u32 v2, v2, s49
	s_delay_alu instid0(VALU_DEP_2) | instskip(NEXT) | instid1(VALU_DEP_2)
	v_mul_hi_u32 v5, s46, v4
	v_add3_u32 v0, v7, v0, v2
	s_delay_alu instid0(VALU_DEP_2) | instskip(NEXT) | instid1(VALU_DEP_1)
	v_add_nc_u32_e32 v5, v4, v5
	v_lshrrev_b32_e32 v1, s47, v5
	v_mul_lo_u32 v5, v4, s42
	s_delay_alu instid0(VALU_DEP_2) | instskip(NEXT) | instid1(VALU_DEP_2)
	v_mul_lo_u32 v9, v1, s45
	v_sub_nc_u32_e32 v3, v3, v5
	s_delay_alu instid0(VALU_DEP_2) | instskip(NEXT) | instid1(VALU_DEP_2)
	v_sub_nc_u32_e32 v4, v4, v9
	v_mul_lo_u32 v3, v3, s50
	s_delay_alu instid0(VALU_DEP_2) | instskip(NEXT) | instid1(VALU_DEP_1)
	v_mul_lo_u32 v4, v4, s51
	v_add3_u32 v0, v3, v0, v4
	s_cbranch_scc0 .LBB141_19
	s_branch .LBB141_137
.LBB141_20:
	s_mov_b32 s6, -1
                                        ; implicit-def: $vgpr0
	s_branch .LBB141_26
.LBB141_21:
                                        ; implicit-def: $vgpr0
	s_branch .LBB141_126
.LBB141_22:
                                        ; implicit-def: $vgpr0
	s_branch .LBB141_141
.LBB141_23:
	v_mov_b32_e32 v1, v6
	s_and_b32 s7, s7, 3
	s_delay_alu instid0(SALU_CYCLE_1)
	s_cmp_eq_u32 s7, 0
	s_cbranch_scc1 .LBB141_26
.LBB141_24:
	s_lshl_b32 s2, s8, 2
	s_mul_i32 s4, s8, 12
	s_add_u32 s2, s2, s0
	s_addc_u32 s3, 0, s1
	s_add_u32 s2, s2, 0xc4
	s_addc_u32 s3, s3, 0
	;; [unrolled: 2-line block ×3, first 2 shown]
	.p2align	6
.LBB141_25:                             ; =>This Inner Loop Header: Depth=1
	s_clause 0x1
	s_load_b64 s[8:9], s[4:5], 0x4
	s_load_b32 s10, s[4:5], 0xc
	s_add_u32 s4, s4, 12
	s_addc_u32 s5, s5, 0
	s_waitcnt lgkmcnt(0)
	v_mul_hi_u32 v2, s9, v1
	s_load_b32 s9, s[2:3], 0x0
	s_add_u32 s2, s2, 4
	s_addc_u32 s3, s3, 0
	s_add_i32 s7, s7, -1
	s_delay_alu instid0(SALU_CYCLE_1) | instskip(NEXT) | instid1(VALU_DEP_1)
	s_cmp_lg_u32 s7, 0
	v_add_nc_u32_e32 v2, v1, v2
	s_delay_alu instid0(VALU_DEP_1) | instskip(NEXT) | instid1(VALU_DEP_1)
	v_lshrrev_b32_e32 v4, s10, v2
	v_mul_lo_u32 v2, v4, s8
	s_delay_alu instid0(VALU_DEP_1) | instskip(SKIP_1) | instid1(VALU_DEP_1)
	v_sub_nc_u32_e32 v1, v1, v2
	s_waitcnt lgkmcnt(0)
	v_mad_u64_u32 v[2:3], null, v1, s9, v[0:1]
	s_delay_alu instid0(VALU_DEP_1)
	v_dual_mov_b32 v1, v4 :: v_dual_mov_b32 v0, v2
	s_cbranch_scc1 .LBB141_25
.LBB141_26:
	s_and_not1_b32 vcc_lo, exec_lo, s6
	s_cbranch_vccnz .LBB141_29
; %bb.27:
	s_clause 0x1
	s_load_b128 s[4:7], s[0:1], 0x4
	s_load_b32 s2, s[0:1], 0xc4
	s_cmp_lt_u32 s18, 2
	s_waitcnt lgkmcnt(0)
	v_mul_hi_u32 v0, s5, v6
	s_delay_alu instid0(VALU_DEP_1) | instskip(NEXT) | instid1(VALU_DEP_1)
	v_add_nc_u32_e32 v0, v6, v0
	v_lshrrev_b32_e32 v1, s6, v0
	s_delay_alu instid0(VALU_DEP_1) | instskip(NEXT) | instid1(VALU_DEP_1)
	v_mul_lo_u32 v0, v1, s4
	v_sub_nc_u32_e32 v0, v6, v0
	s_delay_alu instid0(VALU_DEP_1)
	v_mul_lo_u32 v0, v0, s2
	s_cbranch_scc1 .LBB141_29
; %bb.28:
	s_clause 0x1
	s_load_b128 s[4:7], s[0:1], 0x10
	s_load_b32 s2, s[0:1], 0xc8
	s_waitcnt lgkmcnt(0)
	v_mul_hi_u32 v2, s5, v1
	s_delay_alu instid0(VALU_DEP_1) | instskip(NEXT) | instid1(VALU_DEP_1)
	v_add_nc_u32_e32 v2, v1, v2
	v_lshrrev_b32_e32 v2, s6, v2
	s_delay_alu instid0(VALU_DEP_1) | instskip(NEXT) | instid1(VALU_DEP_1)
	v_mul_lo_u32 v2, v2, s4
	v_sub_nc_u32_e32 v3, v1, v2
	s_delay_alu instid0(VALU_DEP_1) | instskip(NEXT) | instid1(VALU_DEP_1)
	v_mad_u64_u32 v[1:2], null, v3, s2, v[0:1]
	v_mov_b32_e32 v0, v1
.LBB141_29:
	v_cmp_ne_u32_e32 vcc_lo, 1, v7
	v_add_nc_u32_e32 v2, 0x80, v6
	s_cbranch_vccnz .LBB141_35
; %bb.30:
	v_mov_b32_e32 v1, 0
	s_cmp_eq_u32 s18, 0
	s_mov_b32 s6, 0
	s_cbranch_scc1 .LBB141_39
; %bb.31:
	s_min_u32 s7, s19, 15
	v_mov_b32_e32 v1, 0
	s_add_i32 s7, s7, 1
	s_cmp_eq_u32 s19, 2
	s_mov_b32 s8, 0
	s_cbranch_scc1 .LBB141_36
; %bb.32:
	v_mov_b32_e32 v1, 0
	v_mov_b32_e32 v3, v2
	s_add_u32 s2, s0, 0xc4
	s_addc_u32 s3, s1, 0
	s_and_b32 s8, s7, 28
	s_mov_b32 s9, 0
	s_mov_b64 s[4:5], s[0:1]
.LBB141_33:                             ; =>This Inner Loop Header: Depth=1
	s_clause 0x1
	s_load_b256 s[20:27], s[4:5], 0x4
	s_load_b128 s[12:15], s[4:5], 0x24
	s_load_b128 s[28:31], s[2:3], 0x0
	s_add_u32 s4, s4, 48
	s_addc_u32 s5, s5, 0
	s_add_i32 s9, s9, 4
	s_add_u32 s2, s2, 16
	s_addc_u32 s3, s3, 0
	s_cmp_lg_u32 s8, s9
	s_waitcnt lgkmcnt(0)
	v_mul_hi_u32 v4, s21, v3
	s_delay_alu instid0(VALU_DEP_1) | instskip(NEXT) | instid1(VALU_DEP_1)
	v_add_nc_u32_e32 v4, v3, v4
	v_lshrrev_b32_e32 v4, s22, v4
	s_delay_alu instid0(VALU_DEP_1) | instskip(SKIP_1) | instid1(VALU_DEP_2)
	v_mul_hi_u32 v5, s24, v4
	v_mul_lo_u32 v11, v4, s20
	v_add_nc_u32_e32 v5, v4, v5
	s_delay_alu instid0(VALU_DEP_2) | instskip(NEXT) | instid1(VALU_DEP_2)
	v_sub_nc_u32_e32 v11, v3, v11
	v_lshrrev_b32_e32 v5, s25, v5
	s_delay_alu instid0(VALU_DEP_2) | instskip(NEXT) | instid1(VALU_DEP_2)
	v_mul_lo_u32 v11, v11, s28
	v_mul_hi_u32 v9, s27, v5
	v_mul_lo_u32 v12, v5, s23
	s_delay_alu instid0(VALU_DEP_2) | instskip(NEXT) | instid1(VALU_DEP_2)
	v_add_nc_u32_e32 v9, v5, v9
	v_sub_nc_u32_e32 v4, v4, v12
	s_delay_alu instid0(VALU_DEP_2) | instskip(NEXT) | instid1(VALU_DEP_2)
	v_lshrrev_b32_e32 v9, s12, v9
	v_mul_lo_u32 v4, v4, s29
	s_delay_alu instid0(VALU_DEP_2) | instskip(NEXT) | instid1(VALU_DEP_2)
	v_mul_hi_u32 v10, s14, v9
	v_add3_u32 v1, v11, v1, v4
	s_delay_alu instid0(VALU_DEP_2) | instskip(NEXT) | instid1(VALU_DEP_1)
	v_add_nc_u32_e32 v10, v9, v10
	v_lshrrev_b32_e32 v3, s15, v10
	v_mul_lo_u32 v10, v9, s26
	s_delay_alu instid0(VALU_DEP_2) | instskip(NEXT) | instid1(VALU_DEP_2)
	v_mul_lo_u32 v13, v3, s13
	v_sub_nc_u32_e32 v5, v5, v10
	s_delay_alu instid0(VALU_DEP_2) | instskip(NEXT) | instid1(VALU_DEP_2)
	v_sub_nc_u32_e32 v9, v9, v13
	v_mul_lo_u32 v5, v5, s30
	s_delay_alu instid0(VALU_DEP_2) | instskip(NEXT) | instid1(VALU_DEP_1)
	v_mul_lo_u32 v9, v9, s31
	v_add3_u32 v1, v5, v1, v9
	s_cbranch_scc1 .LBB141_33
; %bb.34:
	s_and_b32 s7, s7, 3
	s_delay_alu instid0(SALU_CYCLE_1)
	s_cmp_eq_u32 s7, 0
	s_cbranch_scc0 .LBB141_37
	s_branch .LBB141_39
.LBB141_35:
	s_mov_b32 s6, -1
                                        ; implicit-def: $vgpr1
	s_branch .LBB141_39
.LBB141_36:
	v_mov_b32_e32 v3, v2
	s_and_b32 s7, s7, 3
	s_delay_alu instid0(SALU_CYCLE_1)
	s_cmp_eq_u32 s7, 0
	s_cbranch_scc1 .LBB141_39
.LBB141_37:
	s_lshl_b32 s2, s8, 2
	s_mul_i32 s4, s8, 12
	s_add_u32 s2, s2, s0
	s_addc_u32 s3, 0, s1
	s_add_u32 s2, s2, 0xc4
	s_addc_u32 s3, s3, 0
	s_add_u32 s4, s0, s4
	s_addc_u32 s5, 0, s1
	.p2align	6
.LBB141_38:                             ; =>This Inner Loop Header: Depth=1
	s_clause 0x1
	s_load_b64 s[8:9], s[4:5], 0x4
	s_load_b32 s10, s[4:5], 0xc
	s_add_u32 s4, s4, 12
	s_addc_u32 s5, s5, 0
	s_waitcnt lgkmcnt(0)
	v_mul_hi_u32 v4, s9, v3
	s_load_b32 s9, s[2:3], 0x0
	s_add_u32 s2, s2, 4
	s_addc_u32 s3, s3, 0
	s_add_i32 s7, s7, -1
	s_delay_alu instid0(SALU_CYCLE_1) | instskip(NEXT) | instid1(VALU_DEP_1)
	s_cmp_lg_u32 s7, 0
	v_add_nc_u32_e32 v4, v3, v4
	s_delay_alu instid0(VALU_DEP_1) | instskip(NEXT) | instid1(VALU_DEP_1)
	v_lshrrev_b32_e32 v9, s10, v4
	v_mul_lo_u32 v4, v9, s8
	s_delay_alu instid0(VALU_DEP_1) | instskip(SKIP_1) | instid1(VALU_DEP_1)
	v_sub_nc_u32_e32 v3, v3, v4
	s_waitcnt lgkmcnt(0)
	v_mad_u64_u32 v[4:5], null, v3, s9, v[1:2]
	v_mov_b32_e32 v3, v9
	s_delay_alu instid0(VALU_DEP_2)
	v_mov_b32_e32 v1, v4
	s_cbranch_scc1 .LBB141_38
.LBB141_39:
	s_and_not1_b32 vcc_lo, exec_lo, s6
	s_cbranch_vccnz .LBB141_42
; %bb.40:
	s_clause 0x1
	s_load_b128 s[4:7], s[0:1], 0x4
	s_load_b32 s2, s[0:1], 0xc4
	s_cmp_lt_u32 s18, 2
	s_waitcnt lgkmcnt(0)
	v_mul_hi_u32 v1, s5, v2
	s_delay_alu instid0(VALU_DEP_1) | instskip(NEXT) | instid1(VALU_DEP_1)
	v_add_nc_u32_e32 v1, v2, v1
	v_lshrrev_b32_e32 v3, s6, v1
	s_delay_alu instid0(VALU_DEP_1) | instskip(NEXT) | instid1(VALU_DEP_1)
	v_mul_lo_u32 v1, v3, s4
	v_sub_nc_u32_e32 v1, v2, v1
	s_delay_alu instid0(VALU_DEP_1)
	v_mul_lo_u32 v1, v1, s2
	s_cbranch_scc1 .LBB141_42
; %bb.41:
	s_clause 0x1
	s_load_b128 s[4:7], s[0:1], 0x10
	s_load_b32 s2, s[0:1], 0xc8
	s_waitcnt lgkmcnt(0)
	v_mul_hi_u32 v2, s5, v3
	s_delay_alu instid0(VALU_DEP_1) | instskip(NEXT) | instid1(VALU_DEP_1)
	v_add_nc_u32_e32 v2, v3, v2
	v_lshrrev_b32_e32 v2, s6, v2
	s_delay_alu instid0(VALU_DEP_1) | instskip(NEXT) | instid1(VALU_DEP_1)
	v_mul_lo_u32 v2, v2, s4
	v_sub_nc_u32_e32 v4, v3, v2
	s_delay_alu instid0(VALU_DEP_1) | instskip(NEXT) | instid1(VALU_DEP_1)
	v_mad_u64_u32 v[2:3], null, v4, s2, v[1:2]
	v_mov_b32_e32 v1, v2
.LBB141_42:
	v_cmp_ne_u32_e32 vcc_lo, 1, v7
	v_add_nc_u32_e32 v3, 0x100, v6
	s_cbranch_vccnz .LBB141_48
; %bb.43:
	v_mov_b32_e32 v2, 0
	s_cmp_eq_u32 s18, 0
	s_mov_b32 s6, 0
	s_cbranch_scc1 .LBB141_52
; %bb.44:
	s_min_u32 s7, s19, 15
	v_mov_b32_e32 v2, 0
	s_add_i32 s7, s7, 1
	s_cmp_eq_u32 s19, 2
	s_mov_b32 s8, 0
	s_cbranch_scc1 .LBB141_49
; %bb.45:
	v_mov_b32_e32 v2, 0
	v_mov_b32_e32 v4, v3
	s_add_u32 s2, s0, 0xc4
	s_addc_u32 s3, s1, 0
	s_and_b32 s8, s7, 28
	s_mov_b32 s9, 0
	s_mov_b64 s[4:5], s[0:1]
.LBB141_46:                             ; =>This Inner Loop Header: Depth=1
	s_clause 0x1
	s_load_b256 s[20:27], s[4:5], 0x4
	s_load_b128 s[12:15], s[4:5], 0x24
	s_load_b128 s[28:31], s[2:3], 0x0
	s_add_u32 s4, s4, 48
	s_addc_u32 s5, s5, 0
	s_add_i32 s9, s9, 4
	s_add_u32 s2, s2, 16
	s_addc_u32 s3, s3, 0
	s_cmp_lg_u32 s8, s9
	s_waitcnt lgkmcnt(0)
	v_mul_hi_u32 v5, s21, v4
	s_delay_alu instid0(VALU_DEP_1) | instskip(NEXT) | instid1(VALU_DEP_1)
	v_add_nc_u32_e32 v5, v4, v5
	v_lshrrev_b32_e32 v5, s22, v5
	s_delay_alu instid0(VALU_DEP_1) | instskip(SKIP_1) | instid1(VALU_DEP_2)
	v_mul_hi_u32 v9, s24, v5
	v_mul_lo_u32 v12, v5, s20
	v_add_nc_u32_e32 v9, v5, v9
	s_delay_alu instid0(VALU_DEP_2) | instskip(NEXT) | instid1(VALU_DEP_2)
	v_sub_nc_u32_e32 v12, v4, v12
	v_lshrrev_b32_e32 v9, s25, v9
	s_delay_alu instid0(VALU_DEP_2) | instskip(NEXT) | instid1(VALU_DEP_2)
	v_mul_lo_u32 v12, v12, s28
	v_mul_hi_u32 v10, s27, v9
	v_mul_lo_u32 v13, v9, s23
	s_delay_alu instid0(VALU_DEP_2) | instskip(NEXT) | instid1(VALU_DEP_2)
	v_add_nc_u32_e32 v10, v9, v10
	v_sub_nc_u32_e32 v5, v5, v13
	s_delay_alu instid0(VALU_DEP_2) | instskip(NEXT) | instid1(VALU_DEP_2)
	v_lshrrev_b32_e32 v10, s12, v10
	v_mul_lo_u32 v5, v5, s29
	s_delay_alu instid0(VALU_DEP_2) | instskip(NEXT) | instid1(VALU_DEP_2)
	v_mul_hi_u32 v11, s14, v10
	v_add3_u32 v2, v12, v2, v5
	s_delay_alu instid0(VALU_DEP_2) | instskip(NEXT) | instid1(VALU_DEP_1)
	v_add_nc_u32_e32 v11, v10, v11
	v_lshrrev_b32_e32 v4, s15, v11
	v_mul_lo_u32 v11, v10, s26
	s_delay_alu instid0(VALU_DEP_2) | instskip(NEXT) | instid1(VALU_DEP_2)
	v_mul_lo_u32 v14, v4, s13
	v_sub_nc_u32_e32 v9, v9, v11
	s_delay_alu instid0(VALU_DEP_2) | instskip(NEXT) | instid1(VALU_DEP_2)
	v_sub_nc_u32_e32 v10, v10, v14
	v_mul_lo_u32 v9, v9, s30
	s_delay_alu instid0(VALU_DEP_2) | instskip(NEXT) | instid1(VALU_DEP_1)
	v_mul_lo_u32 v10, v10, s31
	v_add3_u32 v2, v9, v2, v10
	s_cbranch_scc1 .LBB141_46
; %bb.47:
	s_and_b32 s7, s7, 3
	s_delay_alu instid0(SALU_CYCLE_1)
	s_cmp_eq_u32 s7, 0
	s_cbranch_scc0 .LBB141_50
	s_branch .LBB141_52
.LBB141_48:
	s_mov_b32 s6, -1
                                        ; implicit-def: $vgpr2
	s_branch .LBB141_52
.LBB141_49:
	v_mov_b32_e32 v4, v3
	s_and_b32 s7, s7, 3
	s_delay_alu instid0(SALU_CYCLE_1)
	s_cmp_eq_u32 s7, 0
	s_cbranch_scc1 .LBB141_52
.LBB141_50:
	s_lshl_b32 s2, s8, 2
	s_mul_i32 s4, s8, 12
	s_add_u32 s2, s2, s0
	s_addc_u32 s3, 0, s1
	s_add_u32 s2, s2, 0xc4
	s_addc_u32 s3, s3, 0
	;; [unrolled: 2-line block ×3, first 2 shown]
	.p2align	6
.LBB141_51:                             ; =>This Inner Loop Header: Depth=1
	s_clause 0x1
	s_load_b64 s[8:9], s[4:5], 0x4
	s_load_b32 s10, s[4:5], 0xc
	s_add_u32 s4, s4, 12
	s_addc_u32 s5, s5, 0
	s_waitcnt lgkmcnt(0)
	v_mul_hi_u32 v5, s9, v4
	s_load_b32 s9, s[2:3], 0x0
	s_add_u32 s2, s2, 4
	s_addc_u32 s3, s3, 0
	s_add_i32 s7, s7, -1
	s_delay_alu instid0(SALU_CYCLE_1) | instskip(NEXT) | instid1(VALU_DEP_1)
	s_cmp_lg_u32 s7, 0
	v_add_nc_u32_e32 v5, v4, v5
	s_delay_alu instid0(VALU_DEP_1) | instskip(NEXT) | instid1(VALU_DEP_1)
	v_lshrrev_b32_e32 v5, s10, v5
	v_mul_lo_u32 v9, v5, s8
	s_delay_alu instid0(VALU_DEP_1) | instskip(SKIP_1) | instid1(VALU_DEP_1)
	v_sub_nc_u32_e32 v4, v4, v9
	s_waitcnt lgkmcnt(0)
	v_mad_u64_u32 v[9:10], null, v4, s9, v[2:3]
	v_mov_b32_e32 v4, v5
	s_delay_alu instid0(VALU_DEP_2)
	v_mov_b32_e32 v2, v9
	s_cbranch_scc1 .LBB141_51
.LBB141_52:
	s_and_not1_b32 vcc_lo, exec_lo, s6
	s_cbranch_vccnz .LBB141_55
; %bb.53:
	s_clause 0x1
	s_load_b128 s[4:7], s[0:1], 0x4
	s_load_b32 s2, s[0:1], 0xc4
	s_cmp_lt_u32 s18, 2
	s_waitcnt lgkmcnt(0)
	v_mul_hi_u32 v2, s5, v3
	s_delay_alu instid0(VALU_DEP_1) | instskip(NEXT) | instid1(VALU_DEP_1)
	v_add_nc_u32_e32 v2, v3, v2
	v_lshrrev_b32_e32 v4, s6, v2
	s_delay_alu instid0(VALU_DEP_1) | instskip(NEXT) | instid1(VALU_DEP_1)
	v_mul_lo_u32 v2, v4, s4
	v_sub_nc_u32_e32 v2, v3, v2
	s_delay_alu instid0(VALU_DEP_1)
	v_mul_lo_u32 v2, v2, s2
	s_cbranch_scc1 .LBB141_55
; %bb.54:
	s_clause 0x1
	s_load_b128 s[4:7], s[0:1], 0x10
	s_load_b32 s2, s[0:1], 0xc8
	s_waitcnt lgkmcnt(0)
	v_mul_hi_u32 v3, s5, v4
	s_delay_alu instid0(VALU_DEP_1) | instskip(NEXT) | instid1(VALU_DEP_1)
	v_add_nc_u32_e32 v3, v4, v3
	v_lshrrev_b32_e32 v3, s6, v3
	s_delay_alu instid0(VALU_DEP_1) | instskip(NEXT) | instid1(VALU_DEP_1)
	v_mul_lo_u32 v3, v3, s4
	v_sub_nc_u32_e32 v5, v4, v3
	s_delay_alu instid0(VALU_DEP_1) | instskip(NEXT) | instid1(VALU_DEP_1)
	v_mad_u64_u32 v[3:4], null, v5, s2, v[2:3]
	v_mov_b32_e32 v2, v3
.LBB141_55:
	v_cmp_ne_u32_e32 vcc_lo, 1, v7
	v_add_nc_u32_e32 v4, 0x180, v6
	s_cbranch_vccnz .LBB141_61
; %bb.56:
	v_mov_b32_e32 v3, 0
	s_cmp_eq_u32 s18, 0
	s_mov_b32 s6, 0
	s_cbranch_scc1 .LBB141_65
; %bb.57:
	s_min_u32 s7, s19, 15
	v_mov_b32_e32 v3, 0
	s_add_i32 s7, s7, 1
	s_cmp_eq_u32 s19, 2
	s_mov_b32 s8, 0
	s_cbranch_scc1 .LBB141_62
; %bb.58:
	v_mov_b32_e32 v3, 0
	v_mov_b32_e32 v5, v4
	s_add_u32 s2, s0, 0xc4
	s_addc_u32 s3, s1, 0
	s_and_b32 s8, s7, 28
	s_mov_b32 s9, 0
	s_mov_b64 s[4:5], s[0:1]
.LBB141_59:                             ; =>This Inner Loop Header: Depth=1
	s_clause 0x1
	s_load_b256 s[20:27], s[4:5], 0x4
	s_load_b128 s[12:15], s[4:5], 0x24
	s_load_b128 s[28:31], s[2:3], 0x0
	s_add_u32 s4, s4, 48
	s_addc_u32 s5, s5, 0
	s_add_i32 s9, s9, 4
	s_add_u32 s2, s2, 16
	s_addc_u32 s3, s3, 0
	s_cmp_lg_u32 s8, s9
	s_waitcnt lgkmcnt(0)
	v_mul_hi_u32 v9, s21, v5
	s_delay_alu instid0(VALU_DEP_1) | instskip(NEXT) | instid1(VALU_DEP_1)
	v_add_nc_u32_e32 v9, v5, v9
	v_lshrrev_b32_e32 v9, s22, v9
	s_delay_alu instid0(VALU_DEP_1) | instskip(SKIP_1) | instid1(VALU_DEP_2)
	v_mul_hi_u32 v10, s24, v9
	v_mul_lo_u32 v13, v9, s20
	v_add_nc_u32_e32 v10, v9, v10
	s_delay_alu instid0(VALU_DEP_2) | instskip(NEXT) | instid1(VALU_DEP_2)
	v_sub_nc_u32_e32 v13, v5, v13
	v_lshrrev_b32_e32 v10, s25, v10
	s_delay_alu instid0(VALU_DEP_2) | instskip(NEXT) | instid1(VALU_DEP_2)
	v_mul_lo_u32 v13, v13, s28
	v_mul_hi_u32 v11, s27, v10
	v_mul_lo_u32 v14, v10, s23
	s_delay_alu instid0(VALU_DEP_2) | instskip(NEXT) | instid1(VALU_DEP_2)
	v_add_nc_u32_e32 v11, v10, v11
	v_sub_nc_u32_e32 v9, v9, v14
	s_delay_alu instid0(VALU_DEP_2) | instskip(NEXT) | instid1(VALU_DEP_2)
	v_lshrrev_b32_e32 v11, s12, v11
	v_mul_lo_u32 v9, v9, s29
	s_delay_alu instid0(VALU_DEP_2) | instskip(NEXT) | instid1(VALU_DEP_2)
	v_mul_hi_u32 v12, s14, v11
	v_add3_u32 v3, v13, v3, v9
	s_delay_alu instid0(VALU_DEP_2) | instskip(NEXT) | instid1(VALU_DEP_1)
	v_add_nc_u32_e32 v12, v11, v12
	v_lshrrev_b32_e32 v5, s15, v12
	v_mul_lo_u32 v12, v11, s26
	s_delay_alu instid0(VALU_DEP_2) | instskip(NEXT) | instid1(VALU_DEP_2)
	v_mul_lo_u32 v15, v5, s13
	v_sub_nc_u32_e32 v10, v10, v12
	s_delay_alu instid0(VALU_DEP_2) | instskip(NEXT) | instid1(VALU_DEP_2)
	v_sub_nc_u32_e32 v11, v11, v15
	v_mul_lo_u32 v10, v10, s30
	s_delay_alu instid0(VALU_DEP_2) | instskip(NEXT) | instid1(VALU_DEP_1)
	v_mul_lo_u32 v11, v11, s31
	v_add3_u32 v3, v10, v3, v11
	s_cbranch_scc1 .LBB141_59
; %bb.60:
	s_and_b32 s7, s7, 3
	s_delay_alu instid0(SALU_CYCLE_1)
	s_cmp_eq_u32 s7, 0
	s_cbranch_scc0 .LBB141_63
	s_branch .LBB141_65
.LBB141_61:
	s_mov_b32 s6, -1
                                        ; implicit-def: $vgpr3
	s_branch .LBB141_65
.LBB141_62:
	v_mov_b32_e32 v5, v4
	s_and_b32 s7, s7, 3
	s_delay_alu instid0(SALU_CYCLE_1)
	s_cmp_eq_u32 s7, 0
	s_cbranch_scc1 .LBB141_65
.LBB141_63:
	s_lshl_b32 s2, s8, 2
	s_mul_i32 s4, s8, 12
	s_add_u32 s2, s2, s0
	s_addc_u32 s3, 0, s1
	s_add_u32 s2, s2, 0xc4
	s_addc_u32 s3, s3, 0
	;; [unrolled: 2-line block ×3, first 2 shown]
	.p2align	6
.LBB141_64:                             ; =>This Inner Loop Header: Depth=1
	s_clause 0x1
	s_load_b64 s[8:9], s[4:5], 0x4
	s_load_b32 s10, s[4:5], 0xc
	s_add_u32 s4, s4, 12
	s_addc_u32 s5, s5, 0
	s_waitcnt lgkmcnt(0)
	v_mul_hi_u32 v9, s9, v5
	s_load_b32 s9, s[2:3], 0x0
	s_add_u32 s2, s2, 4
	s_addc_u32 s3, s3, 0
	s_add_i32 s7, s7, -1
	s_delay_alu instid0(SALU_CYCLE_1) | instskip(NEXT) | instid1(VALU_DEP_1)
	s_cmp_lg_u32 s7, 0
	v_add_nc_u32_e32 v9, v5, v9
	s_delay_alu instid0(VALU_DEP_1) | instskip(NEXT) | instid1(VALU_DEP_1)
	v_lshrrev_b32_e32 v11, s10, v9
	v_mul_lo_u32 v9, v11, s8
	s_delay_alu instid0(VALU_DEP_1) | instskip(SKIP_1) | instid1(VALU_DEP_1)
	v_sub_nc_u32_e32 v5, v5, v9
	s_waitcnt lgkmcnt(0)
	v_mad_u64_u32 v[9:10], null, v5, s9, v[3:4]
	v_mov_b32_e32 v5, v11
	s_delay_alu instid0(VALU_DEP_2)
	v_mov_b32_e32 v3, v9
	s_cbranch_scc1 .LBB141_64
.LBB141_65:
	s_and_not1_b32 vcc_lo, exec_lo, s6
	s_cbranch_vccnz .LBB141_68
; %bb.66:
	s_clause 0x1
	s_load_b128 s[4:7], s[0:1], 0x4
	s_load_b32 s2, s[0:1], 0xc4
	s_cmp_lt_u32 s18, 2
	s_waitcnt lgkmcnt(0)
	v_mul_hi_u32 v3, s5, v4
	s_delay_alu instid0(VALU_DEP_1) | instskip(NEXT) | instid1(VALU_DEP_1)
	v_add_nc_u32_e32 v3, v4, v3
	v_lshrrev_b32_e32 v5, s6, v3
	s_delay_alu instid0(VALU_DEP_1) | instskip(NEXT) | instid1(VALU_DEP_1)
	v_mul_lo_u32 v3, v5, s4
	v_sub_nc_u32_e32 v3, v4, v3
	s_delay_alu instid0(VALU_DEP_1)
	v_mul_lo_u32 v3, v3, s2
	s_cbranch_scc1 .LBB141_68
; %bb.67:
	s_clause 0x1
	s_load_b128 s[4:7], s[0:1], 0x10
	s_load_b32 s2, s[0:1], 0xc8
	s_waitcnt lgkmcnt(0)
	v_mul_hi_u32 v4, s5, v5
	s_delay_alu instid0(VALU_DEP_1) | instskip(NEXT) | instid1(VALU_DEP_1)
	v_add_nc_u32_e32 v4, v5, v4
	v_lshrrev_b32_e32 v4, s6, v4
	s_delay_alu instid0(VALU_DEP_1) | instskip(NEXT) | instid1(VALU_DEP_1)
	v_mul_lo_u32 v4, v4, s4
	v_sub_nc_u32_e32 v9, v5, v4
	s_delay_alu instid0(VALU_DEP_1) | instskip(NEXT) | instid1(VALU_DEP_1)
	v_mad_u64_u32 v[4:5], null, v9, s2, v[3:4]
	v_mov_b32_e32 v3, v4
.LBB141_68:
	v_cmp_ne_u32_e32 vcc_lo, 1, v7
	v_add_nc_u32_e32 v5, 0x200, v6
	s_cbranch_vccnz .LBB141_74
; %bb.69:
	v_mov_b32_e32 v4, 0
	s_cmp_eq_u32 s18, 0
	s_mov_b32 s6, 0
	s_cbranch_scc1 .LBB141_78
; %bb.70:
	s_min_u32 s7, s19, 15
	v_mov_b32_e32 v4, 0
	s_add_i32 s7, s7, 1
	s_cmp_eq_u32 s19, 2
	s_mov_b32 s8, 0
	s_cbranch_scc1 .LBB141_75
; %bb.71:
	v_dual_mov_b32 v4, 0 :: v_dual_mov_b32 v9, v5
	s_add_u32 s2, s0, 0xc4
	s_addc_u32 s3, s1, 0
	s_and_b32 s8, s7, 28
	s_mov_b32 s9, 0
	s_mov_b64 s[4:5], s[0:1]
.LBB141_72:                             ; =>This Inner Loop Header: Depth=1
	s_clause 0x1
	s_load_b256 s[20:27], s[4:5], 0x4
	s_load_b128 s[12:15], s[4:5], 0x24
	s_load_b128 s[28:31], s[2:3], 0x0
	s_add_u32 s4, s4, 48
	s_addc_u32 s5, s5, 0
	s_add_i32 s9, s9, 4
	s_add_u32 s2, s2, 16
	s_addc_u32 s3, s3, 0
	s_cmp_lg_u32 s8, s9
	s_waitcnt lgkmcnt(0)
	v_mul_hi_u32 v10, s21, v9
	s_delay_alu instid0(VALU_DEP_1) | instskip(NEXT) | instid1(VALU_DEP_1)
	v_add_nc_u32_e32 v10, v9, v10
	v_lshrrev_b32_e32 v10, s22, v10
	s_delay_alu instid0(VALU_DEP_1) | instskip(SKIP_1) | instid1(VALU_DEP_2)
	v_mul_hi_u32 v11, s24, v10
	v_mul_lo_u32 v14, v10, s20
	v_add_nc_u32_e32 v11, v10, v11
	s_delay_alu instid0(VALU_DEP_2) | instskip(NEXT) | instid1(VALU_DEP_2)
	v_sub_nc_u32_e32 v14, v9, v14
	v_lshrrev_b32_e32 v11, s25, v11
	s_delay_alu instid0(VALU_DEP_2) | instskip(NEXT) | instid1(VALU_DEP_2)
	v_mul_lo_u32 v14, v14, s28
	v_mul_hi_u32 v12, s27, v11
	v_mul_lo_u32 v15, v11, s23
	s_delay_alu instid0(VALU_DEP_2) | instskip(NEXT) | instid1(VALU_DEP_2)
	v_add_nc_u32_e32 v12, v11, v12
	v_sub_nc_u32_e32 v10, v10, v15
	s_delay_alu instid0(VALU_DEP_2) | instskip(NEXT) | instid1(VALU_DEP_2)
	v_lshrrev_b32_e32 v12, s12, v12
	v_mul_lo_u32 v10, v10, s29
	s_delay_alu instid0(VALU_DEP_2) | instskip(NEXT) | instid1(VALU_DEP_2)
	v_mul_hi_u32 v13, s14, v12
	v_add3_u32 v4, v14, v4, v10
	s_delay_alu instid0(VALU_DEP_2) | instskip(NEXT) | instid1(VALU_DEP_1)
	v_add_nc_u32_e32 v13, v12, v13
	v_lshrrev_b32_e32 v9, s15, v13
	v_mul_lo_u32 v13, v12, s26
	s_delay_alu instid0(VALU_DEP_2) | instskip(NEXT) | instid1(VALU_DEP_2)
	v_mul_lo_u32 v16, v9, s13
	v_sub_nc_u32_e32 v11, v11, v13
	s_delay_alu instid0(VALU_DEP_2) | instskip(NEXT) | instid1(VALU_DEP_2)
	v_sub_nc_u32_e32 v12, v12, v16
	v_mul_lo_u32 v11, v11, s30
	s_delay_alu instid0(VALU_DEP_2) | instskip(NEXT) | instid1(VALU_DEP_1)
	v_mul_lo_u32 v12, v12, s31
	v_add3_u32 v4, v11, v4, v12
	s_cbranch_scc1 .LBB141_72
; %bb.73:
	s_and_b32 s7, s7, 3
	s_delay_alu instid0(SALU_CYCLE_1)
	s_cmp_eq_u32 s7, 0
	s_cbranch_scc0 .LBB141_76
	s_branch .LBB141_78
.LBB141_74:
	s_mov_b32 s6, -1
                                        ; implicit-def: $vgpr4
	s_branch .LBB141_78
.LBB141_75:
	v_mov_b32_e32 v9, v5
	s_and_b32 s7, s7, 3
	s_delay_alu instid0(SALU_CYCLE_1)
	s_cmp_eq_u32 s7, 0
	s_cbranch_scc1 .LBB141_78
.LBB141_76:
	s_lshl_b32 s2, s8, 2
	s_mul_i32 s4, s8, 12
	s_add_u32 s2, s2, s0
	s_addc_u32 s3, 0, s1
	s_add_u32 s2, s2, 0xc4
	s_addc_u32 s3, s3, 0
	;; [unrolled: 2-line block ×3, first 2 shown]
	.p2align	6
.LBB141_77:                             ; =>This Inner Loop Header: Depth=1
	s_clause 0x1
	s_load_b64 s[8:9], s[4:5], 0x4
	s_load_b32 s10, s[4:5], 0xc
	s_add_u32 s4, s4, 12
	s_addc_u32 s5, s5, 0
	s_waitcnt lgkmcnt(0)
	v_mul_hi_u32 v10, s9, v9
	s_load_b32 s9, s[2:3], 0x0
	s_add_u32 s2, s2, 4
	s_addc_u32 s3, s3, 0
	s_add_i32 s7, s7, -1
	s_delay_alu instid0(SALU_CYCLE_1) | instskip(NEXT) | instid1(VALU_DEP_1)
	s_cmp_lg_u32 s7, 0
	v_add_nc_u32_e32 v10, v9, v10
	s_delay_alu instid0(VALU_DEP_1) | instskip(NEXT) | instid1(VALU_DEP_1)
	v_lshrrev_b32_e32 v12, s10, v10
	v_mul_lo_u32 v10, v12, s8
	s_delay_alu instid0(VALU_DEP_1) | instskip(SKIP_1) | instid1(VALU_DEP_1)
	v_sub_nc_u32_e32 v9, v9, v10
	s_waitcnt lgkmcnt(0)
	v_mad_u64_u32 v[10:11], null, v9, s9, v[4:5]
	s_delay_alu instid0(VALU_DEP_1)
	v_dual_mov_b32 v9, v12 :: v_dual_mov_b32 v4, v10
	s_cbranch_scc1 .LBB141_77
.LBB141_78:
	s_and_not1_b32 vcc_lo, exec_lo, s6
	s_cbranch_vccnz .LBB141_81
; %bb.79:
	s_clause 0x1
	s_load_b128 s[4:7], s[0:1], 0x4
	s_load_b32 s2, s[0:1], 0xc4
	s_cmp_lt_u32 s18, 2
	s_waitcnt lgkmcnt(0)
	v_mul_hi_u32 v4, s5, v5
	s_delay_alu instid0(VALU_DEP_1) | instskip(NEXT) | instid1(VALU_DEP_1)
	v_add_nc_u32_e32 v4, v5, v4
	v_lshrrev_b32_e32 v9, s6, v4
	s_delay_alu instid0(VALU_DEP_1) | instskip(NEXT) | instid1(VALU_DEP_1)
	v_mul_lo_u32 v4, v9, s4
	v_sub_nc_u32_e32 v4, v5, v4
	s_delay_alu instid0(VALU_DEP_1)
	v_mul_lo_u32 v4, v4, s2
	s_cbranch_scc1 .LBB141_81
; %bb.80:
	s_clause 0x1
	s_load_b128 s[4:7], s[0:1], 0x10
	s_load_b32 s2, s[0:1], 0xc8
	s_waitcnt lgkmcnt(0)
	v_mul_hi_u32 v5, s5, v9
	s_delay_alu instid0(VALU_DEP_1) | instskip(NEXT) | instid1(VALU_DEP_1)
	v_add_nc_u32_e32 v5, v9, v5
	v_lshrrev_b32_e32 v5, s6, v5
	s_delay_alu instid0(VALU_DEP_1) | instskip(NEXT) | instid1(VALU_DEP_1)
	v_mul_lo_u32 v5, v5, s4
	v_sub_nc_u32_e32 v5, v9, v5
	s_delay_alu instid0(VALU_DEP_1) | instskip(NEXT) | instid1(VALU_DEP_1)
	v_mad_u64_u32 v[9:10], null, v5, s2, v[4:5]
	v_mov_b32_e32 v4, v9
.LBB141_81:
	v_cmp_ne_u32_e32 vcc_lo, 1, v7
	v_add_nc_u32_e32 v9, 0x280, v6
	s_cbranch_vccnz .LBB141_87
; %bb.82:
	v_mov_b32_e32 v5, 0
	s_cmp_eq_u32 s18, 0
	s_mov_b32 s6, 0
	s_cbranch_scc1 .LBB141_91
; %bb.83:
	s_min_u32 s7, s19, 15
	v_mov_b32_e32 v5, 0
	s_add_i32 s7, s7, 1
	s_cmp_eq_u32 s19, 2
	s_mov_b32 s8, 0
	s_cbranch_scc1 .LBB141_88
; %bb.84:
	v_dual_mov_b32 v5, 0 :: v_dual_mov_b32 v10, v9
	s_add_u32 s2, s0, 0xc4
	s_addc_u32 s3, s1, 0
	s_and_b32 s8, s7, 28
	s_mov_b32 s9, 0
	s_mov_b64 s[4:5], s[0:1]
.LBB141_85:                             ; =>This Inner Loop Header: Depth=1
	s_clause 0x1
	s_load_b256 s[20:27], s[4:5], 0x4
	s_load_b128 s[12:15], s[4:5], 0x24
	s_load_b128 s[28:31], s[2:3], 0x0
	s_add_u32 s4, s4, 48
	s_addc_u32 s5, s5, 0
	s_add_i32 s9, s9, 4
	s_add_u32 s2, s2, 16
	s_addc_u32 s3, s3, 0
	s_cmp_lg_u32 s8, s9
	s_waitcnt lgkmcnt(0)
	v_mul_hi_u32 v11, s21, v10
	s_delay_alu instid0(VALU_DEP_1) | instskip(NEXT) | instid1(VALU_DEP_1)
	v_add_nc_u32_e32 v11, v10, v11
	v_lshrrev_b32_e32 v11, s22, v11
	s_delay_alu instid0(VALU_DEP_1) | instskip(SKIP_1) | instid1(VALU_DEP_2)
	v_mul_hi_u32 v12, s24, v11
	v_mul_lo_u32 v15, v11, s20
	v_add_nc_u32_e32 v12, v11, v12
	s_delay_alu instid0(VALU_DEP_2) | instskip(NEXT) | instid1(VALU_DEP_2)
	v_sub_nc_u32_e32 v15, v10, v15
	v_lshrrev_b32_e32 v12, s25, v12
	s_delay_alu instid0(VALU_DEP_2) | instskip(NEXT) | instid1(VALU_DEP_2)
	v_mul_lo_u32 v15, v15, s28
	v_mul_hi_u32 v13, s27, v12
	v_mul_lo_u32 v16, v12, s23
	s_delay_alu instid0(VALU_DEP_2) | instskip(NEXT) | instid1(VALU_DEP_2)
	v_add_nc_u32_e32 v13, v12, v13
	v_sub_nc_u32_e32 v11, v11, v16
	s_delay_alu instid0(VALU_DEP_2) | instskip(NEXT) | instid1(VALU_DEP_2)
	v_lshrrev_b32_e32 v13, s12, v13
	v_mul_lo_u32 v11, v11, s29
	s_delay_alu instid0(VALU_DEP_2) | instskip(NEXT) | instid1(VALU_DEP_2)
	v_mul_hi_u32 v14, s14, v13
	v_add3_u32 v5, v15, v5, v11
	s_delay_alu instid0(VALU_DEP_2) | instskip(NEXT) | instid1(VALU_DEP_1)
	v_add_nc_u32_e32 v14, v13, v14
	v_lshrrev_b32_e32 v10, s15, v14
	v_mul_lo_u32 v14, v13, s26
	s_delay_alu instid0(VALU_DEP_2) | instskip(NEXT) | instid1(VALU_DEP_2)
	v_mul_lo_u32 v17, v10, s13
	v_sub_nc_u32_e32 v12, v12, v14
	s_delay_alu instid0(VALU_DEP_2) | instskip(NEXT) | instid1(VALU_DEP_2)
	v_sub_nc_u32_e32 v13, v13, v17
	v_mul_lo_u32 v12, v12, s30
	s_delay_alu instid0(VALU_DEP_2) | instskip(NEXT) | instid1(VALU_DEP_1)
	v_mul_lo_u32 v13, v13, s31
	v_add3_u32 v5, v12, v5, v13
	s_cbranch_scc1 .LBB141_85
; %bb.86:
	s_and_b32 s7, s7, 3
	s_delay_alu instid0(SALU_CYCLE_1)
	s_cmp_eq_u32 s7, 0
	s_cbranch_scc0 .LBB141_89
	s_branch .LBB141_91
.LBB141_87:
	s_mov_b32 s6, -1
                                        ; implicit-def: $vgpr5
	s_branch .LBB141_91
.LBB141_88:
	v_mov_b32_e32 v10, v9
	s_and_b32 s7, s7, 3
	s_delay_alu instid0(SALU_CYCLE_1)
	s_cmp_eq_u32 s7, 0
	s_cbranch_scc1 .LBB141_91
.LBB141_89:
	s_lshl_b32 s2, s8, 2
	s_mul_i32 s4, s8, 12
	s_add_u32 s2, s2, s0
	s_addc_u32 s3, 0, s1
	s_add_u32 s2, s2, 0xc4
	s_addc_u32 s3, s3, 0
	;; [unrolled: 2-line block ×3, first 2 shown]
	.p2align	6
.LBB141_90:                             ; =>This Inner Loop Header: Depth=1
	s_clause 0x1
	s_load_b64 s[8:9], s[4:5], 0x4
	s_load_b32 s10, s[4:5], 0xc
	s_add_u32 s4, s4, 12
	s_addc_u32 s5, s5, 0
	s_waitcnt lgkmcnt(0)
	v_mul_hi_u32 v11, s9, v10
	s_load_b32 s9, s[2:3], 0x0
	s_add_u32 s2, s2, 4
	s_addc_u32 s3, s3, 0
	s_add_i32 s7, s7, -1
	s_delay_alu instid0(SALU_CYCLE_1) | instskip(NEXT) | instid1(VALU_DEP_1)
	s_cmp_lg_u32 s7, 0
	v_add_nc_u32_e32 v11, v10, v11
	s_delay_alu instid0(VALU_DEP_1) | instskip(NEXT) | instid1(VALU_DEP_1)
	v_lshrrev_b32_e32 v13, s10, v11
	v_mul_lo_u32 v11, v13, s8
	s_delay_alu instid0(VALU_DEP_1) | instskip(SKIP_1) | instid1(VALU_DEP_1)
	v_sub_nc_u32_e32 v10, v10, v11
	s_waitcnt lgkmcnt(0)
	v_mad_u64_u32 v[11:12], null, v10, s9, v[5:6]
	s_delay_alu instid0(VALU_DEP_1)
	v_dual_mov_b32 v10, v13 :: v_dual_mov_b32 v5, v11
	s_cbranch_scc1 .LBB141_90
.LBB141_91:
	s_and_not1_b32 vcc_lo, exec_lo, s6
	s_cbranch_vccnz .LBB141_94
; %bb.92:
	s_clause 0x1
	s_load_b128 s[4:7], s[0:1], 0x4
	s_load_b32 s2, s[0:1], 0xc4
	s_cmp_lt_u32 s18, 2
	s_waitcnt lgkmcnt(0)
	v_mul_hi_u32 v5, s5, v9
	s_delay_alu instid0(VALU_DEP_1) | instskip(NEXT) | instid1(VALU_DEP_1)
	v_add_nc_u32_e32 v5, v9, v5
	v_lshrrev_b32_e32 v10, s6, v5
	s_delay_alu instid0(VALU_DEP_1) | instskip(NEXT) | instid1(VALU_DEP_1)
	v_mul_lo_u32 v5, v10, s4
	v_sub_nc_u32_e32 v5, v9, v5
	s_delay_alu instid0(VALU_DEP_1)
	v_mul_lo_u32 v5, v5, s2
	s_cbranch_scc1 .LBB141_94
; %bb.93:
	s_clause 0x1
	s_load_b128 s[4:7], s[0:1], 0x10
	s_load_b32 s2, s[0:1], 0xc8
	s_waitcnt lgkmcnt(0)
	v_mul_hi_u32 v9, s5, v10
	s_delay_alu instid0(VALU_DEP_1) | instskip(NEXT) | instid1(VALU_DEP_1)
	v_add_nc_u32_e32 v9, v10, v9
	v_lshrrev_b32_e32 v9, s6, v9
	s_delay_alu instid0(VALU_DEP_1) | instskip(NEXT) | instid1(VALU_DEP_1)
	v_mul_lo_u32 v9, v9, s4
	v_sub_nc_u32_e32 v11, v10, v9
	s_delay_alu instid0(VALU_DEP_1) | instskip(NEXT) | instid1(VALU_DEP_1)
	v_mad_u64_u32 v[9:10], null, v11, s2, v[5:6]
	v_mov_b32_e32 v5, v9
.LBB141_94:
	v_cmp_ne_u32_e32 vcc_lo, 1, v7
	v_add_nc_u32_e32 v9, 0x300, v6
	s_cbranch_vccnz .LBB141_100
; %bb.95:
	v_mov_b32_e32 v6, 0
	s_cmp_eq_u32 s18, 0
	s_mov_b32 s6, 0
	s_cbranch_scc1 .LBB141_104
; %bb.96:
	s_min_u32 s7, s19, 15
	v_mov_b32_e32 v6, 0
	s_add_i32 s7, s7, 1
	s_cmp_eq_u32 s19, 2
	s_mov_b32 s8, 0
	s_cbranch_scc1 .LBB141_101
; %bb.97:
	v_mov_b32_e32 v6, 0
	v_mov_b32_e32 v10, v9
	s_add_u32 s2, s0, 0xc4
	s_addc_u32 s3, s1, 0
	s_and_b32 s8, s7, 28
	s_mov_b32 s9, 0
	s_mov_b64 s[4:5], s[0:1]
.LBB141_98:                             ; =>This Inner Loop Header: Depth=1
	s_clause 0x1
	s_load_b256 s[20:27], s[4:5], 0x4
	s_load_b128 s[12:15], s[4:5], 0x24
	s_load_b128 s[28:31], s[2:3], 0x0
	s_add_u32 s4, s4, 48
	s_addc_u32 s5, s5, 0
	s_add_i32 s9, s9, 4
	s_add_u32 s2, s2, 16
	s_addc_u32 s3, s3, 0
	s_cmp_lg_u32 s8, s9
	s_waitcnt lgkmcnt(0)
	v_mul_hi_u32 v11, s21, v10
	s_delay_alu instid0(VALU_DEP_1) | instskip(NEXT) | instid1(VALU_DEP_1)
	v_add_nc_u32_e32 v11, v10, v11
	v_lshrrev_b32_e32 v11, s22, v11
	s_delay_alu instid0(VALU_DEP_1) | instskip(SKIP_1) | instid1(VALU_DEP_2)
	v_mul_hi_u32 v12, s24, v11
	v_mul_lo_u32 v15, v11, s20
	v_add_nc_u32_e32 v12, v11, v12
	s_delay_alu instid0(VALU_DEP_2) | instskip(NEXT) | instid1(VALU_DEP_2)
	v_sub_nc_u32_e32 v15, v10, v15
	v_lshrrev_b32_e32 v12, s25, v12
	s_delay_alu instid0(VALU_DEP_2) | instskip(NEXT) | instid1(VALU_DEP_2)
	v_mul_lo_u32 v15, v15, s28
	v_mul_hi_u32 v13, s27, v12
	v_mul_lo_u32 v16, v12, s23
	s_delay_alu instid0(VALU_DEP_2) | instskip(NEXT) | instid1(VALU_DEP_2)
	v_add_nc_u32_e32 v13, v12, v13
	v_sub_nc_u32_e32 v11, v11, v16
	s_delay_alu instid0(VALU_DEP_2) | instskip(NEXT) | instid1(VALU_DEP_2)
	v_lshrrev_b32_e32 v13, s12, v13
	v_mul_lo_u32 v11, v11, s29
	s_delay_alu instid0(VALU_DEP_2) | instskip(NEXT) | instid1(VALU_DEP_2)
	v_mul_hi_u32 v14, s14, v13
	v_add3_u32 v6, v15, v6, v11
	s_delay_alu instid0(VALU_DEP_2) | instskip(NEXT) | instid1(VALU_DEP_1)
	v_add_nc_u32_e32 v14, v13, v14
	v_lshrrev_b32_e32 v10, s15, v14
	v_mul_lo_u32 v14, v13, s26
	s_delay_alu instid0(VALU_DEP_2) | instskip(NEXT) | instid1(VALU_DEP_2)
	v_mul_lo_u32 v17, v10, s13
	v_sub_nc_u32_e32 v12, v12, v14
	s_delay_alu instid0(VALU_DEP_2) | instskip(NEXT) | instid1(VALU_DEP_2)
	v_sub_nc_u32_e32 v13, v13, v17
	v_mul_lo_u32 v12, v12, s30
	s_delay_alu instid0(VALU_DEP_2) | instskip(NEXT) | instid1(VALU_DEP_1)
	v_mul_lo_u32 v13, v13, s31
	v_add3_u32 v6, v12, v6, v13
	s_cbranch_scc1 .LBB141_98
; %bb.99:
	s_and_b32 s7, s7, 3
	s_delay_alu instid0(SALU_CYCLE_1)
	s_cmp_eq_u32 s7, 0
	s_cbranch_scc0 .LBB141_102
	s_branch .LBB141_104
.LBB141_100:
	s_mov_b32 s6, -1
                                        ; implicit-def: $vgpr6
	s_branch .LBB141_104
.LBB141_101:
	v_mov_b32_e32 v10, v9
	s_and_b32 s7, s7, 3
	s_delay_alu instid0(SALU_CYCLE_1)
	s_cmp_eq_u32 s7, 0
	s_cbranch_scc1 .LBB141_104
.LBB141_102:
	s_lshl_b32 s2, s8, 2
	s_mul_i32 s4, s8, 12
	s_add_u32 s2, s2, s0
	s_addc_u32 s3, 0, s1
	s_add_u32 s2, s2, 0xc4
	s_addc_u32 s3, s3, 0
	s_add_u32 s4, s0, s4
	s_addc_u32 s5, 0, s1
	.p2align	6
.LBB141_103:                            ; =>This Inner Loop Header: Depth=1
	s_clause 0x1
	s_load_b64 s[8:9], s[4:5], 0x4
	s_load_b32 s10, s[4:5], 0xc
	s_add_u32 s4, s4, 12
	s_addc_u32 s5, s5, 0
	s_waitcnt lgkmcnt(0)
	v_mul_hi_u32 v11, s9, v10
	s_load_b32 s9, s[2:3], 0x0
	s_add_u32 s2, s2, 4
	s_addc_u32 s3, s3, 0
	s_add_i32 s7, s7, -1
	s_delay_alu instid0(SALU_CYCLE_1) | instskip(NEXT) | instid1(VALU_DEP_1)
	s_cmp_lg_u32 s7, 0
	v_add_nc_u32_e32 v11, v10, v11
	s_delay_alu instid0(VALU_DEP_1) | instskip(NEXT) | instid1(VALU_DEP_1)
	v_lshrrev_b32_e32 v13, s10, v11
	v_mul_lo_u32 v11, v13, s8
	s_delay_alu instid0(VALU_DEP_1) | instskip(SKIP_1) | instid1(VALU_DEP_1)
	v_sub_nc_u32_e32 v10, v10, v11
	s_waitcnt lgkmcnt(0)
	v_mad_u64_u32 v[11:12], null, v10, s9, v[6:7]
	v_mov_b32_e32 v10, v13
	s_delay_alu instid0(VALU_DEP_2)
	v_mov_b32_e32 v6, v11
	s_cbranch_scc1 .LBB141_103
.LBB141_104:
	s_and_not1_b32 vcc_lo, exec_lo, s6
	s_cbranch_vccnz .LBB141_107
; %bb.105:
	s_clause 0x1
	s_load_b128 s[4:7], s[0:1], 0x4
	s_load_b32 s2, s[0:1], 0xc4
	s_cmp_lt_u32 s18, 2
	s_waitcnt lgkmcnt(0)
	v_mul_hi_u32 v6, s5, v9
	s_delay_alu instid0(VALU_DEP_1) | instskip(NEXT) | instid1(VALU_DEP_1)
	v_add_nc_u32_e32 v6, v9, v6
	v_lshrrev_b32_e32 v10, s6, v6
	s_delay_alu instid0(VALU_DEP_1) | instskip(NEXT) | instid1(VALU_DEP_1)
	v_mul_lo_u32 v6, v10, s4
	v_sub_nc_u32_e32 v6, v9, v6
	s_delay_alu instid0(VALU_DEP_1)
	v_mul_lo_u32 v6, v6, s2
	s_cbranch_scc1 .LBB141_107
; %bb.106:
	s_clause 0x1
	s_load_b128 s[4:7], s[0:1], 0x10
	s_load_b32 s2, s[0:1], 0xc8
	s_waitcnt lgkmcnt(0)
	v_mul_hi_u32 v9, s5, v10
	s_delay_alu instid0(VALU_DEP_1) | instskip(NEXT) | instid1(VALU_DEP_1)
	v_add_nc_u32_e32 v9, v10, v9
	v_lshrrev_b32_e32 v9, s6, v9
	s_delay_alu instid0(VALU_DEP_1) | instskip(NEXT) | instid1(VALU_DEP_1)
	v_mul_lo_u32 v9, v9, s4
	v_sub_nc_u32_e32 v11, v10, v9
	s_delay_alu instid0(VALU_DEP_1) | instskip(NEXT) | instid1(VALU_DEP_1)
	v_mad_u64_u32 v[9:10], null, v11, s2, v[6:7]
	v_mov_b32_e32 v6, v9
.LBB141_107:
	v_cmp_ne_u32_e32 vcc_lo, 1, v7
	s_cbranch_vccnz .LBB141_113
; %bb.108:
	v_mov_b32_e32 v7, 0
	s_cmp_eq_u32 s18, 0
	s_mov_b32 s6, 0
	s_cbranch_scc1 .LBB141_117
; %bb.109:
	s_min_u32 s7, s19, 15
	v_mov_b32_e32 v7, 0
	s_add_i32 s7, s7, 1
	s_cmp_eq_u32 s19, 2
	s_mov_b32 s8, 0
	s_cbranch_scc1 .LBB141_114
; %bb.110:
	v_mov_b32_e32 v7, 0
	v_mov_b32_e32 v9, v8
	s_add_u32 s2, s0, 0xc4
	s_addc_u32 s3, s1, 0
	s_and_b32 s8, s7, 28
	s_mov_b32 s9, 0
	s_mov_b64 s[4:5], s[0:1]
.LBB141_111:                            ; =>This Inner Loop Header: Depth=1
	s_clause 0x1
	s_load_b256 s[20:27], s[4:5], 0x4
	s_load_b128 s[12:15], s[4:5], 0x24
	s_load_b128 s[28:31], s[2:3], 0x0
	s_add_u32 s4, s4, 48
	s_addc_u32 s5, s5, 0
	s_add_i32 s9, s9, 4
	s_add_u32 s2, s2, 16
	s_addc_u32 s3, s3, 0
	s_cmp_lg_u32 s8, s9
	s_waitcnt lgkmcnt(0)
	v_mul_hi_u32 v10, s21, v9
	s_delay_alu instid0(VALU_DEP_1) | instskip(NEXT) | instid1(VALU_DEP_1)
	v_add_nc_u32_e32 v10, v9, v10
	v_lshrrev_b32_e32 v10, s22, v10
	s_delay_alu instid0(VALU_DEP_1) | instskip(SKIP_1) | instid1(VALU_DEP_2)
	v_mul_hi_u32 v11, s24, v10
	v_mul_lo_u32 v14, v10, s20
	v_add_nc_u32_e32 v11, v10, v11
	s_delay_alu instid0(VALU_DEP_2) | instskip(NEXT) | instid1(VALU_DEP_2)
	v_sub_nc_u32_e32 v14, v9, v14
	v_lshrrev_b32_e32 v11, s25, v11
	s_delay_alu instid0(VALU_DEP_2) | instskip(NEXT) | instid1(VALU_DEP_2)
	v_mul_lo_u32 v14, v14, s28
	v_mul_hi_u32 v12, s27, v11
	v_mul_lo_u32 v15, v11, s23
	s_delay_alu instid0(VALU_DEP_2) | instskip(NEXT) | instid1(VALU_DEP_2)
	v_add_nc_u32_e32 v12, v11, v12
	v_sub_nc_u32_e32 v10, v10, v15
	s_delay_alu instid0(VALU_DEP_2) | instskip(NEXT) | instid1(VALU_DEP_2)
	v_lshrrev_b32_e32 v12, s12, v12
	v_mul_lo_u32 v10, v10, s29
	s_delay_alu instid0(VALU_DEP_2) | instskip(NEXT) | instid1(VALU_DEP_2)
	v_mul_hi_u32 v13, s14, v12
	v_add3_u32 v7, v14, v7, v10
	s_delay_alu instid0(VALU_DEP_2) | instskip(NEXT) | instid1(VALU_DEP_1)
	v_add_nc_u32_e32 v13, v12, v13
	v_lshrrev_b32_e32 v9, s15, v13
	v_mul_lo_u32 v13, v12, s26
	s_delay_alu instid0(VALU_DEP_2) | instskip(NEXT) | instid1(VALU_DEP_2)
	v_mul_lo_u32 v16, v9, s13
	v_sub_nc_u32_e32 v11, v11, v13
	s_delay_alu instid0(VALU_DEP_2) | instskip(NEXT) | instid1(VALU_DEP_2)
	v_sub_nc_u32_e32 v12, v12, v16
	v_mul_lo_u32 v11, v11, s30
	s_delay_alu instid0(VALU_DEP_2) | instskip(NEXT) | instid1(VALU_DEP_1)
	v_mul_lo_u32 v12, v12, s31
	v_add3_u32 v7, v11, v7, v12
	s_cbranch_scc1 .LBB141_111
; %bb.112:
	s_and_b32 s7, s7, 3
	s_delay_alu instid0(SALU_CYCLE_1)
	s_cmp_eq_u32 s7, 0
	s_cbranch_scc0 .LBB141_115
	s_branch .LBB141_117
.LBB141_113:
	s_mov_b32 s6, -1
                                        ; implicit-def: $vgpr7
	s_branch .LBB141_117
.LBB141_114:
	v_mov_b32_e32 v9, v8
	s_and_b32 s7, s7, 3
	s_delay_alu instid0(SALU_CYCLE_1)
	s_cmp_eq_u32 s7, 0
	s_cbranch_scc1 .LBB141_117
.LBB141_115:
	s_lshl_b32 s2, s8, 2
	s_mul_i32 s4, s8, 12
	s_add_u32 s2, s2, s0
	s_addc_u32 s3, 0, s1
	s_add_u32 s2, s2, 0xc4
	s_addc_u32 s3, s3, 0
	;; [unrolled: 2-line block ×3, first 2 shown]
	.p2align	6
.LBB141_116:                            ; =>This Inner Loop Header: Depth=1
	s_clause 0x1
	s_load_b64 s[8:9], s[4:5], 0x4
	s_load_b32 s10, s[4:5], 0xc
	s_add_u32 s4, s4, 12
	s_addc_u32 s5, s5, 0
	s_waitcnt lgkmcnt(0)
	v_mul_hi_u32 v10, s9, v9
	s_load_b32 s9, s[2:3], 0x0
	s_add_u32 s2, s2, 4
	s_addc_u32 s3, s3, 0
	s_add_i32 s7, s7, -1
	s_delay_alu instid0(SALU_CYCLE_1) | instskip(NEXT) | instid1(VALU_DEP_1)
	s_cmp_lg_u32 s7, 0
	v_add_nc_u32_e32 v10, v9, v10
	s_delay_alu instid0(VALU_DEP_1) | instskip(NEXT) | instid1(VALU_DEP_1)
	v_lshrrev_b32_e32 v12, s10, v10
	v_mul_lo_u32 v10, v12, s8
	s_delay_alu instid0(VALU_DEP_1) | instskip(SKIP_1) | instid1(VALU_DEP_1)
	v_sub_nc_u32_e32 v9, v9, v10
	s_waitcnt lgkmcnt(0)
	v_mad_u64_u32 v[10:11], null, v9, s9, v[7:8]
	v_mov_b32_e32 v9, v12
	s_delay_alu instid0(VALU_DEP_2)
	v_mov_b32_e32 v7, v10
	s_cbranch_scc1 .LBB141_116
.LBB141_117:
	s_and_not1_b32 vcc_lo, exec_lo, s6
	s_cbranch_vccnz .LBB141_120
; %bb.118:
	s_clause 0x1
	s_load_b128 s[4:7], s[0:1], 0x4
	s_load_b32 s2, s[0:1], 0xc4
	s_cmp_lt_u32 s18, 2
	s_waitcnt lgkmcnt(0)
	v_mul_hi_u32 v7, s5, v8
	s_delay_alu instid0(VALU_DEP_1) | instskip(NEXT) | instid1(VALU_DEP_1)
	v_add_nc_u32_e32 v7, v8, v7
	v_lshrrev_b32_e32 v9, s6, v7
	s_delay_alu instid0(VALU_DEP_1) | instskip(NEXT) | instid1(VALU_DEP_1)
	v_mul_lo_u32 v7, v9, s4
	v_sub_nc_u32_e32 v7, v8, v7
	s_delay_alu instid0(VALU_DEP_1)
	v_mul_lo_u32 v7, v7, s2
	s_cbranch_scc1 .LBB141_120
; %bb.119:
	s_clause 0x1
	s_load_b128 s[4:7], s[0:1], 0x10
	s_load_b32 s2, s[0:1], 0xc8
	s_waitcnt lgkmcnt(0)
	v_mul_hi_u32 v8, s5, v9
	s_delay_alu instid0(VALU_DEP_1) | instskip(NEXT) | instid1(VALU_DEP_1)
	v_add_nc_u32_e32 v8, v9, v8
	v_lshrrev_b32_e32 v8, s6, v8
	s_delay_alu instid0(VALU_DEP_1) | instskip(NEXT) | instid1(VALU_DEP_1)
	v_mul_lo_u32 v8, v8, s4
	v_sub_nc_u32_e32 v10, v9, v8
	s_delay_alu instid0(VALU_DEP_1) | instskip(NEXT) | instid1(VALU_DEP_1)
	v_mad_u64_u32 v[8:9], null, v10, s2, v[7:8]
	v_mov_b32_e32 v7, v8
.LBB141_120:
	s_clause 0x1
	s_load_b32 s2, s[0:1], 0x110
	s_load_b64 s[0:1], s[0:1], 0x108
	s_waitcnt lgkmcnt(0)
	v_mov_b32_e32 v8, s2
	s_clause 0x7
	global_store_b8 v0, v8, s[0:1]
	global_store_b8 v1, v8, s[0:1]
	;; [unrolled: 1-line block ×8, first 2 shown]
	s_nop 0
	s_sendmsg sendmsg(MSG_DEALLOC_VGPRS)
	s_endpgm
.LBB141_121:
	v_mov_b32_e32 v1, v6
.LBB141_122:
	s_and_b32 s29, s29, 3
	s_delay_alu instid0(SALU_CYCLE_1)
	s_cmp_eq_u32 s29, 0
	s_cbranch_scc1 .LBB141_125
; %bb.123:
	s_lshl_b32 s14, s28, 2
	s_mul_i32 s16, s28, 12
	s_add_u32 s14, s14, s0
	s_addc_u32 s15, s1, 0
	s_add_u32 s14, s14, 0xc4
	s_addc_u32 s15, s15, 0
	;; [unrolled: 2-line block ×3, first 2 shown]
	.p2align	6
.LBB141_124:                            ; =>This Inner Loop Header: Depth=1
	s_clause 0x1
	s_load_b64 s[30:31], s[16:17], 0x4
	s_load_b32 s28, s[16:17], 0xc
	s_add_u32 s16, s16, 12
	s_addc_u32 s17, s17, 0
	s_waitcnt lgkmcnt(0)
	v_mul_hi_u32 v2, s31, v1
	s_load_b32 s31, s[14:15], 0x0
	s_add_u32 s14, s14, 4
	s_addc_u32 s15, s15, 0
	s_add_i32 s29, s29, -1
	s_delay_alu instid0(SALU_CYCLE_1) | instskip(NEXT) | instid1(VALU_DEP_1)
	s_cmp_lg_u32 s29, 0
	v_add_nc_u32_e32 v2, v1, v2
	s_delay_alu instid0(VALU_DEP_1) | instskip(NEXT) | instid1(VALU_DEP_1)
	v_lshrrev_b32_e32 v4, s28, v2
	v_mul_lo_u32 v2, v4, s30
	s_delay_alu instid0(VALU_DEP_1) | instskip(SKIP_1) | instid1(VALU_DEP_1)
	v_sub_nc_u32_e32 v1, v1, v2
	s_waitcnt lgkmcnt(0)
	v_mad_u64_u32 v[2:3], null, v1, s31, v[0:1]
	s_delay_alu instid0(VALU_DEP_1)
	v_dual_mov_b32 v1, v4 :: v_dual_mov_b32 v0, v2
	s_cbranch_scc1 .LBB141_124
.LBB141_125:
	s_cbranch_execnz .LBB141_128
.LBB141_126:
	s_waitcnt lgkmcnt(0)
	v_mul_hi_u32 v0, s5, v6
	s_and_not1_b32 vcc_lo, exec_lo, s23
	s_delay_alu instid0(VALU_DEP_1) | instskip(NEXT) | instid1(VALU_DEP_1)
	v_add_nc_u32_e32 v0, v6, v0
	v_lshrrev_b32_e32 v1, s6, v0
	s_delay_alu instid0(VALU_DEP_1) | instskip(NEXT) | instid1(VALU_DEP_1)
	v_mul_lo_u32 v0, v1, s4
	v_sub_nc_u32_e32 v0, v6, v0
	s_delay_alu instid0(VALU_DEP_1)
	v_mul_lo_u32 v0, v0, s8
	s_cbranch_vccnz .LBB141_128
; %bb.127:
	v_mul_hi_u32 v2, s10, v1
	s_delay_alu instid0(VALU_DEP_1) | instskip(NEXT) | instid1(VALU_DEP_1)
	v_add_nc_u32_e32 v2, v1, v2
	v_lshrrev_b32_e32 v2, s11, v2
	s_delay_alu instid0(VALU_DEP_1) | instskip(NEXT) | instid1(VALU_DEP_1)
	v_mul_lo_u32 v2, v2, s7
	v_sub_nc_u32_e32 v3, v1, v2
	s_delay_alu instid0(VALU_DEP_1) | instskip(NEXT) | instid1(VALU_DEP_1)
	v_mad_u64_u32 v[1:2], null, v3, s9, v[0:1]
	v_mov_b32_e32 v0, v1
.LBB141_128:
	s_waitcnt lgkmcnt(0)
	v_dual_mov_b32 v1, s22 :: v_dual_add_nc_u32 v6, 0x80, v6
	global_store_b8 v0, v1, s[2:3]
	s_or_b32 exec_lo, exec_lo, s27
	s_delay_alu instid0(SALU_CYCLE_1)
	s_mov_b32 s27, exec_lo
	v_cmpx_gt_i32_e64 s24, v6
	s_cbranch_execnz .LBB141_15
.LBB141_129:
	s_or_b32 exec_lo, exec_lo, s27
	s_delay_alu instid0(SALU_CYCLE_1)
	s_mov_b32 s27, exec_lo
	v_cmpx_gt_i32_e64 s24, v6
	s_cbranch_execz .LBB141_144
.LBB141_130:
	s_and_not1_b32 vcc_lo, exec_lo, s20
	s_cbranch_vccnz .LBB141_135
; %bb.131:
	v_mov_b32_e32 v0, 0
	s_and_not1_b32 vcc_lo, exec_lo, s26
	s_cbranch_vccnz .LBB141_155
; %bb.132:
	s_add_i32 s29, s25, 1
	s_cmp_eq_u32 s19, 2
	s_mov_b32 s28, 0
	s_cbranch_scc1 .LBB141_151
; %bb.133:
	v_dual_mov_b32 v0, 0 :: v_dual_mov_b32 v1, v6
	s_and_b32 s28, s29, 28
	s_mov_b32 s30, 0
	s_mov_b64 s[14:15], s[0:1]
	s_mov_b64 s[16:17], s[12:13]
.LBB141_134:                            ; =>This Inner Loop Header: Depth=1
	s_clause 0x1
	s_load_b256 s[36:43], s[14:15], 0x4
	s_load_b128 s[44:47], s[14:15], 0x24
	s_load_b128 s[48:51], s[16:17], 0x0
	s_add_u32 s14, s14, 48
	s_addc_u32 s15, s15, 0
	s_add_i32 s30, s30, 4
	s_add_u32 s16, s16, 16
	s_addc_u32 s17, s17, 0
	s_cmp_eq_u32 s28, s30
	s_waitcnt lgkmcnt(0)
	v_mul_hi_u32 v2, s37, v1
	s_delay_alu instid0(VALU_DEP_1) | instskip(NEXT) | instid1(VALU_DEP_1)
	v_add_nc_u32_e32 v2, v1, v2
	v_lshrrev_b32_e32 v2, s38, v2
	s_delay_alu instid0(VALU_DEP_1) | instskip(SKIP_1) | instid1(VALU_DEP_2)
	v_mul_hi_u32 v3, s40, v2
	v_mul_lo_u32 v7, v2, s36
	v_add_nc_u32_e32 v3, v2, v3
	s_delay_alu instid0(VALU_DEP_2) | instskip(NEXT) | instid1(VALU_DEP_2)
	v_sub_nc_u32_e32 v7, v1, v7
	v_lshrrev_b32_e32 v3, s41, v3
	s_delay_alu instid0(VALU_DEP_2) | instskip(NEXT) | instid1(VALU_DEP_2)
	v_mul_lo_u32 v7, v7, s48
	v_mul_hi_u32 v4, s43, v3
	v_mul_lo_u32 v8, v3, s39
	s_delay_alu instid0(VALU_DEP_2) | instskip(NEXT) | instid1(VALU_DEP_2)
	v_add_nc_u32_e32 v4, v3, v4
	v_sub_nc_u32_e32 v2, v2, v8
	s_delay_alu instid0(VALU_DEP_2) | instskip(NEXT) | instid1(VALU_DEP_2)
	v_lshrrev_b32_e32 v4, s44, v4
	v_mul_lo_u32 v2, v2, s49
	s_delay_alu instid0(VALU_DEP_2) | instskip(NEXT) | instid1(VALU_DEP_2)
	v_mul_hi_u32 v5, s46, v4
	v_add3_u32 v0, v7, v0, v2
	s_delay_alu instid0(VALU_DEP_2) | instskip(NEXT) | instid1(VALU_DEP_1)
	v_add_nc_u32_e32 v5, v4, v5
	v_lshrrev_b32_e32 v1, s47, v5
	v_mul_lo_u32 v5, v4, s42
	s_delay_alu instid0(VALU_DEP_2) | instskip(NEXT) | instid1(VALU_DEP_2)
	v_mul_lo_u32 v9, v1, s45
	v_sub_nc_u32_e32 v3, v3, v5
	s_delay_alu instid0(VALU_DEP_2) | instskip(NEXT) | instid1(VALU_DEP_2)
	v_sub_nc_u32_e32 v4, v4, v9
	v_mul_lo_u32 v3, v3, s50
	s_delay_alu instid0(VALU_DEP_2) | instskip(NEXT) | instid1(VALU_DEP_1)
	v_mul_lo_u32 v4, v4, s51
	v_add3_u32 v0, v3, v0, v4
	s_cbranch_scc0 .LBB141_134
	s_branch .LBB141_152
.LBB141_135:
                                        ; implicit-def: $vgpr0
	s_branch .LBB141_156
.LBB141_136:
	v_mov_b32_e32 v1, v6
.LBB141_137:
	s_and_b32 s29, s29, 3
	s_delay_alu instid0(SALU_CYCLE_1)
	s_cmp_eq_u32 s29, 0
	s_cbranch_scc1 .LBB141_140
; %bb.138:
	s_lshl_b32 s14, s28, 2
	s_mul_i32 s16, s28, 12
	s_add_u32 s14, s14, s0
	s_addc_u32 s15, s1, 0
	s_add_u32 s14, s14, 0xc4
	s_addc_u32 s15, s15, 0
	;; [unrolled: 2-line block ×3, first 2 shown]
	.p2align	6
.LBB141_139:                            ; =>This Inner Loop Header: Depth=1
	s_clause 0x1
	s_load_b64 s[30:31], s[16:17], 0x4
	s_load_b32 s28, s[16:17], 0xc
	s_add_u32 s16, s16, 12
	s_addc_u32 s17, s17, 0
	s_waitcnt lgkmcnt(0)
	v_mul_hi_u32 v2, s31, v1
	s_load_b32 s31, s[14:15], 0x0
	s_add_u32 s14, s14, 4
	s_addc_u32 s15, s15, 0
	s_add_i32 s29, s29, -1
	s_delay_alu instid0(SALU_CYCLE_1) | instskip(NEXT) | instid1(VALU_DEP_1)
	s_cmp_lg_u32 s29, 0
	v_add_nc_u32_e32 v2, v1, v2
	s_delay_alu instid0(VALU_DEP_1) | instskip(NEXT) | instid1(VALU_DEP_1)
	v_lshrrev_b32_e32 v4, s28, v2
	v_mul_lo_u32 v2, v4, s30
	s_delay_alu instid0(VALU_DEP_1) | instskip(SKIP_1) | instid1(VALU_DEP_1)
	v_sub_nc_u32_e32 v1, v1, v2
	s_waitcnt lgkmcnt(0)
	v_mad_u64_u32 v[2:3], null, v1, s31, v[0:1]
	s_delay_alu instid0(VALU_DEP_1)
	v_dual_mov_b32 v1, v4 :: v_dual_mov_b32 v0, v2
	s_cbranch_scc1 .LBB141_139
.LBB141_140:
	s_cbranch_execnz .LBB141_143
.LBB141_141:
	s_waitcnt lgkmcnt(0)
	v_mul_hi_u32 v0, s5, v6
	s_and_not1_b32 vcc_lo, exec_lo, s23
	s_delay_alu instid0(VALU_DEP_1) | instskip(NEXT) | instid1(VALU_DEP_1)
	v_add_nc_u32_e32 v0, v6, v0
	v_lshrrev_b32_e32 v1, s6, v0
	s_delay_alu instid0(VALU_DEP_1) | instskip(NEXT) | instid1(VALU_DEP_1)
	v_mul_lo_u32 v0, v1, s4
	v_sub_nc_u32_e32 v0, v6, v0
	s_delay_alu instid0(VALU_DEP_1)
	v_mul_lo_u32 v0, v0, s8
	s_cbranch_vccnz .LBB141_143
; %bb.142:
	v_mul_hi_u32 v2, s10, v1
	s_delay_alu instid0(VALU_DEP_1) | instskip(NEXT) | instid1(VALU_DEP_1)
	v_add_nc_u32_e32 v2, v1, v2
	v_lshrrev_b32_e32 v2, s11, v2
	s_delay_alu instid0(VALU_DEP_1) | instskip(NEXT) | instid1(VALU_DEP_1)
	v_mul_lo_u32 v2, v2, s7
	v_sub_nc_u32_e32 v3, v1, v2
	s_delay_alu instid0(VALU_DEP_1) | instskip(NEXT) | instid1(VALU_DEP_1)
	v_mad_u64_u32 v[1:2], null, v3, s9, v[0:1]
	v_mov_b32_e32 v0, v1
.LBB141_143:
	s_waitcnt lgkmcnt(0)
	v_dual_mov_b32 v1, s22 :: v_dual_add_nc_u32 v6, 0x80, v6
	global_store_b8 v0, v1, s[2:3]
	s_or_b32 exec_lo, exec_lo, s27
	s_delay_alu instid0(SALU_CYCLE_1)
	s_mov_b32 s27, exec_lo
	v_cmpx_gt_i32_e64 s24, v6
	s_cbranch_execnz .LBB141_130
.LBB141_144:
	s_or_b32 exec_lo, exec_lo, s27
	s_delay_alu instid0(SALU_CYCLE_1)
	s_mov_b32 s27, exec_lo
	v_cmpx_gt_i32_e64 s24, v6
	s_cbranch_execz .LBB141_159
.LBB141_145:
	s_and_not1_b32 vcc_lo, exec_lo, s20
	s_cbranch_vccnz .LBB141_150
; %bb.146:
	v_mov_b32_e32 v0, 0
	s_and_not1_b32 vcc_lo, exec_lo, s26
	s_cbranch_vccnz .LBB141_170
; %bb.147:
	s_add_i32 s29, s25, 1
	s_cmp_eq_u32 s19, 2
	s_mov_b32 s28, 0
	s_cbranch_scc1 .LBB141_166
; %bb.148:
	v_dual_mov_b32 v0, 0 :: v_dual_mov_b32 v1, v6
	s_and_b32 s28, s29, 28
	s_mov_b32 s30, 0
	s_mov_b64 s[14:15], s[0:1]
	s_mov_b64 s[16:17], s[12:13]
.LBB141_149:                            ; =>This Inner Loop Header: Depth=1
	s_clause 0x1
	s_load_b256 s[36:43], s[14:15], 0x4
	s_load_b128 s[44:47], s[14:15], 0x24
	s_load_b128 s[48:51], s[16:17], 0x0
	s_add_u32 s14, s14, 48
	s_addc_u32 s15, s15, 0
	s_add_i32 s30, s30, 4
	s_add_u32 s16, s16, 16
	s_addc_u32 s17, s17, 0
	s_cmp_eq_u32 s28, s30
	s_waitcnt lgkmcnt(0)
	v_mul_hi_u32 v2, s37, v1
	s_delay_alu instid0(VALU_DEP_1) | instskip(NEXT) | instid1(VALU_DEP_1)
	v_add_nc_u32_e32 v2, v1, v2
	v_lshrrev_b32_e32 v2, s38, v2
	s_delay_alu instid0(VALU_DEP_1) | instskip(SKIP_1) | instid1(VALU_DEP_2)
	v_mul_hi_u32 v3, s40, v2
	v_mul_lo_u32 v7, v2, s36
	v_add_nc_u32_e32 v3, v2, v3
	s_delay_alu instid0(VALU_DEP_2) | instskip(NEXT) | instid1(VALU_DEP_2)
	v_sub_nc_u32_e32 v7, v1, v7
	v_lshrrev_b32_e32 v3, s41, v3
	s_delay_alu instid0(VALU_DEP_2) | instskip(NEXT) | instid1(VALU_DEP_2)
	v_mul_lo_u32 v7, v7, s48
	v_mul_hi_u32 v4, s43, v3
	v_mul_lo_u32 v8, v3, s39
	s_delay_alu instid0(VALU_DEP_2) | instskip(NEXT) | instid1(VALU_DEP_2)
	v_add_nc_u32_e32 v4, v3, v4
	v_sub_nc_u32_e32 v2, v2, v8
	s_delay_alu instid0(VALU_DEP_2) | instskip(NEXT) | instid1(VALU_DEP_2)
	v_lshrrev_b32_e32 v4, s44, v4
	v_mul_lo_u32 v2, v2, s49
	s_delay_alu instid0(VALU_DEP_2) | instskip(NEXT) | instid1(VALU_DEP_2)
	v_mul_hi_u32 v5, s46, v4
	v_add3_u32 v0, v7, v0, v2
	s_delay_alu instid0(VALU_DEP_2) | instskip(NEXT) | instid1(VALU_DEP_1)
	v_add_nc_u32_e32 v5, v4, v5
	v_lshrrev_b32_e32 v1, s47, v5
	v_mul_lo_u32 v5, v4, s42
	s_delay_alu instid0(VALU_DEP_2) | instskip(NEXT) | instid1(VALU_DEP_2)
	v_mul_lo_u32 v9, v1, s45
	v_sub_nc_u32_e32 v3, v3, v5
	s_delay_alu instid0(VALU_DEP_2) | instskip(NEXT) | instid1(VALU_DEP_2)
	v_sub_nc_u32_e32 v4, v4, v9
	v_mul_lo_u32 v3, v3, s50
	s_delay_alu instid0(VALU_DEP_2) | instskip(NEXT) | instid1(VALU_DEP_1)
	v_mul_lo_u32 v4, v4, s51
	v_add3_u32 v0, v3, v0, v4
	s_cbranch_scc0 .LBB141_149
	s_branch .LBB141_167
.LBB141_150:
                                        ; implicit-def: $vgpr0
	s_branch .LBB141_171
.LBB141_151:
	v_mov_b32_e32 v1, v6
.LBB141_152:
	s_and_b32 s29, s29, 3
	s_delay_alu instid0(SALU_CYCLE_1)
	s_cmp_eq_u32 s29, 0
	s_cbranch_scc1 .LBB141_155
; %bb.153:
	s_lshl_b32 s14, s28, 2
	s_mul_i32 s16, s28, 12
	s_add_u32 s14, s14, s0
	s_addc_u32 s15, s1, 0
	s_add_u32 s14, s14, 0xc4
	s_addc_u32 s15, s15, 0
	;; [unrolled: 2-line block ×3, first 2 shown]
	.p2align	6
.LBB141_154:                            ; =>This Inner Loop Header: Depth=1
	s_clause 0x1
	s_load_b64 s[30:31], s[16:17], 0x4
	s_load_b32 s28, s[16:17], 0xc
	s_add_u32 s16, s16, 12
	s_addc_u32 s17, s17, 0
	s_waitcnt lgkmcnt(0)
	v_mul_hi_u32 v2, s31, v1
	s_load_b32 s31, s[14:15], 0x0
	s_add_u32 s14, s14, 4
	s_addc_u32 s15, s15, 0
	s_add_i32 s29, s29, -1
	s_delay_alu instid0(SALU_CYCLE_1) | instskip(NEXT) | instid1(VALU_DEP_1)
	s_cmp_lg_u32 s29, 0
	v_add_nc_u32_e32 v2, v1, v2
	s_delay_alu instid0(VALU_DEP_1) | instskip(NEXT) | instid1(VALU_DEP_1)
	v_lshrrev_b32_e32 v4, s28, v2
	v_mul_lo_u32 v2, v4, s30
	s_delay_alu instid0(VALU_DEP_1) | instskip(SKIP_1) | instid1(VALU_DEP_1)
	v_sub_nc_u32_e32 v1, v1, v2
	s_waitcnt lgkmcnt(0)
	v_mad_u64_u32 v[2:3], null, v1, s31, v[0:1]
	s_delay_alu instid0(VALU_DEP_1)
	v_dual_mov_b32 v1, v4 :: v_dual_mov_b32 v0, v2
	s_cbranch_scc1 .LBB141_154
.LBB141_155:
	s_cbranch_execnz .LBB141_158
.LBB141_156:
	s_waitcnt lgkmcnt(0)
	v_mul_hi_u32 v0, s5, v6
	s_and_not1_b32 vcc_lo, exec_lo, s23
	s_delay_alu instid0(VALU_DEP_1) | instskip(NEXT) | instid1(VALU_DEP_1)
	v_add_nc_u32_e32 v0, v6, v0
	v_lshrrev_b32_e32 v1, s6, v0
	s_delay_alu instid0(VALU_DEP_1) | instskip(NEXT) | instid1(VALU_DEP_1)
	v_mul_lo_u32 v0, v1, s4
	v_sub_nc_u32_e32 v0, v6, v0
	s_delay_alu instid0(VALU_DEP_1)
	v_mul_lo_u32 v0, v0, s8
	s_cbranch_vccnz .LBB141_158
; %bb.157:
	v_mul_hi_u32 v2, s10, v1
	s_delay_alu instid0(VALU_DEP_1) | instskip(NEXT) | instid1(VALU_DEP_1)
	v_add_nc_u32_e32 v2, v1, v2
	v_lshrrev_b32_e32 v2, s11, v2
	s_delay_alu instid0(VALU_DEP_1) | instskip(NEXT) | instid1(VALU_DEP_1)
	v_mul_lo_u32 v2, v2, s7
	v_sub_nc_u32_e32 v3, v1, v2
	s_delay_alu instid0(VALU_DEP_1) | instskip(NEXT) | instid1(VALU_DEP_1)
	v_mad_u64_u32 v[1:2], null, v3, s9, v[0:1]
	v_mov_b32_e32 v0, v1
.LBB141_158:
	s_waitcnt lgkmcnt(0)
	v_dual_mov_b32 v1, s22 :: v_dual_add_nc_u32 v6, 0x80, v6
	global_store_b8 v0, v1, s[2:3]
	s_or_b32 exec_lo, exec_lo, s27
	s_delay_alu instid0(SALU_CYCLE_1)
	s_mov_b32 s27, exec_lo
	v_cmpx_gt_i32_e64 s24, v6
	s_cbranch_execnz .LBB141_145
.LBB141_159:
	s_or_b32 exec_lo, exec_lo, s27
	s_delay_alu instid0(SALU_CYCLE_1)
	s_mov_b32 s27, exec_lo
	v_cmpx_gt_i32_e64 s24, v6
	s_cbranch_execz .LBB141_174
.LBB141_160:
	s_and_not1_b32 vcc_lo, exec_lo, s20
	s_cbranch_vccnz .LBB141_165
; %bb.161:
	v_mov_b32_e32 v0, 0
	s_and_not1_b32 vcc_lo, exec_lo, s26
	s_cbranch_vccnz .LBB141_185
; %bb.162:
	s_add_i32 s29, s25, 1
	s_cmp_eq_u32 s19, 2
	s_mov_b32 s28, 0
	s_cbranch_scc1 .LBB141_181
; %bb.163:
	v_dual_mov_b32 v0, 0 :: v_dual_mov_b32 v1, v6
	s_and_b32 s28, s29, 28
	s_mov_b32 s30, 0
	s_mov_b64 s[14:15], s[0:1]
	s_mov_b64 s[16:17], s[12:13]
.LBB141_164:                            ; =>This Inner Loop Header: Depth=1
	s_clause 0x1
	s_load_b256 s[36:43], s[14:15], 0x4
	s_load_b128 s[44:47], s[14:15], 0x24
	s_load_b128 s[48:51], s[16:17], 0x0
	s_add_u32 s14, s14, 48
	s_addc_u32 s15, s15, 0
	s_add_i32 s30, s30, 4
	s_add_u32 s16, s16, 16
	s_addc_u32 s17, s17, 0
	s_cmp_eq_u32 s28, s30
	s_waitcnt lgkmcnt(0)
	v_mul_hi_u32 v2, s37, v1
	s_delay_alu instid0(VALU_DEP_1) | instskip(NEXT) | instid1(VALU_DEP_1)
	v_add_nc_u32_e32 v2, v1, v2
	v_lshrrev_b32_e32 v2, s38, v2
	s_delay_alu instid0(VALU_DEP_1) | instskip(SKIP_1) | instid1(VALU_DEP_2)
	v_mul_hi_u32 v3, s40, v2
	v_mul_lo_u32 v7, v2, s36
	v_add_nc_u32_e32 v3, v2, v3
	s_delay_alu instid0(VALU_DEP_2) | instskip(NEXT) | instid1(VALU_DEP_2)
	v_sub_nc_u32_e32 v7, v1, v7
	v_lshrrev_b32_e32 v3, s41, v3
	s_delay_alu instid0(VALU_DEP_2) | instskip(NEXT) | instid1(VALU_DEP_2)
	v_mul_lo_u32 v7, v7, s48
	v_mul_hi_u32 v4, s43, v3
	v_mul_lo_u32 v8, v3, s39
	s_delay_alu instid0(VALU_DEP_2) | instskip(NEXT) | instid1(VALU_DEP_2)
	v_add_nc_u32_e32 v4, v3, v4
	v_sub_nc_u32_e32 v2, v2, v8
	s_delay_alu instid0(VALU_DEP_2) | instskip(NEXT) | instid1(VALU_DEP_2)
	v_lshrrev_b32_e32 v4, s44, v4
	v_mul_lo_u32 v2, v2, s49
	s_delay_alu instid0(VALU_DEP_2) | instskip(NEXT) | instid1(VALU_DEP_2)
	v_mul_hi_u32 v5, s46, v4
	v_add3_u32 v0, v7, v0, v2
	s_delay_alu instid0(VALU_DEP_2) | instskip(NEXT) | instid1(VALU_DEP_1)
	v_add_nc_u32_e32 v5, v4, v5
	v_lshrrev_b32_e32 v1, s47, v5
	v_mul_lo_u32 v5, v4, s42
	s_delay_alu instid0(VALU_DEP_2) | instskip(NEXT) | instid1(VALU_DEP_2)
	v_mul_lo_u32 v9, v1, s45
	v_sub_nc_u32_e32 v3, v3, v5
	s_delay_alu instid0(VALU_DEP_2) | instskip(NEXT) | instid1(VALU_DEP_2)
	v_sub_nc_u32_e32 v4, v4, v9
	v_mul_lo_u32 v3, v3, s50
	s_delay_alu instid0(VALU_DEP_2) | instskip(NEXT) | instid1(VALU_DEP_1)
	v_mul_lo_u32 v4, v4, s51
	v_add3_u32 v0, v3, v0, v4
	s_cbranch_scc0 .LBB141_164
	s_branch .LBB141_182
.LBB141_165:
                                        ; implicit-def: $vgpr0
	s_branch .LBB141_186
.LBB141_166:
	v_mov_b32_e32 v1, v6
.LBB141_167:
	s_and_b32 s29, s29, 3
	s_delay_alu instid0(SALU_CYCLE_1)
	s_cmp_eq_u32 s29, 0
	s_cbranch_scc1 .LBB141_170
; %bb.168:
	s_lshl_b32 s14, s28, 2
	s_mul_i32 s16, s28, 12
	s_add_u32 s14, s14, s0
	s_addc_u32 s15, s1, 0
	s_add_u32 s14, s14, 0xc4
	s_addc_u32 s15, s15, 0
	;; [unrolled: 2-line block ×3, first 2 shown]
	.p2align	6
.LBB141_169:                            ; =>This Inner Loop Header: Depth=1
	s_clause 0x1
	s_load_b64 s[30:31], s[16:17], 0x4
	s_load_b32 s28, s[16:17], 0xc
	s_add_u32 s16, s16, 12
	s_addc_u32 s17, s17, 0
	s_waitcnt lgkmcnt(0)
	v_mul_hi_u32 v2, s31, v1
	s_load_b32 s31, s[14:15], 0x0
	s_add_u32 s14, s14, 4
	s_addc_u32 s15, s15, 0
	s_add_i32 s29, s29, -1
	s_delay_alu instid0(SALU_CYCLE_1) | instskip(NEXT) | instid1(VALU_DEP_1)
	s_cmp_lg_u32 s29, 0
	v_add_nc_u32_e32 v2, v1, v2
	s_delay_alu instid0(VALU_DEP_1) | instskip(NEXT) | instid1(VALU_DEP_1)
	v_lshrrev_b32_e32 v4, s28, v2
	v_mul_lo_u32 v2, v4, s30
	s_delay_alu instid0(VALU_DEP_1) | instskip(SKIP_1) | instid1(VALU_DEP_1)
	v_sub_nc_u32_e32 v1, v1, v2
	s_waitcnt lgkmcnt(0)
	v_mad_u64_u32 v[2:3], null, v1, s31, v[0:1]
	s_delay_alu instid0(VALU_DEP_1)
	v_dual_mov_b32 v1, v4 :: v_dual_mov_b32 v0, v2
	s_cbranch_scc1 .LBB141_169
.LBB141_170:
	s_cbranch_execnz .LBB141_173
.LBB141_171:
	s_waitcnt lgkmcnt(0)
	v_mul_hi_u32 v0, s5, v6
	s_and_not1_b32 vcc_lo, exec_lo, s23
	s_delay_alu instid0(VALU_DEP_1) | instskip(NEXT) | instid1(VALU_DEP_1)
	v_add_nc_u32_e32 v0, v6, v0
	v_lshrrev_b32_e32 v1, s6, v0
	s_delay_alu instid0(VALU_DEP_1) | instskip(NEXT) | instid1(VALU_DEP_1)
	v_mul_lo_u32 v0, v1, s4
	v_sub_nc_u32_e32 v0, v6, v0
	s_delay_alu instid0(VALU_DEP_1)
	v_mul_lo_u32 v0, v0, s8
	s_cbranch_vccnz .LBB141_173
; %bb.172:
	v_mul_hi_u32 v2, s10, v1
	s_delay_alu instid0(VALU_DEP_1) | instskip(NEXT) | instid1(VALU_DEP_1)
	v_add_nc_u32_e32 v2, v1, v2
	v_lshrrev_b32_e32 v2, s11, v2
	s_delay_alu instid0(VALU_DEP_1) | instskip(NEXT) | instid1(VALU_DEP_1)
	v_mul_lo_u32 v2, v2, s7
	v_sub_nc_u32_e32 v3, v1, v2
	s_delay_alu instid0(VALU_DEP_1) | instskip(NEXT) | instid1(VALU_DEP_1)
	v_mad_u64_u32 v[1:2], null, v3, s9, v[0:1]
	v_mov_b32_e32 v0, v1
.LBB141_173:
	s_waitcnt lgkmcnt(0)
	v_dual_mov_b32 v1, s22 :: v_dual_add_nc_u32 v6, 0x80, v6
	global_store_b8 v0, v1, s[2:3]
	s_or_b32 exec_lo, exec_lo, s27
	s_delay_alu instid0(SALU_CYCLE_1)
	s_mov_b32 s27, exec_lo
	v_cmpx_gt_i32_e64 s24, v6
	s_cbranch_execnz .LBB141_160
.LBB141_174:
	s_or_b32 exec_lo, exec_lo, s27
	s_delay_alu instid0(SALU_CYCLE_1)
	s_mov_b32 s27, exec_lo
	v_cmpx_gt_i32_e64 s24, v6
	s_cbranch_execz .LBB141_189
.LBB141_175:
	s_and_not1_b32 vcc_lo, exec_lo, s20
	s_cbranch_vccnz .LBB141_180
; %bb.176:
	v_mov_b32_e32 v0, 0
	s_and_not1_b32 vcc_lo, exec_lo, s26
	s_cbranch_vccnz .LBB141_200
; %bb.177:
	s_add_i32 s29, s25, 1
	s_cmp_eq_u32 s19, 2
	s_mov_b32 s28, 0
	s_cbranch_scc1 .LBB141_196
; %bb.178:
	v_dual_mov_b32 v0, 0 :: v_dual_mov_b32 v1, v6
	s_and_b32 s28, s29, 28
	s_mov_b32 s30, 0
	s_mov_b64 s[14:15], s[0:1]
	s_mov_b64 s[16:17], s[12:13]
.LBB141_179:                            ; =>This Inner Loop Header: Depth=1
	s_clause 0x1
	s_load_b256 s[36:43], s[14:15], 0x4
	s_load_b128 s[44:47], s[14:15], 0x24
	s_load_b128 s[48:51], s[16:17], 0x0
	s_add_u32 s14, s14, 48
	s_addc_u32 s15, s15, 0
	s_add_i32 s30, s30, 4
	s_add_u32 s16, s16, 16
	s_addc_u32 s17, s17, 0
	s_cmp_eq_u32 s28, s30
	s_waitcnt lgkmcnt(0)
	v_mul_hi_u32 v2, s37, v1
	s_delay_alu instid0(VALU_DEP_1) | instskip(NEXT) | instid1(VALU_DEP_1)
	v_add_nc_u32_e32 v2, v1, v2
	v_lshrrev_b32_e32 v2, s38, v2
	s_delay_alu instid0(VALU_DEP_1) | instskip(SKIP_1) | instid1(VALU_DEP_2)
	v_mul_hi_u32 v3, s40, v2
	v_mul_lo_u32 v7, v2, s36
	v_add_nc_u32_e32 v3, v2, v3
	s_delay_alu instid0(VALU_DEP_2) | instskip(NEXT) | instid1(VALU_DEP_2)
	v_sub_nc_u32_e32 v7, v1, v7
	v_lshrrev_b32_e32 v3, s41, v3
	s_delay_alu instid0(VALU_DEP_2) | instskip(NEXT) | instid1(VALU_DEP_2)
	v_mul_lo_u32 v7, v7, s48
	v_mul_hi_u32 v4, s43, v3
	v_mul_lo_u32 v8, v3, s39
	s_delay_alu instid0(VALU_DEP_2) | instskip(NEXT) | instid1(VALU_DEP_2)
	v_add_nc_u32_e32 v4, v3, v4
	v_sub_nc_u32_e32 v2, v2, v8
	s_delay_alu instid0(VALU_DEP_2) | instskip(NEXT) | instid1(VALU_DEP_2)
	v_lshrrev_b32_e32 v4, s44, v4
	v_mul_lo_u32 v2, v2, s49
	s_delay_alu instid0(VALU_DEP_2) | instskip(NEXT) | instid1(VALU_DEP_2)
	v_mul_hi_u32 v5, s46, v4
	v_add3_u32 v0, v7, v0, v2
	s_delay_alu instid0(VALU_DEP_2) | instskip(NEXT) | instid1(VALU_DEP_1)
	v_add_nc_u32_e32 v5, v4, v5
	v_lshrrev_b32_e32 v1, s47, v5
	v_mul_lo_u32 v5, v4, s42
	s_delay_alu instid0(VALU_DEP_2) | instskip(NEXT) | instid1(VALU_DEP_2)
	v_mul_lo_u32 v9, v1, s45
	v_sub_nc_u32_e32 v3, v3, v5
	s_delay_alu instid0(VALU_DEP_2) | instskip(NEXT) | instid1(VALU_DEP_2)
	v_sub_nc_u32_e32 v4, v4, v9
	v_mul_lo_u32 v3, v3, s50
	s_delay_alu instid0(VALU_DEP_2) | instskip(NEXT) | instid1(VALU_DEP_1)
	v_mul_lo_u32 v4, v4, s51
	v_add3_u32 v0, v3, v0, v4
	s_cbranch_scc0 .LBB141_179
	s_branch .LBB141_197
.LBB141_180:
                                        ; implicit-def: $vgpr0
	s_branch .LBB141_201
.LBB141_181:
	v_mov_b32_e32 v1, v6
.LBB141_182:
	s_and_b32 s29, s29, 3
	s_delay_alu instid0(SALU_CYCLE_1)
	s_cmp_eq_u32 s29, 0
	s_cbranch_scc1 .LBB141_185
; %bb.183:
	s_lshl_b32 s14, s28, 2
	s_mul_i32 s16, s28, 12
	s_add_u32 s14, s14, s0
	s_addc_u32 s15, s1, 0
	s_add_u32 s14, s14, 0xc4
	s_addc_u32 s15, s15, 0
	;; [unrolled: 2-line block ×3, first 2 shown]
	.p2align	6
.LBB141_184:                            ; =>This Inner Loop Header: Depth=1
	s_clause 0x1
	s_load_b64 s[30:31], s[16:17], 0x4
	s_load_b32 s28, s[16:17], 0xc
	s_add_u32 s16, s16, 12
	s_addc_u32 s17, s17, 0
	s_waitcnt lgkmcnt(0)
	v_mul_hi_u32 v2, s31, v1
	s_load_b32 s31, s[14:15], 0x0
	s_add_u32 s14, s14, 4
	s_addc_u32 s15, s15, 0
	s_add_i32 s29, s29, -1
	s_delay_alu instid0(SALU_CYCLE_1) | instskip(NEXT) | instid1(VALU_DEP_1)
	s_cmp_lg_u32 s29, 0
	v_add_nc_u32_e32 v2, v1, v2
	s_delay_alu instid0(VALU_DEP_1) | instskip(NEXT) | instid1(VALU_DEP_1)
	v_lshrrev_b32_e32 v4, s28, v2
	v_mul_lo_u32 v2, v4, s30
	s_delay_alu instid0(VALU_DEP_1) | instskip(SKIP_1) | instid1(VALU_DEP_1)
	v_sub_nc_u32_e32 v1, v1, v2
	s_waitcnt lgkmcnt(0)
	v_mad_u64_u32 v[2:3], null, v1, s31, v[0:1]
	s_delay_alu instid0(VALU_DEP_1)
	v_dual_mov_b32 v1, v4 :: v_dual_mov_b32 v0, v2
	s_cbranch_scc1 .LBB141_184
.LBB141_185:
	s_cbranch_execnz .LBB141_188
.LBB141_186:
	s_waitcnt lgkmcnt(0)
	v_mul_hi_u32 v0, s5, v6
	s_and_not1_b32 vcc_lo, exec_lo, s23
	s_delay_alu instid0(VALU_DEP_1) | instskip(NEXT) | instid1(VALU_DEP_1)
	v_add_nc_u32_e32 v0, v6, v0
	v_lshrrev_b32_e32 v1, s6, v0
	s_delay_alu instid0(VALU_DEP_1) | instskip(NEXT) | instid1(VALU_DEP_1)
	v_mul_lo_u32 v0, v1, s4
	v_sub_nc_u32_e32 v0, v6, v0
	s_delay_alu instid0(VALU_DEP_1)
	v_mul_lo_u32 v0, v0, s8
	s_cbranch_vccnz .LBB141_188
; %bb.187:
	v_mul_hi_u32 v2, s10, v1
	s_delay_alu instid0(VALU_DEP_1) | instskip(NEXT) | instid1(VALU_DEP_1)
	v_add_nc_u32_e32 v2, v1, v2
	v_lshrrev_b32_e32 v2, s11, v2
	s_delay_alu instid0(VALU_DEP_1) | instskip(NEXT) | instid1(VALU_DEP_1)
	v_mul_lo_u32 v2, v2, s7
	v_sub_nc_u32_e32 v3, v1, v2
	s_delay_alu instid0(VALU_DEP_1) | instskip(NEXT) | instid1(VALU_DEP_1)
	v_mad_u64_u32 v[1:2], null, v3, s9, v[0:1]
	v_mov_b32_e32 v0, v1
.LBB141_188:
	s_waitcnt lgkmcnt(0)
	v_dual_mov_b32 v1, s22 :: v_dual_add_nc_u32 v6, 0x80, v6
	global_store_b8 v0, v1, s[2:3]
	s_or_b32 exec_lo, exec_lo, s27
	s_delay_alu instid0(SALU_CYCLE_1)
	s_mov_b32 s27, exec_lo
	v_cmpx_gt_i32_e64 s24, v6
	s_cbranch_execnz .LBB141_175
.LBB141_189:
	s_or_b32 exec_lo, exec_lo, s27
	s_delay_alu instid0(SALU_CYCLE_1)
	s_mov_b32 s27, exec_lo
	v_cmpx_gt_i32_e64 s24, v6
	s_cbranch_execz .LBB141_204
.LBB141_190:
	s_and_not1_b32 vcc_lo, exec_lo, s20
	s_cbranch_vccnz .LBB141_195
; %bb.191:
	v_mov_b32_e32 v0, 0
	s_and_not1_b32 vcc_lo, exec_lo, s26
	s_cbranch_vccnz .LBB141_211
; %bb.192:
	s_add_i32 s29, s25, 1
	s_cmp_eq_u32 s19, 2
	s_mov_b32 s28, 0
	s_cbranch_scc1 .LBB141_207
; %bb.193:
	v_dual_mov_b32 v0, 0 :: v_dual_mov_b32 v1, v6
	s_and_b32 s28, s29, 28
	s_mov_b32 s30, 0
	s_mov_b64 s[14:15], s[0:1]
	s_mov_b64 s[16:17], s[12:13]
.LBB141_194:                            ; =>This Inner Loop Header: Depth=1
	s_clause 0x1
	s_load_b256 s[36:43], s[14:15], 0x4
	s_load_b128 s[44:47], s[14:15], 0x24
	s_load_b128 s[48:51], s[16:17], 0x0
	s_add_u32 s14, s14, 48
	s_addc_u32 s15, s15, 0
	s_add_i32 s30, s30, 4
	s_add_u32 s16, s16, 16
	s_addc_u32 s17, s17, 0
	s_cmp_eq_u32 s28, s30
	s_waitcnt lgkmcnt(0)
	v_mul_hi_u32 v2, s37, v1
	s_delay_alu instid0(VALU_DEP_1) | instskip(NEXT) | instid1(VALU_DEP_1)
	v_add_nc_u32_e32 v2, v1, v2
	v_lshrrev_b32_e32 v2, s38, v2
	s_delay_alu instid0(VALU_DEP_1) | instskip(SKIP_1) | instid1(VALU_DEP_2)
	v_mul_hi_u32 v3, s40, v2
	v_mul_lo_u32 v7, v2, s36
	v_add_nc_u32_e32 v3, v2, v3
	s_delay_alu instid0(VALU_DEP_2) | instskip(NEXT) | instid1(VALU_DEP_2)
	v_sub_nc_u32_e32 v7, v1, v7
	v_lshrrev_b32_e32 v3, s41, v3
	s_delay_alu instid0(VALU_DEP_2) | instskip(NEXT) | instid1(VALU_DEP_2)
	v_mul_lo_u32 v7, v7, s48
	v_mul_hi_u32 v4, s43, v3
	v_mul_lo_u32 v8, v3, s39
	s_delay_alu instid0(VALU_DEP_2) | instskip(NEXT) | instid1(VALU_DEP_2)
	v_add_nc_u32_e32 v4, v3, v4
	v_sub_nc_u32_e32 v2, v2, v8
	s_delay_alu instid0(VALU_DEP_2) | instskip(NEXT) | instid1(VALU_DEP_2)
	v_lshrrev_b32_e32 v4, s44, v4
	v_mul_lo_u32 v2, v2, s49
	s_delay_alu instid0(VALU_DEP_2) | instskip(NEXT) | instid1(VALU_DEP_2)
	v_mul_hi_u32 v5, s46, v4
	v_add3_u32 v0, v7, v0, v2
	s_delay_alu instid0(VALU_DEP_2) | instskip(NEXT) | instid1(VALU_DEP_1)
	v_add_nc_u32_e32 v5, v4, v5
	v_lshrrev_b32_e32 v1, s47, v5
	v_mul_lo_u32 v5, v4, s42
	s_delay_alu instid0(VALU_DEP_2) | instskip(NEXT) | instid1(VALU_DEP_2)
	v_mul_lo_u32 v9, v1, s45
	v_sub_nc_u32_e32 v3, v3, v5
	s_delay_alu instid0(VALU_DEP_2) | instskip(NEXT) | instid1(VALU_DEP_2)
	v_sub_nc_u32_e32 v4, v4, v9
	v_mul_lo_u32 v3, v3, s50
	s_delay_alu instid0(VALU_DEP_2) | instskip(NEXT) | instid1(VALU_DEP_1)
	v_mul_lo_u32 v4, v4, s51
	v_add3_u32 v0, v3, v0, v4
	s_cbranch_scc0 .LBB141_194
	s_branch .LBB141_208
.LBB141_195:
                                        ; implicit-def: $vgpr0
	s_branch .LBB141_212
.LBB141_196:
	v_mov_b32_e32 v1, v6
.LBB141_197:
	s_and_b32 s29, s29, 3
	s_delay_alu instid0(SALU_CYCLE_1)
	s_cmp_eq_u32 s29, 0
	s_cbranch_scc1 .LBB141_200
; %bb.198:
	s_lshl_b32 s14, s28, 2
	s_mul_i32 s16, s28, 12
	s_add_u32 s14, s14, s0
	s_addc_u32 s15, s1, 0
	s_add_u32 s14, s14, 0xc4
	s_addc_u32 s15, s15, 0
	;; [unrolled: 2-line block ×3, first 2 shown]
	.p2align	6
.LBB141_199:                            ; =>This Inner Loop Header: Depth=1
	s_clause 0x1
	s_load_b64 s[30:31], s[16:17], 0x4
	s_load_b32 s28, s[16:17], 0xc
	s_add_u32 s16, s16, 12
	s_addc_u32 s17, s17, 0
	s_waitcnt lgkmcnt(0)
	v_mul_hi_u32 v2, s31, v1
	s_load_b32 s31, s[14:15], 0x0
	s_add_u32 s14, s14, 4
	s_addc_u32 s15, s15, 0
	s_add_i32 s29, s29, -1
	s_delay_alu instid0(SALU_CYCLE_1) | instskip(NEXT) | instid1(VALU_DEP_1)
	s_cmp_lg_u32 s29, 0
	v_add_nc_u32_e32 v2, v1, v2
	s_delay_alu instid0(VALU_DEP_1) | instskip(NEXT) | instid1(VALU_DEP_1)
	v_lshrrev_b32_e32 v4, s28, v2
	v_mul_lo_u32 v2, v4, s30
	s_delay_alu instid0(VALU_DEP_1) | instskip(SKIP_1) | instid1(VALU_DEP_1)
	v_sub_nc_u32_e32 v1, v1, v2
	s_waitcnt lgkmcnt(0)
	v_mad_u64_u32 v[2:3], null, v1, s31, v[0:1]
	s_delay_alu instid0(VALU_DEP_1)
	v_dual_mov_b32 v1, v4 :: v_dual_mov_b32 v0, v2
	s_cbranch_scc1 .LBB141_199
.LBB141_200:
	s_cbranch_execnz .LBB141_203
.LBB141_201:
	s_waitcnt lgkmcnt(0)
	v_mul_hi_u32 v0, s5, v6
	s_and_not1_b32 vcc_lo, exec_lo, s23
	s_delay_alu instid0(VALU_DEP_1) | instskip(NEXT) | instid1(VALU_DEP_1)
	v_add_nc_u32_e32 v0, v6, v0
	v_lshrrev_b32_e32 v1, s6, v0
	s_delay_alu instid0(VALU_DEP_1) | instskip(NEXT) | instid1(VALU_DEP_1)
	v_mul_lo_u32 v0, v1, s4
	v_sub_nc_u32_e32 v0, v6, v0
	s_delay_alu instid0(VALU_DEP_1)
	v_mul_lo_u32 v0, v0, s8
	s_cbranch_vccnz .LBB141_203
; %bb.202:
	v_mul_hi_u32 v2, s10, v1
	s_delay_alu instid0(VALU_DEP_1) | instskip(NEXT) | instid1(VALU_DEP_1)
	v_add_nc_u32_e32 v2, v1, v2
	v_lshrrev_b32_e32 v2, s11, v2
	s_delay_alu instid0(VALU_DEP_1) | instskip(NEXT) | instid1(VALU_DEP_1)
	v_mul_lo_u32 v2, v2, s7
	v_sub_nc_u32_e32 v3, v1, v2
	s_delay_alu instid0(VALU_DEP_1) | instskip(NEXT) | instid1(VALU_DEP_1)
	v_mad_u64_u32 v[1:2], null, v3, s9, v[0:1]
	v_mov_b32_e32 v0, v1
.LBB141_203:
	s_waitcnt lgkmcnt(0)
	v_dual_mov_b32 v1, s22 :: v_dual_add_nc_u32 v6, 0x80, v6
	global_store_b8 v0, v1, s[2:3]
	s_or_b32 exec_lo, exec_lo, s27
	s_delay_alu instid0(SALU_CYCLE_1)
	s_mov_b32 s27, exec_lo
	v_cmpx_gt_i32_e64 s24, v6
	s_cbranch_execnz .LBB141_190
.LBB141_204:
	s_or_b32 exec_lo, exec_lo, s27
	s_delay_alu instid0(SALU_CYCLE_1)
	s_mov_b32 s16, exec_lo
	v_cmpx_gt_i32_e64 s24, v6
	s_cbranch_execnz .LBB141_215
.LBB141_205:
	s_or_b32 exec_lo, exec_lo, s16
                                        ; implicit-def: $vgpr8
                                        ; implicit-def: $vgpr6
	s_waitcnt lgkmcnt(0)
	s_and_not1_saveexec_b32 s2, s21
	s_cbranch_execnz .LBB141_8
.LBB141_206:
	s_nop 0
	s_sendmsg sendmsg(MSG_DEALLOC_VGPRS)
	s_endpgm
.LBB141_207:
	v_mov_b32_e32 v1, v6
.LBB141_208:
	s_and_b32 s29, s29, 3
	s_delay_alu instid0(SALU_CYCLE_1)
	s_cmp_eq_u32 s29, 0
	s_cbranch_scc1 .LBB141_211
; %bb.209:
	s_lshl_b32 s14, s28, 2
	s_mul_i32 s16, s28, 12
	s_add_u32 s14, s14, s0
	s_addc_u32 s15, s1, 0
	s_add_u32 s14, s14, 0xc4
	s_addc_u32 s15, s15, 0
	s_add_u32 s16, s0, s16
	s_addc_u32 s17, s1, 0
	.p2align	6
.LBB141_210:                            ; =>This Inner Loop Header: Depth=1
	s_clause 0x1
	s_load_b64 s[30:31], s[16:17], 0x4
	s_load_b32 s28, s[16:17], 0xc
	s_add_u32 s16, s16, 12
	s_addc_u32 s17, s17, 0
	s_waitcnt lgkmcnt(0)
	v_mul_hi_u32 v2, s31, v1
	s_load_b32 s31, s[14:15], 0x0
	s_add_u32 s14, s14, 4
	s_addc_u32 s15, s15, 0
	s_add_i32 s29, s29, -1
	s_delay_alu instid0(SALU_CYCLE_1) | instskip(NEXT) | instid1(VALU_DEP_1)
	s_cmp_lg_u32 s29, 0
	v_add_nc_u32_e32 v2, v1, v2
	s_delay_alu instid0(VALU_DEP_1) | instskip(NEXT) | instid1(VALU_DEP_1)
	v_lshrrev_b32_e32 v4, s28, v2
	v_mul_lo_u32 v2, v4, s30
	s_delay_alu instid0(VALU_DEP_1) | instskip(SKIP_1) | instid1(VALU_DEP_1)
	v_sub_nc_u32_e32 v1, v1, v2
	s_waitcnt lgkmcnt(0)
	v_mad_u64_u32 v[2:3], null, v1, s31, v[0:1]
	s_delay_alu instid0(VALU_DEP_1)
	v_dual_mov_b32 v1, v4 :: v_dual_mov_b32 v0, v2
	s_cbranch_scc1 .LBB141_210
.LBB141_211:
	s_cbranch_execnz .LBB141_214
.LBB141_212:
	s_waitcnt lgkmcnt(0)
	v_mul_hi_u32 v0, s5, v6
	s_and_not1_b32 vcc_lo, exec_lo, s23
	s_delay_alu instid0(VALU_DEP_1) | instskip(NEXT) | instid1(VALU_DEP_1)
	v_add_nc_u32_e32 v0, v6, v0
	v_lshrrev_b32_e32 v1, s6, v0
	s_delay_alu instid0(VALU_DEP_1) | instskip(NEXT) | instid1(VALU_DEP_1)
	v_mul_lo_u32 v0, v1, s4
	v_sub_nc_u32_e32 v0, v6, v0
	s_delay_alu instid0(VALU_DEP_1)
	v_mul_lo_u32 v0, v0, s8
	s_cbranch_vccnz .LBB141_214
; %bb.213:
	v_mul_hi_u32 v2, s10, v1
	s_delay_alu instid0(VALU_DEP_1) | instskip(NEXT) | instid1(VALU_DEP_1)
	v_add_nc_u32_e32 v2, v1, v2
	v_lshrrev_b32_e32 v2, s11, v2
	s_delay_alu instid0(VALU_DEP_1) | instskip(NEXT) | instid1(VALU_DEP_1)
	v_mul_lo_u32 v2, v2, s7
	v_sub_nc_u32_e32 v3, v1, v2
	s_delay_alu instid0(VALU_DEP_1) | instskip(NEXT) | instid1(VALU_DEP_1)
	v_mad_u64_u32 v[1:2], null, v3, s9, v[0:1]
	v_mov_b32_e32 v0, v1
.LBB141_214:
	s_waitcnt lgkmcnt(0)
	v_dual_mov_b32 v1, s22 :: v_dual_add_nc_u32 v6, 0x80, v6
	global_store_b8 v0, v1, s[2:3]
	s_or_b32 exec_lo, exec_lo, s27
	s_delay_alu instid0(SALU_CYCLE_1)
	s_mov_b32 s16, exec_lo
	v_cmpx_gt_i32_e64 s24, v6
	s_cbranch_execz .LBB141_205
.LBB141_215:
	s_and_not1_b32 vcc_lo, exec_lo, s20
	s_cbranch_vccnz .LBB141_220
; %bb.216:
	v_mov_b32_e32 v0, 0
	s_and_not1_b32 vcc_lo, exec_lo, s26
	s_cbranch_vccnz .LBB141_225
; %bb.217:
	s_add_i32 s25, s25, 1
	s_cmp_eq_u32 s19, 2
	s_mov_b32 s17, 0
	s_cbranch_scc1 .LBB141_221
; %bb.218:
	v_dual_mov_b32 v0, 0 :: v_dual_mov_b32 v1, v6
	s_and_b32 s17, s25, 28
	s_mov_b32 s24, 0
	s_mov_b64 s[14:15], s[0:1]
.LBB141_219:                            ; =>This Inner Loop Header: Depth=1
	s_clause 0x1
	s_load_b256 s[36:43], s[14:15], 0x4
	s_load_b128 s[28:31], s[14:15], 0x24
	s_load_b128 s[44:47], s[12:13], 0x0
	s_add_u32 s14, s14, 48
	s_addc_u32 s15, s15, 0
	s_add_i32 s24, s24, 4
	s_add_u32 s12, s12, 16
	s_addc_u32 s13, s13, 0
	s_cmp_eq_u32 s17, s24
	s_waitcnt lgkmcnt(0)
	v_mul_hi_u32 v2, s37, v1
	s_delay_alu instid0(VALU_DEP_1) | instskip(NEXT) | instid1(VALU_DEP_1)
	v_add_nc_u32_e32 v2, v1, v2
	v_lshrrev_b32_e32 v2, s38, v2
	s_delay_alu instid0(VALU_DEP_1) | instskip(SKIP_1) | instid1(VALU_DEP_2)
	v_mul_hi_u32 v3, s40, v2
	v_mul_lo_u32 v7, v2, s36
	v_add_nc_u32_e32 v3, v2, v3
	s_delay_alu instid0(VALU_DEP_2) | instskip(NEXT) | instid1(VALU_DEP_2)
	v_sub_nc_u32_e32 v7, v1, v7
	v_lshrrev_b32_e32 v3, s41, v3
	s_delay_alu instid0(VALU_DEP_2) | instskip(NEXT) | instid1(VALU_DEP_2)
	v_mul_lo_u32 v7, v7, s44
	v_mul_hi_u32 v4, s43, v3
	v_mul_lo_u32 v8, v3, s39
	s_delay_alu instid0(VALU_DEP_2) | instskip(NEXT) | instid1(VALU_DEP_2)
	v_add_nc_u32_e32 v4, v3, v4
	v_sub_nc_u32_e32 v2, v2, v8
	s_delay_alu instid0(VALU_DEP_2) | instskip(NEXT) | instid1(VALU_DEP_2)
	v_lshrrev_b32_e32 v4, s28, v4
	v_mul_lo_u32 v2, v2, s45
	s_delay_alu instid0(VALU_DEP_2) | instskip(NEXT) | instid1(VALU_DEP_2)
	v_mul_hi_u32 v5, s30, v4
	v_add3_u32 v0, v7, v0, v2
	s_delay_alu instid0(VALU_DEP_2) | instskip(NEXT) | instid1(VALU_DEP_1)
	v_add_nc_u32_e32 v5, v4, v5
	v_lshrrev_b32_e32 v1, s31, v5
	v_mul_lo_u32 v5, v4, s42
	s_delay_alu instid0(VALU_DEP_2) | instskip(NEXT) | instid1(VALU_DEP_2)
	v_mul_lo_u32 v9, v1, s29
	v_sub_nc_u32_e32 v3, v3, v5
	s_delay_alu instid0(VALU_DEP_2) | instskip(NEXT) | instid1(VALU_DEP_2)
	v_sub_nc_u32_e32 v4, v4, v9
	v_mul_lo_u32 v3, v3, s46
	s_delay_alu instid0(VALU_DEP_2) | instskip(NEXT) | instid1(VALU_DEP_1)
	v_mul_lo_u32 v4, v4, s47
	v_add3_u32 v0, v3, v0, v4
	s_cbranch_scc0 .LBB141_219
	s_branch .LBB141_222
.LBB141_220:
                                        ; implicit-def: $vgpr0
	s_branch .LBB141_226
.LBB141_221:
	v_mov_b32_e32 v1, v6
.LBB141_222:
	s_and_b32 s24, s25, 3
	s_delay_alu instid0(SALU_CYCLE_1)
	s_cmp_eq_u32 s24, 0
	s_cbranch_scc1 .LBB141_225
; %bb.223:
	s_lshl_b32 s12, s17, 2
	s_mul_i32 s14, s17, 12
	s_add_u32 s12, s12, s0
	s_addc_u32 s13, s1, 0
	s_add_u32 s12, s12, 0xc4
	s_addc_u32 s13, s13, 0
	;; [unrolled: 2-line block ×3, first 2 shown]
	.p2align	6
.LBB141_224:                            ; =>This Inner Loop Header: Depth=1
	s_clause 0x1
	s_load_b64 s[26:27], s[14:15], 0x4
	s_load_b32 s17, s[14:15], 0xc
	s_load_b32 s25, s[12:13], 0x0
	s_add_u32 s14, s14, 12
	s_addc_u32 s15, s15, 0
	s_add_u32 s12, s12, 4
	s_addc_u32 s13, s13, 0
	s_add_i32 s24, s24, -1
	s_delay_alu instid0(SALU_CYCLE_1) | instskip(SKIP_2) | instid1(VALU_DEP_1)
	s_cmp_lg_u32 s24, 0
	s_waitcnt lgkmcnt(0)
	v_mul_hi_u32 v2, s27, v1
	v_add_nc_u32_e32 v2, v1, v2
	s_delay_alu instid0(VALU_DEP_1) | instskip(NEXT) | instid1(VALU_DEP_1)
	v_lshrrev_b32_e32 v4, s17, v2
	v_mul_lo_u32 v2, v4, s26
	s_delay_alu instid0(VALU_DEP_1) | instskip(NEXT) | instid1(VALU_DEP_1)
	v_sub_nc_u32_e32 v1, v1, v2
	v_mad_u64_u32 v[2:3], null, v1, s25, v[0:1]
	s_delay_alu instid0(VALU_DEP_1)
	v_dual_mov_b32 v1, v4 :: v_dual_mov_b32 v0, v2
	s_cbranch_scc1 .LBB141_224
.LBB141_225:
	s_cbranch_execnz .LBB141_228
.LBB141_226:
	s_waitcnt lgkmcnt(0)
	v_mul_hi_u32 v0, s5, v6
	s_and_not1_b32 vcc_lo, exec_lo, s23
	s_delay_alu instid0(VALU_DEP_1) | instskip(NEXT) | instid1(VALU_DEP_1)
	v_add_nc_u32_e32 v0, v6, v0
	v_lshrrev_b32_e32 v1, s6, v0
	s_delay_alu instid0(VALU_DEP_1) | instskip(NEXT) | instid1(VALU_DEP_1)
	v_mul_lo_u32 v0, v1, s4
	v_sub_nc_u32_e32 v0, v6, v0
	s_delay_alu instid0(VALU_DEP_1)
	v_mul_lo_u32 v0, v0, s8
	s_cbranch_vccnz .LBB141_228
; %bb.227:
	v_mul_hi_u32 v2, s10, v1
	s_delay_alu instid0(VALU_DEP_1) | instskip(NEXT) | instid1(VALU_DEP_1)
	v_add_nc_u32_e32 v2, v1, v2
	v_lshrrev_b32_e32 v2, s11, v2
	s_delay_alu instid0(VALU_DEP_1) | instskip(NEXT) | instid1(VALU_DEP_1)
	v_mul_lo_u32 v2, v2, s7
	v_sub_nc_u32_e32 v3, v1, v2
	s_delay_alu instid0(VALU_DEP_1) | instskip(NEXT) | instid1(VALU_DEP_1)
	v_mad_u64_u32 v[1:2], null, v3, s9, v[0:1]
	v_mov_b32_e32 v0, v1
.LBB141_228:
	s_waitcnt lgkmcnt(0)
	v_mov_b32_e32 v1, s22
	global_store_b8 v0, v1, s[2:3]
	s_or_b32 exec_lo, exec_lo, s16
                                        ; implicit-def: $vgpr8
                                        ; implicit-def: $vgpr6
	s_and_not1_saveexec_b32 s2, s21
	s_cbranch_execz .LBB141_206
	s_branch .LBB141_8
	.section	.rodata,"a",@progbits
	.p2align	6, 0x0
	.amdhsa_kernel _ZN2at6native32elementwise_kernel_manual_unrollILi128ELi8EZNS0_22gpu_kernel_impl_nocastINS0_11FillFunctorIN3c1015Float8_e4m3fnuzEEEEEvRNS_18TensorIteratorBaseERKT_EUlibE_EEviT1_
		.amdhsa_group_segment_fixed_size 0
		.amdhsa_private_segment_fixed_size 0
		.amdhsa_kernarg_size 288
		.amdhsa_user_sgpr_count 15
		.amdhsa_user_sgpr_dispatch_ptr 0
		.amdhsa_user_sgpr_queue_ptr 0
		.amdhsa_user_sgpr_kernarg_segment_ptr 1
		.amdhsa_user_sgpr_dispatch_id 0
		.amdhsa_user_sgpr_private_segment_size 0
		.amdhsa_wavefront_size32 1
		.amdhsa_uses_dynamic_stack 0
		.amdhsa_enable_private_segment 0
		.amdhsa_system_sgpr_workgroup_id_x 1
		.amdhsa_system_sgpr_workgroup_id_y 0
		.amdhsa_system_sgpr_workgroup_id_z 0
		.amdhsa_system_sgpr_workgroup_info 0
		.amdhsa_system_vgpr_workitem_id 0
		.amdhsa_next_free_vgpr 18
		.amdhsa_next_free_sgpr 52
		.amdhsa_reserve_vcc 1
		.amdhsa_float_round_mode_32 0
		.amdhsa_float_round_mode_16_64 0
		.amdhsa_float_denorm_mode_32 3
		.amdhsa_float_denorm_mode_16_64 3
		.amdhsa_dx10_clamp 1
		.amdhsa_ieee_mode 1
		.amdhsa_fp16_overflow 0
		.amdhsa_workgroup_processor_mode 1
		.amdhsa_memory_ordered 1
		.amdhsa_forward_progress 0
		.amdhsa_shared_vgpr_count 0
		.amdhsa_exception_fp_ieee_invalid_op 0
		.amdhsa_exception_fp_denorm_src 0
		.amdhsa_exception_fp_ieee_div_zero 0
		.amdhsa_exception_fp_ieee_overflow 0
		.amdhsa_exception_fp_ieee_underflow 0
		.amdhsa_exception_fp_ieee_inexact 0
		.amdhsa_exception_int_div_zero 0
	.end_amdhsa_kernel
	.section	.text._ZN2at6native32elementwise_kernel_manual_unrollILi128ELi8EZNS0_22gpu_kernel_impl_nocastINS0_11FillFunctorIN3c1015Float8_e4m3fnuzEEEEEvRNS_18TensorIteratorBaseERKT_EUlibE_EEviT1_,"axG",@progbits,_ZN2at6native32elementwise_kernel_manual_unrollILi128ELi8EZNS0_22gpu_kernel_impl_nocastINS0_11FillFunctorIN3c1015Float8_e4m3fnuzEEEEEvRNS_18TensorIteratorBaseERKT_EUlibE_EEviT1_,comdat
.Lfunc_end141:
	.size	_ZN2at6native32elementwise_kernel_manual_unrollILi128ELi8EZNS0_22gpu_kernel_impl_nocastINS0_11FillFunctorIN3c1015Float8_e4m3fnuzEEEEEvRNS_18TensorIteratorBaseERKT_EUlibE_EEviT1_, .Lfunc_end141-_ZN2at6native32elementwise_kernel_manual_unrollILi128ELi8EZNS0_22gpu_kernel_impl_nocastINS0_11FillFunctorIN3c1015Float8_e4m3fnuzEEEEEvRNS_18TensorIteratorBaseERKT_EUlibE_EEviT1_
                                        ; -- End function
	.section	.AMDGPU.csdata,"",@progbits
; Kernel info:
; codeLenInByte = 11652
; NumSgprs: 54
; NumVgprs: 18
; ScratchSize: 0
; MemoryBound: 0
; FloatMode: 240
; IeeeMode: 1
; LDSByteSize: 0 bytes/workgroup (compile time only)
; SGPRBlocks: 6
; VGPRBlocks: 2
; NumSGPRsForWavesPerEU: 54
; NumVGPRsForWavesPerEU: 18
; Occupancy: 16
; WaveLimiterHint : 1
; COMPUTE_PGM_RSRC2:SCRATCH_EN: 0
; COMPUTE_PGM_RSRC2:USER_SGPR: 15
; COMPUTE_PGM_RSRC2:TRAP_HANDLER: 0
; COMPUTE_PGM_RSRC2:TGID_X_EN: 1
; COMPUTE_PGM_RSRC2:TGID_Y_EN: 0
; COMPUTE_PGM_RSRC2:TGID_Z_EN: 0
; COMPUTE_PGM_RSRC2:TIDIG_COMP_CNT: 0
	.section	.text._ZN2at6native32elementwise_kernel_manual_unrollILi128ELi4EZNS0_15gpu_kernel_implINS0_11FillFunctorIN3c1015Float8_e4m3fnuzEEEEEvRNS_18TensorIteratorBaseERKT_EUlibE_EEviT1_,"axG",@progbits,_ZN2at6native32elementwise_kernel_manual_unrollILi128ELi4EZNS0_15gpu_kernel_implINS0_11FillFunctorIN3c1015Float8_e4m3fnuzEEEEEvRNS_18TensorIteratorBaseERKT_EUlibE_EEviT1_,comdat
	.protected	_ZN2at6native32elementwise_kernel_manual_unrollILi128ELi4EZNS0_15gpu_kernel_implINS0_11FillFunctorIN3c1015Float8_e4m3fnuzEEEEEvRNS_18TensorIteratorBaseERKT_EUlibE_EEviT1_ ; -- Begin function _ZN2at6native32elementwise_kernel_manual_unrollILi128ELi4EZNS0_15gpu_kernel_implINS0_11FillFunctorIN3c1015Float8_e4m3fnuzEEEEEvRNS_18TensorIteratorBaseERKT_EUlibE_EEviT1_
	.globl	_ZN2at6native32elementwise_kernel_manual_unrollILi128ELi4EZNS0_15gpu_kernel_implINS0_11FillFunctorIN3c1015Float8_e4m3fnuzEEEEEvRNS_18TensorIteratorBaseERKT_EUlibE_EEviT1_
	.p2align	8
	.type	_ZN2at6native32elementwise_kernel_manual_unrollILi128ELi4EZNS0_15gpu_kernel_implINS0_11FillFunctorIN3c1015Float8_e4m3fnuzEEEEEvRNS_18TensorIteratorBaseERKT_EUlibE_EEviT1_,@function
_ZN2at6native32elementwise_kernel_manual_unrollILi128ELi4EZNS0_15gpu_kernel_implINS0_11FillFunctorIN3c1015Float8_e4m3fnuzEEEEEvRNS_18TensorIteratorBaseERKT_EUlibE_EEviT1_: ; @_ZN2at6native32elementwise_kernel_manual_unrollILi128ELi4EZNS0_15gpu_kernel_implINS0_11FillFunctorIN3c1015Float8_e4m3fnuzEEEEEvRNS_18TensorIteratorBaseERKT_EUlibE_EEviT1_
; %bb.0:
	s_clause 0x1
	s_load_b128 s[4:7], s[0:1], 0x8
	s_load_b32 s11, s[0:1], 0x0
	v_lshl_or_b32 v17, s15, 9, v0
	s_mov_b32 s8, 0
	s_mov_b32 s2, 0
	s_mov_b32 s0, exec_lo
	s_delay_alu instid0(VALU_DEP_1) | instskip(SKIP_2) | instid1(VALU_DEP_2)
	v_or_b32_e32 v0, 0x180, v17
	s_waitcnt lgkmcnt(0)
	v_lshrrev_b16 v12, 8, s7
	v_cmpx_le_i32_e64 s11, v0
	s_xor_b32 s3, exec_lo, s0
	s_cbranch_execz .LBB142_473
; %bb.1:
	v_lshrrev_b16 v0, 3, s7
	s_and_b32 s0, s7, 7
	s_lshl_b32 s9, s7, 24
	s_clz_i32_u32 s1, s0
	s_mov_b32 s14, 0
	s_min_u32 s1, s1, 32
	v_readfirstlane_b32 s2, v0
	s_sub_i32 s10, s1, 28
	s_sub_i32 s1, 29, s1
	s_lshl_b32 s10, s7, s10
	s_mov_b32 s12, 0
	s_and_b32 s2, s2, 15
	s_and_b32 s10, s10, 7
	s_cmp_eq_u32 s2, 0
	s_mov_b32 s13, exec_lo
	s_cselect_b32 s1, s1, s2
	s_cselect_b32 s0, s10, s0
	s_lshl_b32 s1, s1, 23
	s_and_b32 s2, s9, 0x80000000
	s_add_i32 s1, s1, 0x3b800000
	s_lshl_b32 s0, s0, 20
	s_or_b32 s2, s2, s1
	s_or_b32 s10, s0, s1
	;; [unrolled: 1-line block ×3, first 2 shown]
	s_and_b32 s1, s1, 0x7f800000
	v_cvt_f64_f32_e32 v[6:7], s2
	v_trunc_f32_e32 v0, s2
	v_cvt_f16_f32_e32 v14, s2
	s_or_b32 s0, s1, s0
	v_cvt_u32_f32_e32 v16, s2
	v_cvt_i32_f32_e32 v13, s2
	v_mul_f32_e64 v1, 0x2f800000, |v0|
	v_mul_f32_e32 v2, 0x2f800000, v0
	v_ashrrev_i32_e32 v5, 31, v0
	v_and_b32_e32 v15, 0xffff, v14
	s_cmp_lg_u32 s0, 0
	v_floor_f32_e32 v1, v1
	v_floor_f32_e32 v2, v2
	s_cselect_b32 s9, -1, 0
	s_mov_b32 s1, -1
	s_delay_alu instid0(VALU_DEP_2) | instskip(SKIP_3) | instid1(VALU_DEP_4)
	v_fma_f32 v3, 0xcf800000, v1, |v0|
	v_cvt_u32_f32_e32 v1, v1
	v_fmamk_f32 v0, v2, 0xcf800000, v0
	v_cvt_u32_f32_e32 v9, v2
	v_cvt_u32_f32_e32 v3, v3
	s_delay_alu instid0(VALU_DEP_4) | instskip(NEXT) | instid1(VALU_DEP_4)
	v_xor_b32_e32 v1, v1, v5
	v_cvt_u32_f32_e32 v8, v0
	s_delay_alu instid0(VALU_DEP_3) | instskip(NEXT) | instid1(VALU_DEP_1)
	v_xor_b32_e32 v3, v3, v5
	v_sub_co_u32 v4, vcc_lo, v3, v5
	s_delay_alu instid0(VALU_DEP_4)
	v_sub_co_ci_u32_e32 v5, vcc_lo, v1, v5, vcc_lo
	v_cmpx_gt_i32_e64 s11, v17
	s_cbranch_execz .LBB142_310
; %bb.2:
	v_mul_lo_u32 v0, v17, s6
	v_cmp_gt_i16_e32 vcc_lo, 11, v12
	s_delay_alu instid0(VALU_DEP_2) | instskip(SKIP_1) | instid1(VALU_DEP_1)
	v_ashrrev_i32_e32 v1, 31, v0
	v_add_co_u32 v10, s0, s4, v0
	v_add_co_ci_u32_e64 v11, s0, s5, v1, s0
	s_cbranch_vccnz .LBB142_11
; %bb.3:
	v_cmp_lt_i16_e32 vcc_lo, 25, v12
	s_cbranch_vccz .LBB142_14
; %bb.4:
	v_cmp_lt_i16_e32 vcc_lo, 28, v12
	s_cbranch_vccz .LBB142_15
	;; [unrolled: 3-line block ×4, first 2 shown]
; %bb.7:
	v_cmp_eq_u16_e32 vcc_lo, 46, v12
	s_mov_b32 s1, 0
	s_mov_b32 s12, -1
	s_mov_b32 s0, 0
	s_cbranch_vccz .LBB142_26
; %bb.8:
	v_and_b32_e64 v0, 0xff, s7
	s_delay_alu instid0(VALU_DEP_1)
	v_cmp_gt_i16_e32 vcc_lo, 0x80, v0
	s_cbranch_vccnz .LBB142_18
; %bb.9:
	v_cmp_eq_u16_e32 vcc_lo, 0x80, v0
	s_cbranch_vccz .LBB142_19
; %bb.10:
	s_mov_b32 s12, 0
	s_mov_b32 s0, 0x7f800001
	s_branch .LBB142_20
.LBB142_11:
	s_mov_b32 s0, 0
	s_and_b32 vcc_lo, exec_lo, s1
	s_cbranch_vccnz .LBB142_175
.LBB142_12:
	s_and_not1_b32 vcc_lo, exec_lo, s0
	s_cbranch_vccnz .LBB142_308
.LBB142_13:
	v_add_nc_u32_e32 v17, 0x80, v17
	s_mov_b32 s0, -1
	s_branch .LBB142_309
.LBB142_14:
	s_mov_b32 s0, 0
	s_and_b32 vcc_lo, exec_lo, s1
	s_cbranch_vccnz .LBB142_78
	s_branch .LBB142_174
.LBB142_15:
	s_mov_b32 s0, 0
	s_branch .LBB142_53
.LBB142_16:
	s_mov_b32 s0, 0
	s_branch .LBB142_40
.LBB142_17:
	s_mov_b32 s0, 0
	s_branch .LBB142_26
.LBB142_18:
	s_mov_b32 s15, -1
	s_mov_b32 s12, 0
                                        ; implicit-def: $sgpr0
	s_branch .LBB142_21
.LBB142_19:
                                        ; implicit-def: $sgpr0
.LBB142_20:
	s_mov_b32 s15, 0
.LBB142_21:
	s_delay_alu instid0(SALU_CYCLE_1)
	s_and_b32 vcc_lo, exec_lo, s15
	s_cbranch_vccz .LBB142_23
; %bb.22:
	v_cmp_ne_u16_e64 s12, 0, v0
	s_mov_b32 s0, 0
.LBB142_23:
	s_delay_alu instid0(VALU_DEP_1)
	s_and_not1_b32 vcc_lo, exec_lo, s12
	s_cbranch_vccnz .LBB142_25
; %bb.24:
	s_mov_b32 s0, s2
.LBB142_25:
	s_delay_alu instid0(SALU_CYCLE_1) | instskip(NEXT) | instid1(SALU_CYCLE_1)
	s_bfe_u32 s12, s0, 0x10010
	s_add_i32 s12, s0, s12
	v_cmp_o_f32_e64 s0, s0, s0
	s_addk_i32 s12, 0x7fff
	s_delay_alu instid0(SALU_CYCLE_1) | instskip(NEXT) | instid1(VALU_DEP_1)
	s_lshr_b32 s12, s12, 16
	s_and_b32 s0, s0, exec_lo
	s_cselect_b32 s0, s12, 0x7fc0
	s_mov_b32 s12, 0
	v_mov_b32_e32 v0, s0
	s_mov_b32 s0, -1
	global_store_b32 v[10:11], v0, off
.LBB142_26:
	s_and_b32 vcc_lo, exec_lo, s1
	s_cbranch_vccz .LBB142_39
; %bb.27:
	v_cmp_eq_u16_e32 vcc_lo, 44, v12
	s_mov_b32 s12, -1
	s_cbranch_vccz .LBB142_39
; %bb.28:
	v_and_b32_e64 v0, 0xff, s7
	s_delay_alu instid0(VALU_DEP_1)
	v_cmp_gt_i16_e32 vcc_lo, 0x80, v0
	v_readfirstlane_b32 s1, v0
	s_cbranch_vccnz .LBB142_31
; %bb.29:
	s_delay_alu instid0(VALU_DEP_1) | instskip(NEXT) | instid1(VALU_DEP_1)
	v_cmp_eq_u16_e64 s0, 0x80, s1
	s_and_b32 vcc_lo, exec_lo, s0
	s_cbranch_vccz .LBB142_32
; %bb.30:
	s_mov_b32 s12, 0
	s_mov_b32 s0, 0x7f800001
	s_branch .LBB142_33
.LBB142_31:
	s_mov_b32 s15, -1
	s_mov_b32 s12, 0
                                        ; implicit-def: $sgpr0
	s_branch .LBB142_34
.LBB142_32:
                                        ; implicit-def: $sgpr0
.LBB142_33:
	s_mov_b32 s15, 0
.LBB142_34:
	s_delay_alu instid0(SALU_CYCLE_1)
	s_and_b32 vcc_lo, exec_lo, s15
	s_cbranch_vccz .LBB142_44
; %bb.35:
	v_cmp_ne_u16_e64 s12, s1, 0
	s_and_b32 s0, 0xffff, s1
	s_delay_alu instid0(VALU_DEP_1)
	s_and_not1_b32 vcc_lo, exec_lo, s12
	s_cbranch_vccz .LBB142_45
.LBB142_36:
	v_mov_b32_e32 v0, 0xff
	s_bfe_u32 s1, s0, 0x80017
	s_delay_alu instid0(SALU_CYCLE_1)
	s_cmpk_eq_i32 s1, 0xff
	s_cbranch_scc1 .LBB142_38
.LBB142_37:
	s_lshr_b32 s12, s0, 23
	s_bitcmp1_b32 s0, 22
	s_cselect_b32 s15, -1, 0
	s_and_b32 s0, s0, 0x3fffff
	s_delay_alu instid0(SALU_CYCLE_1) | instskip(NEXT) | instid1(SALU_CYCLE_1)
	s_or_b32 s0, s1, s0
	s_cmp_lg_u32 s0, 0
	s_cselect_b32 s0, -1, 0
	s_delay_alu instid0(SALU_CYCLE_1) | instskip(NEXT) | instid1(SALU_CYCLE_1)
	s_and_b32 s0, s15, s0
	v_cndmask_b32_e64 v0, 0, 1, s0
	s_delay_alu instid0(VALU_DEP_1)
	v_add_nc_u32_e32 v0, s12, v0
.LBB142_38:
	s_mov_b32 s0, -1
	s_mov_b32 s12, 0
	global_store_b8 v[10:11], v0, off
.LBB142_39:
	s_mov_b32 s1, 0
.LBB142_40:
	s_delay_alu instid0(SALU_CYCLE_1)
	s_and_b32 vcc_lo, exec_lo, s1
	s_cbranch_vccz .LBB142_52
; %bb.41:
	v_cmp_eq_u16_e32 vcc_lo, 29, v12
	s_mov_b32 s12, -1
	s_cbranch_vccz .LBB142_52
; %bb.42:
	v_and_b32_e64 v0, 0xff, s7
	s_delay_alu instid0(VALU_DEP_1)
	v_cmp_gt_i16_e32 vcc_lo, 0x80, v0
	s_cbranch_vccnz .LBB142_46
; %bb.43:
	v_cmp_ne_u16_e64 s12, 0x80, v0
	s_mov_b32 s15, 0
	s_mov_b64 s[0:1], 0
	s_branch .LBB142_47
.LBB142_44:
	s_and_not1_b32 vcc_lo, exec_lo, s12
	s_cbranch_vccnz .LBB142_36
.LBB142_45:
	s_mov_b32 s0, s10
	v_mov_b32_e32 v0, 0xff
	s_bfe_u32 s1, s0, 0x80017
	s_delay_alu instid0(SALU_CYCLE_1)
	s_cmpk_eq_i32 s1, 0xff
	s_cbranch_scc0 .LBB142_37
	s_branch .LBB142_38
.LBB142_46:
	s_mov_b32 s15, -1
	s_mov_b32 s12, 0
                                        ; implicit-def: $sgpr0_sgpr1
.LBB142_47:
	s_and_not1_b32 vcc_lo, exec_lo, s15
	s_cbranch_vccnz .LBB142_49
; %bb.48:
	v_cmp_ne_u16_e64 s12, 0, v0
	s_mov_b64 s[0:1], 0
.LBB142_49:
	s_delay_alu instid0(SALU_CYCLE_1) | instskip(NEXT) | instid1(VALU_DEP_2)
	v_dual_mov_b32 v0, s0 :: v_dual_mov_b32 v1, s1
	s_and_not1_b32 vcc_lo, exec_lo, s12
	s_cbranch_vccnz .LBB142_51
; %bb.50:
	v_dual_mov_b32 v0, v8 :: v_dual_mov_b32 v1, v9
.LBB142_51:
	s_mov_b32 s0, -1
	s_mov_b32 s12, 0
	global_store_b64 v[10:11], v[0:1], off
.LBB142_52:
	s_mov_b32 s1, 0
.LBB142_53:
	s_delay_alu instid0(SALU_CYCLE_1)
	s_and_b32 vcc_lo, exec_lo, s1
	s_cbranch_vccz .LBB142_77
; %bb.54:
	v_cmp_gt_i16_e32 vcc_lo, 27, v12
	s_mov_b32 s0, -1
	s_cbranch_vccnz .LBB142_74
; %bb.55:
	v_cmp_lt_i16_e32 vcc_lo, 27, v12
	s_cbranch_vccz .LBB142_64
; %bb.56:
	v_and_b32_e64 v0, 0xff, s7
	s_delay_alu instid0(VALU_DEP_1)
	v_cmp_gt_i16_e32 vcc_lo, 0x80, v0
	s_cbranch_vccnz .LBB142_58
; %bb.57:
	v_cmp_ne_u16_e64 s0, 0x80, v0
	s_mov_b32 s15, 0
	s_mov_b32 s1, 0
	s_branch .LBB142_59
.LBB142_58:
	s_mov_b32 s15, -1
	s_mov_b32 s0, 0
                                        ; implicit-def: $sgpr1
.LBB142_59:
	s_and_not1_b32 vcc_lo, exec_lo, s15
	s_cbranch_vccnz .LBB142_61
; %bb.60:
	v_cmp_ne_u16_e64 s0, 0, v0
	s_mov_b32 s1, 0
.LBB142_61:
	s_delay_alu instid0(SALU_CYCLE_1) | instskip(NEXT) | instid1(VALU_DEP_2)
	v_mov_b32_e32 v0, s1
	s_and_not1_b32 vcc_lo, exec_lo, s0
	s_cbranch_vccnz .LBB142_63
; %bb.62:
	v_mov_b32_e32 v0, v16
.LBB142_63:
	s_mov_b32 s0, 0
	global_store_b32 v[10:11], v0, off
.LBB142_64:
	s_and_b32 vcc_lo, exec_lo, s0
	s_cbranch_vccz .LBB142_73
; %bb.65:
	v_and_b32_e64 v0, 0xff, s7
	s_delay_alu instid0(VALU_DEP_1)
	v_cmp_gt_i16_e32 vcc_lo, 0x80, v0
	s_cbranch_vccnz .LBB142_67
; %bb.66:
	v_cmp_ne_u16_e64 s0, 0x80, v0
	s_mov_b32 s15, 0
	s_mov_b32 s1, 0
	s_branch .LBB142_68
.LBB142_67:
	s_mov_b32 s15, -1
	s_mov_b32 s0, 0
                                        ; implicit-def: $sgpr1
.LBB142_68:
	s_and_not1_b32 vcc_lo, exec_lo, s15
	s_cbranch_vccnz .LBB142_70
; %bb.69:
	v_cmp_ne_u16_e64 s0, 0, v0
	s_mov_b32 s1, 0
.LBB142_70:
	s_delay_alu instid0(SALU_CYCLE_1) | instskip(NEXT) | instid1(VALU_DEP_2)
	v_mov_b32_e32 v0, s1
	s_and_not1_b32 vcc_lo, exec_lo, s0
	s_cbranch_vccnz .LBB142_72
; %bb.71:
	v_mov_b32_e32 v0, v16
.LBB142_72:
	global_store_b16 v[10:11], v0, off
.LBB142_73:
	s_mov_b32 s0, 0
.LBB142_74:
	s_delay_alu instid0(SALU_CYCLE_1)
	s_and_not1_b32 vcc_lo, exec_lo, s0
	s_cbranch_vccnz .LBB142_76
; %bb.75:
	v_mov_b32_e32 v0, s7
	global_store_b8 v[10:11], v0, off
.LBB142_76:
	s_mov_b32 s0, -1
.LBB142_77:
	s_branch .LBB142_174
.LBB142_78:
	v_cmp_lt_i16_e32 vcc_lo, 22, v12
	s_mov_b32 s1, -1
	s_cbranch_vccz .LBB142_146
; %bb.79:
	v_cmp_gt_i16_e32 vcc_lo, 24, v12
	s_mov_b32 s0, -1
	s_cbranch_vccnz .LBB142_123
; %bb.80:
	v_cmp_lt_i16_e32 vcc_lo, 24, v12
	s_cbranch_vccz .LBB142_100
; %bb.81:
	v_and_b32_e64 v0, 0xff, s7
	s_delay_alu instid0(VALU_DEP_1)
	v_cmp_gt_i16_e32 vcc_lo, 0x80, v0
	s_cbranch_vccnz .LBB142_84
; %bb.82:
	v_cmp_eq_u16_e32 vcc_lo, 0x80, v0
	s_cbranch_vccz .LBB142_85
; %bb.83:
	s_mov_b32 s1, 0
	s_mov_b32 s0, 0x7f800001
	s_branch .LBB142_86
.LBB142_84:
	s_mov_b32 s15, -1
	s_mov_b32 s1, 0
                                        ; implicit-def: $sgpr0
	s_branch .LBB142_87
.LBB142_85:
                                        ; implicit-def: $sgpr0
.LBB142_86:
	s_mov_b32 s15, 0
.LBB142_87:
	s_delay_alu instid0(SALU_CYCLE_1)
	s_and_b32 vcc_lo, exec_lo, s15
	s_cbranch_vccz .LBB142_90
; %bb.88:
	v_cmp_ne_u16_e64 s1, 0, v0
	s_mov_b32 s0, 0
	s_delay_alu instid0(VALU_DEP_1)
	s_and_not1_b32 vcc_lo, exec_lo, s1
	s_cbranch_vccz .LBB142_91
.LBB142_89:
	v_mov_b32_e32 v1, 0x80
	s_and_b32 s1, s0, 0x7fffffff
	s_delay_alu instid0(SALU_CYCLE_1)
	s_cmp_gt_u32 s1, 0x477fffff
	s_cbranch_scc0 .LBB142_92
	s_branch .LBB142_99
.LBB142_90:
	s_and_not1_b32 vcc_lo, exec_lo, s1
	s_cbranch_vccnz .LBB142_89
.LBB142_91:
	s_mov_b32 s0, s2
	v_mov_b32_e32 v1, 0x80
	s_and_b32 s1, s0, 0x7fffffff
	s_delay_alu instid0(SALU_CYCLE_1)
	s_cmp_gt_u32 s1, 0x477fffff
	s_cbranch_scc1 .LBB142_99
.LBB142_92:
	s_cmp_gt_u32 s1, 0x37ffffff
	s_cbranch_scc0 .LBB142_94
; %bb.93:
	s_bfe_u32 s1, s0, 0x10015
	s_mov_b32 s15, 0
	s_add_i32 s1, s0, s1
	s_delay_alu instid0(SALU_CYCLE_1) | instskip(NEXT) | instid1(SALU_CYCLE_1)
	s_add_i32 s1, s1, 0x88fffff
	s_lshr_b32 s16, s1, 21
	s_mov_b32 s1, -1
	s_branch .LBB142_95
.LBB142_94:
	s_mov_b32 s15, -1
	s_mov_b32 s1, 0
                                        ; implicit-def: $sgpr16
.LBB142_95:
	v_mov_b32_e32 v0, s16
	s_and_not1_b32 vcc_lo, exec_lo, s15
                                        ; implicit-def: $sgpr15
	s_cbranch_vccnz .LBB142_97
; %bb.96:
	v_add_f32_e64 v0, 0x42800000, |s0|
	s_mov_b32 s15, 0
	s_delay_alu instid0(VALU_DEP_1) | instskip(NEXT) | instid1(VALU_DEP_1)
	v_and_b32_e32 v0, 0xff, v0
	v_cmp_ne_u32_e64 s1, 0, v0
.LBB142_97:
	v_mov_b32_e32 v1, s15
	s_delay_alu instid0(VALU_DEP_2)
	s_and_not1_b32 vcc_lo, exec_lo, s1
	s_cbranch_vccnz .LBB142_99
; %bb.98:
	s_lshr_b32 s0, s0, 24
	s_delay_alu instid0(SALU_CYCLE_1) | instskip(NEXT) | instid1(SALU_CYCLE_1)
	s_and_b32 s0, s0, 0x80
	v_or_b32_e32 v1, s0, v0
.LBB142_99:
	s_mov_b32 s0, 0
	global_store_b8 v[10:11], v1, off
.LBB142_100:
	s_and_b32 vcc_lo, exec_lo, s0
	s_cbranch_vccz .LBB142_122
; %bb.101:
	v_and_b32_e64 v0, 0xff, s7
	s_delay_alu instid0(VALU_DEP_1)
	v_cmp_gt_i16_e32 vcc_lo, 0x80, v0
	s_cbranch_vccnz .LBB142_104
; %bb.102:
	v_cmp_eq_u16_e32 vcc_lo, 0x80, v0
	s_cbranch_vccz .LBB142_105
; %bb.103:
	s_mov_b32 s1, 0
	s_mov_b32 s0, 0x7f800001
	s_branch .LBB142_106
.LBB142_104:
	s_mov_b32 s15, -1
	s_mov_b32 s1, 0
                                        ; implicit-def: $sgpr0
	s_branch .LBB142_107
.LBB142_105:
	s_mov_b32 s1, -1
                                        ; implicit-def: $sgpr0
.LBB142_106:
	s_mov_b32 s15, 0
.LBB142_107:
	s_delay_alu instid0(SALU_CYCLE_1)
	s_and_b32 vcc_lo, exec_lo, s15
	s_cbranch_vccz .LBB142_112
; %bb.108:
	v_cmp_ne_u16_e64 s1, 0, v0
	s_mov_b32 s0, 0
	s_delay_alu instid0(VALU_DEP_1)
	s_and_not1_b32 vcc_lo, exec_lo, s1
	s_cbranch_vccz .LBB142_113
.LBB142_109:
	s_and_b32 s1, s0, 0x7fffffff
	s_delay_alu instid0(SALU_CYCLE_1)
	s_cmp_lt_u32 s1, 0x43f00000
	s_cbranch_scc0 .LBB142_114
.LBB142_110:
	s_cmp_gt_u32 s1, 0x3c7fffff
	s_cbranch_scc0 .LBB142_115
; %bb.111:
	s_bfe_u32 s15, s0, 0x10014
	s_delay_alu instid0(SALU_CYCLE_1) | instskip(NEXT) | instid1(SALU_CYCLE_1)
	s_add_i32 s15, s0, s15
	s_add_i32 s15, s15, 0x407ffff
	s_delay_alu instid0(SALU_CYCLE_1)
	s_and_b32 s16, s15, 0xff00000
	s_lshr_b32 s15, s15, 20
	s_cmp_lg_u32 s16, 0x7f00000
	s_cselect_b32 s16, s15, 0x7e
	s_mov_b32 s15, 0
	s_branch .LBB142_116
.LBB142_112:
	s_and_not1_b32 vcc_lo, exec_lo, s1
	s_cbranch_vccnz .LBB142_109
.LBB142_113:
	s_mov_b32 s0, s2
	s_delay_alu instid0(SALU_CYCLE_1) | instskip(NEXT) | instid1(SALU_CYCLE_1)
	s_and_b32 s1, s0, 0x7fffffff
	s_cmp_lt_u32 s1, 0x43f00000
	s_cbranch_scc1 .LBB142_110
.LBB142_114:
	s_mov_b32 s15, -1
                                        ; implicit-def: $vgpr0
	s_branch .LBB142_119
.LBB142_115:
	s_mov_b32 s15, -1
                                        ; implicit-def: $sgpr16
.LBB142_116:
	v_mov_b32_e32 v0, s16
	s_and_not1_b32 vcc_lo, exec_lo, s15
	s_cbranch_vccnz .LBB142_118
; %bb.117:
	v_add_f32_e64 v0, 0x46800000, |s0|
.LBB142_118:
	s_mov_b32 s15, 0
.LBB142_119:
	s_delay_alu instid0(SALU_CYCLE_1)
	s_and_not1_b32 vcc_lo, exec_lo, s15
	s_cbranch_vccnz .LBB142_121
; %bb.120:
	s_cmp_gt_u32 s1, 0x7f800000
	s_movk_i32 s1, 0x7f
	s_delay_alu instid0(SALU_CYCLE_1) | instskip(NEXT) | instid1(SALU_CYCLE_1)
	s_cselect_b32 s1, s1, 0x7e
	v_mov_b32_e32 v0, s1
.LBB142_121:
	s_lshr_b32 s0, s0, 24
	s_delay_alu instid0(SALU_CYCLE_1)
	s_and_b32 s0, s0, 0x80
	s_delay_alu instid0(VALU_DEP_1) | instid1(SALU_CYCLE_1)
	v_or_b32_e32 v0, s0, v0
	global_store_b8 v[10:11], v0, off
.LBB142_122:
	s_mov_b32 s0, 0
.LBB142_123:
	s_delay_alu instid0(SALU_CYCLE_1)
	s_and_not1_b32 vcc_lo, exec_lo, s0
	s_cbranch_vccnz .LBB142_145
; %bb.124:
	v_and_b32_e64 v0, 0xff, s7
	s_delay_alu instid0(VALU_DEP_1)
	v_cmp_gt_i16_e32 vcc_lo, 0x80, v0
	s_cbranch_vccnz .LBB142_127
; %bb.125:
	v_cmp_eq_u16_e32 vcc_lo, 0x80, v0
	s_cbranch_vccz .LBB142_128
; %bb.126:
	s_mov_b32 s1, 0
	s_mov_b32 s0, 0x7f800001
	s_branch .LBB142_129
.LBB142_127:
	s_mov_b32 s15, -1
	s_mov_b32 s1, 0
                                        ; implicit-def: $sgpr0
	s_branch .LBB142_130
.LBB142_128:
	s_mov_b32 s1, -1
                                        ; implicit-def: $sgpr0
.LBB142_129:
	s_mov_b32 s15, 0
.LBB142_130:
	s_delay_alu instid0(SALU_CYCLE_1)
	s_and_b32 vcc_lo, exec_lo, s15
	s_cbranch_vccz .LBB142_135
; %bb.131:
	v_cmp_ne_u16_e64 s1, 0, v0
	s_mov_b32 s0, 0
	s_delay_alu instid0(VALU_DEP_1)
	s_and_not1_b32 vcc_lo, exec_lo, s1
	s_cbranch_vccz .LBB142_136
.LBB142_132:
	s_and_b32 s1, s0, 0x7fffffff
	s_delay_alu instid0(SALU_CYCLE_1)
	s_cmp_lt_u32 s1, 0x47800000
	s_cbranch_scc0 .LBB142_137
.LBB142_133:
	s_cmp_gt_u32 s1, 0x387fffff
	s_cbranch_scc0 .LBB142_138
; %bb.134:
	s_bfe_u32 s15, s0, 0x10015
	s_delay_alu instid0(SALU_CYCLE_1) | instskip(NEXT) | instid1(SALU_CYCLE_1)
	s_add_i32 s15, s0, s15
	s_add_i32 s15, s15, 0x80fffff
	s_delay_alu instid0(SALU_CYCLE_1)
	s_lshr_b32 s16, s15, 21
	s_mov_b32 s15, 0
	s_branch .LBB142_139
.LBB142_135:
	s_and_not1_b32 vcc_lo, exec_lo, s1
	s_cbranch_vccnz .LBB142_132
.LBB142_136:
	s_mov_b32 s0, s2
	s_delay_alu instid0(SALU_CYCLE_1) | instskip(NEXT) | instid1(SALU_CYCLE_1)
	s_and_b32 s1, s0, 0x7fffffff
	s_cmp_lt_u32 s1, 0x47800000
	s_cbranch_scc1 .LBB142_133
.LBB142_137:
	s_mov_b32 s15, -1
                                        ; implicit-def: $vgpr0
	s_branch .LBB142_142
.LBB142_138:
	s_mov_b32 s15, -1
                                        ; implicit-def: $sgpr16
.LBB142_139:
	v_mov_b32_e32 v0, s16
	s_and_not1_b32 vcc_lo, exec_lo, s15
	s_cbranch_vccnz .LBB142_141
; %bb.140:
	v_add_f32_e64 v0, 0x43000000, |s0|
.LBB142_141:
	s_mov_b32 s15, 0
.LBB142_142:
	s_delay_alu instid0(SALU_CYCLE_1)
	s_and_not1_b32 vcc_lo, exec_lo, s15
	s_cbranch_vccnz .LBB142_144
; %bb.143:
	s_cmp_gt_u32 s1, 0x7f800000
	s_movk_i32 s1, 0x7f
	s_delay_alu instid0(SALU_CYCLE_1) | instskip(NEXT) | instid1(SALU_CYCLE_1)
	s_cselect_b32 s1, s1, 0x7c
	v_mov_b32_e32 v0, s1
.LBB142_144:
	s_lshr_b32 s0, s0, 24
	s_delay_alu instid0(SALU_CYCLE_1)
	s_and_b32 s0, s0, 0x80
	s_delay_alu instid0(VALU_DEP_1) | instid1(SALU_CYCLE_1)
	v_or_b32_e32 v0, s0, v0
	global_store_b8 v[10:11], v0, off
.LBB142_145:
	s_mov_b32 s1, 0
	s_mov_b32 s0, -1
.LBB142_146:
	s_and_not1_b32 vcc_lo, exec_lo, s1
	s_cbranch_vccnz .LBB142_174
; %bb.147:
	v_cmp_lt_i16_e32 vcc_lo, 14, v12
	s_mov_b32 s1, -1
	s_cbranch_vccz .LBB142_161
; %bb.148:
	v_cmp_eq_u16_e32 vcc_lo, 15, v12
	s_mov_b32 s12, -1
	s_cbranch_vccz .LBB142_160
; %bb.149:
	v_and_b32_e64 v0, 0xff, s7
	s_delay_alu instid0(VALU_DEP_1)
	v_cmp_gt_i16_e32 vcc_lo, 0x80, v0
	s_cbranch_vccnz .LBB142_152
; %bb.150:
	v_cmp_eq_u16_e32 vcc_lo, 0x80, v0
	s_cbranch_vccz .LBB142_153
; %bb.151:
	s_mov_b32 s1, 0
	s_mov_b32 s0, 0x7f800001
	s_branch .LBB142_154
.LBB142_152:
	s_mov_b32 s1, 0
                                        ; implicit-def: $sgpr0
	s_branch .LBB142_155
.LBB142_153:
                                        ; implicit-def: $sgpr0
.LBB142_154:
	s_mov_b32 s12, 0
.LBB142_155:
	s_delay_alu instid0(SALU_CYCLE_1)
	s_and_b32 vcc_lo, exec_lo, s12
	s_cbranch_vccz .LBB142_157
; %bb.156:
	v_cmp_ne_u16_e64 s1, 0, v0
	s_mov_b32 s0, 0
.LBB142_157:
	s_delay_alu instid0(VALU_DEP_1)
	s_and_not1_b32 vcc_lo, exec_lo, s1
	s_cbranch_vccnz .LBB142_159
; %bb.158:
	s_mov_b32 s0, s2
.LBB142_159:
	s_delay_alu instid0(SALU_CYCLE_1) | instskip(SKIP_4) | instid1(SALU_CYCLE_1)
	s_bfe_u32 s1, s0, 0x10010
	s_mov_b32 s12, 0
	s_add_i32 s1, s0, s1
	v_cmp_o_f32_e64 s0, s0, s0
	s_addk_i32 s1, 0x7fff
	s_lshr_b32 s1, s1, 16
	s_delay_alu instid0(VALU_DEP_1) | instskip(SKIP_1) | instid1(SALU_CYCLE_1)
	s_and_b32 s0, s0, exec_lo
	s_cselect_b32 s0, s1, 0x7fc0
	v_mov_b32_e32 v0, s0
	s_mov_b32 s0, -1
	global_store_b16 v[10:11], v0, off
.LBB142_160:
	s_mov_b32 s1, 0
.LBB142_161:
	s_delay_alu instid0(SALU_CYCLE_1)
	s_and_b32 vcc_lo, exec_lo, s1
	s_cbranch_vccz .LBB142_174
; %bb.162:
	v_cmp_eq_u16_e32 vcc_lo, 11, v12
	s_mov_b32 s12, -1
	s_cbranch_vccz .LBB142_174
; %bb.163:
	v_and_b32_e64 v0, 0xff, s7
	s_delay_alu instid0(VALU_DEP_1)
	v_cmp_gt_i16_e32 vcc_lo, 0x80, v0
	s_cbranch_vccnz .LBB142_166
; %bb.164:
	v_cmp_eq_u16_e32 vcc_lo, 0x80, v0
	s_cbranch_vccz .LBB142_167
; %bb.165:
	s_mov_b32 s1, 0
	s_mov_b32 s0, -1
	s_branch .LBB142_168
.LBB142_166:
	s_mov_b32 s1, 0
                                        ; implicit-def: $sgpr0
	s_branch .LBB142_169
.LBB142_167:
	s_mov_b32 s1, -1
                                        ; implicit-def: $sgpr0
.LBB142_168:
	s_mov_b32 s12, 0
.LBB142_169:
	s_delay_alu instid0(SALU_CYCLE_1)
	s_and_b32 vcc_lo, exec_lo, s12
	s_cbranch_vccz .LBB142_171
; %bb.170:
	v_cmp_ne_u16_e64 s1, 0, v0
	s_mov_b32 s0, 0
.LBB142_171:
	s_delay_alu instid0(VALU_DEP_1)
	s_and_not1_b32 vcc_lo, exec_lo, s1
	s_cbranch_vccnz .LBB142_173
; %bb.172:
	s_mov_b32 s0, s9
.LBB142_173:
	s_delay_alu instid0(SALU_CYCLE_1)
	v_cndmask_b32_e64 v0, 0, 1, s0
	s_mov_b32 s0, -1
	s_mov_b32 s12, 0
	global_store_b8 v[10:11], v0, off
.LBB142_174:
	s_branch .LBB142_12
.LBB142_175:
	v_cmp_gt_i16_e32 vcc_lo, 5, v12
	s_mov_b32 s0, -1
	s_cbranch_vccnz .LBB142_256
; %bb.176:
	v_cmp_gt_i16_e32 vcc_lo, 8, v12
	s_cbranch_vccnz .LBB142_216
; %bb.177:
	v_cmp_gt_i16_e32 vcc_lo, 9, v12
	s_cbranch_vccnz .LBB142_203
; %bb.178:
	v_cmp_lt_i16_e32 vcc_lo, 9, v12
	s_cbranch_vccz .LBB142_190
; %bb.179:
	v_and_b32_e64 v0, 0xff, s7
	s_delay_alu instid0(VALU_DEP_1)
	v_cmp_gt_i16_e32 vcc_lo, 0x80, v0
	s_cbranch_vccnz .LBB142_182
; %bb.180:
	v_cmp_eq_u16_e32 vcc_lo, 0x80, v0
	s_cbranch_vccz .LBB142_183
; %bb.181:
	s_mov_b32 s15, 0
	s_mov_b32 s1, 0x7ff80000
	s_brev_b32 s0, 4
	s_branch .LBB142_184
.LBB142_182:
	s_mov_b32 s16, -1
	s_mov_b32 s15, 0
                                        ; implicit-def: $sgpr0_sgpr1
	s_branch .LBB142_185
.LBB142_183:
	s_mov_b32 s15, -1
                                        ; implicit-def: $sgpr0_sgpr1
.LBB142_184:
	s_mov_b32 s16, 0
.LBB142_185:
	s_delay_alu instid0(SALU_CYCLE_1)
	s_and_b32 vcc_lo, exec_lo, s16
	s_cbranch_vccz .LBB142_187
; %bb.186:
	v_cmp_ne_u16_e64 s15, 0, v0
	s_mov_b64 s[0:1], 0
.LBB142_187:
	s_delay_alu instid0(SALU_CYCLE_1) | instskip(NEXT) | instid1(VALU_DEP_2)
	v_dual_mov_b32 v0, s0 :: v_dual_mov_b32 v1, s1
	s_and_not1_b32 vcc_lo, exec_lo, s15
	s_cbranch_vccnz .LBB142_189
; %bb.188:
	v_dual_mov_b32 v0, v6 :: v_dual_mov_b32 v1, v7
.LBB142_189:
	v_mov_b32_e32 v2, 0
	s_mov_b32 s0, 0
	s_delay_alu instid0(VALU_DEP_1)
	v_mov_b32_e32 v3, v2
	global_store_b128 v[10:11], v[0:3], off
.LBB142_190:
	s_and_b32 vcc_lo, exec_lo, s0
	s_cbranch_vccz .LBB142_202
; %bb.191:
	v_and_b32_e64 v1, 0xff, s7
	s_delay_alu instid0(VALU_DEP_1)
	v_cmp_gt_i16_e32 vcc_lo, 0x80, v1
	s_cbranch_vccnz .LBB142_194
; %bb.192:
	v_cmp_eq_u16_e32 vcc_lo, 0x80, v1
	s_cbranch_vccz .LBB142_195
; %bb.193:
	s_mov_b32 s0, 0
	s_mov_b32 s1, 0x7f800001
	s_branch .LBB142_196
.LBB142_194:
	s_mov_b32 s15, -1
	s_mov_b32 s0, 0
                                        ; implicit-def: $sgpr1
	s_branch .LBB142_197
.LBB142_195:
	s_mov_b32 s0, -1
                                        ; implicit-def: $sgpr1
.LBB142_196:
	s_mov_b32 s15, 0
.LBB142_197:
	v_mov_b32_e32 v0, s1
	s_and_b32 vcc_lo, exec_lo, s15
	s_cbranch_vccz .LBB142_199
; %bb.198:
	v_and_b32_e32 v0, 0xffff, v1
	v_cmp_ne_u16_e64 s0, 0, v1
.LBB142_199:
	s_delay_alu instid0(VALU_DEP_1)
	s_and_not1_b32 vcc_lo, exec_lo, s0
	s_cbranch_vccnz .LBB142_201
; %bb.200:
	v_mov_b32_e32 v0, s2
.LBB142_201:
	v_mov_b32_e32 v1, 0
	global_store_b64 v[10:11], v[0:1], off
.LBB142_202:
	s_mov_b32 s0, 0
.LBB142_203:
	s_delay_alu instid0(SALU_CYCLE_1)
	s_and_not1_b32 vcc_lo, exec_lo, s0
	s_cbranch_vccnz .LBB142_215
; %bb.204:
	v_and_b32_e64 v0, 0xff, s7
	s_delay_alu instid0(VALU_DEP_1)
	v_cmp_gt_i16_e32 vcc_lo, 0x80, v0
	s_cbranch_vccnz .LBB142_207
; %bb.205:
	v_cmp_eq_u16_e32 vcc_lo, 0x80, v0
	s_cbranch_vccz .LBB142_208
; %bb.206:
	s_mov_b32 s0, 0
	s_movk_i32 s1, 0x7e00
	s_branch .LBB142_209
.LBB142_207:
	s_mov_b32 s15, -1
	s_mov_b32 s0, 0
                                        ; implicit-def: $sgpr1
	s_branch .LBB142_210
.LBB142_208:
	s_mov_b32 s0, -1
                                        ; implicit-def: $sgpr1
.LBB142_209:
	s_mov_b32 s15, 0
.LBB142_210:
	v_mov_b32_e32 v1, s1
	s_and_b32 vcc_lo, exec_lo, s15
	s_cbranch_vccz .LBB142_212
; %bb.211:
	v_and_b32_e32 v1, 0xffff, v0
	v_cmp_ne_u16_e64 s0, 0, v0
.LBB142_212:
	s_delay_alu instid0(VALU_DEP_1)
	s_and_not1_b32 vcc_lo, exec_lo, s0
	s_cbranch_vccnz .LBB142_214
; %bb.213:
	v_mov_b32_e32 v1, v15
.LBB142_214:
	global_store_b32 v[10:11], v1, off
.LBB142_215:
	s_mov_b32 s0, 0
.LBB142_216:
	s_delay_alu instid0(SALU_CYCLE_1)
	s_and_not1_b32 vcc_lo, exec_lo, s0
	s_cbranch_vccnz .LBB142_255
; %bb.217:
	v_cmp_gt_i16_e32 vcc_lo, 6, v12
	s_mov_b32 s0, -1
	s_cbranch_vccnz .LBB142_243
; %bb.218:
	v_cmp_lt_i16_e32 vcc_lo, 6, v12
	s_cbranch_vccz .LBB142_230
; %bb.219:
	v_and_b32_e64 v0, 0xff, s7
	s_delay_alu instid0(VALU_DEP_1)
	v_cmp_gt_i16_e32 vcc_lo, 0x80, v0
	s_cbranch_vccnz .LBB142_222
; %bb.220:
	v_cmp_eq_u16_e32 vcc_lo, 0x80, v0
	s_cbranch_vccz .LBB142_223
; %bb.221:
	s_mov_b32 s15, 0
	s_mov_b32 s1, 0x7ff80000
	s_brev_b32 s0, 4
	s_branch .LBB142_224
.LBB142_222:
	s_mov_b32 s16, -1
	s_mov_b32 s15, 0
                                        ; implicit-def: $sgpr0_sgpr1
	s_branch .LBB142_225
.LBB142_223:
	s_mov_b32 s15, -1
                                        ; implicit-def: $sgpr0_sgpr1
.LBB142_224:
	s_mov_b32 s16, 0
.LBB142_225:
	s_delay_alu instid0(SALU_CYCLE_1)
	s_and_b32 vcc_lo, exec_lo, s16
	s_cbranch_vccz .LBB142_227
; %bb.226:
	v_cmp_ne_u16_e64 s15, 0, v0
	s_mov_b64 s[0:1], 0
.LBB142_227:
	s_delay_alu instid0(SALU_CYCLE_1) | instskip(NEXT) | instid1(VALU_DEP_2)
	v_dual_mov_b32 v0, s0 :: v_dual_mov_b32 v1, s1
	s_and_not1_b32 vcc_lo, exec_lo, s15
	s_cbranch_vccnz .LBB142_229
; %bb.228:
	v_dual_mov_b32 v0, v6 :: v_dual_mov_b32 v1, v7
.LBB142_229:
	s_mov_b32 s0, 0
	global_store_b64 v[10:11], v[0:1], off
.LBB142_230:
	s_and_b32 vcc_lo, exec_lo, s0
	s_cbranch_vccz .LBB142_242
; %bb.231:
	v_and_b32_e64 v0, 0xff, s7
	s_delay_alu instid0(VALU_DEP_1)
	v_cmp_gt_i16_e32 vcc_lo, 0x80, v0
	s_cbranch_vccnz .LBB142_234
; %bb.232:
	v_cmp_eq_u16_e32 vcc_lo, 0x80, v0
	s_cbranch_vccz .LBB142_235
; %bb.233:
	s_mov_b32 s1, 0
	s_mov_b32 s0, 0x7f800001
	s_branch .LBB142_236
.LBB142_234:
	s_mov_b32 s15, -1
	s_mov_b32 s1, 0
                                        ; implicit-def: $sgpr0
	s_branch .LBB142_237
.LBB142_235:
	s_mov_b32 s1, -1
                                        ; implicit-def: $sgpr0
.LBB142_236:
	s_mov_b32 s15, 0
.LBB142_237:
	s_delay_alu instid0(SALU_CYCLE_1)
	s_and_b32 vcc_lo, exec_lo, s15
	s_cbranch_vccz .LBB142_239
; %bb.238:
	v_cmp_ne_u16_e64 s1, 0, v0
	s_mov_b32 s0, 0
.LBB142_239:
	s_delay_alu instid0(VALU_DEP_1)
	s_and_not1_b32 vcc_lo, exec_lo, s1
	s_cbranch_vccnz .LBB142_241
; %bb.240:
	s_mov_b32 s0, s2
.LBB142_241:
	s_delay_alu instid0(SALU_CYCLE_1)
	v_mov_b32_e32 v0, s0
	global_store_b32 v[10:11], v0, off
.LBB142_242:
	s_mov_b32 s0, 0
.LBB142_243:
	s_delay_alu instid0(SALU_CYCLE_1)
	s_and_not1_b32 vcc_lo, exec_lo, s0
	s_cbranch_vccnz .LBB142_255
; %bb.244:
	v_and_b32_e64 v0, 0xff, s7
	s_delay_alu instid0(VALU_DEP_1)
	v_cmp_gt_i16_e32 vcc_lo, 0x80, v0
	s_cbranch_vccnz .LBB142_247
; %bb.245:
	v_cmp_eq_u16_e32 vcc_lo, 0x80, v0
	s_cbranch_vccz .LBB142_248
; %bb.246:
	s_mov_b32 s0, 0
	s_movk_i32 s1, 0x7e00
	s_branch .LBB142_249
.LBB142_247:
	s_mov_b32 s15, -1
	s_mov_b32 s0, 0
                                        ; implicit-def: $sgpr1
	s_branch .LBB142_250
.LBB142_248:
	s_mov_b32 s0, -1
                                        ; implicit-def: $sgpr1
.LBB142_249:
	s_mov_b32 s15, 0
.LBB142_250:
	v_mov_b32_e32 v1, s1
	s_and_b32 vcc_lo, exec_lo, s15
	s_cbranch_vccz .LBB142_252
; %bb.251:
	v_cmp_ne_u16_e64 s0, 0, v0
	v_mov_b32_e32 v1, v0
.LBB142_252:
	s_delay_alu instid0(VALU_DEP_2)
	s_and_not1_b32 vcc_lo, exec_lo, s0
	s_cbranch_vccnz .LBB142_254
; %bb.253:
	v_mov_b32_e32 v1, v14
.LBB142_254:
	global_store_b16 v[10:11], v1, off
.LBB142_255:
	s_mov_b32 s0, 0
.LBB142_256:
	s_delay_alu instid0(SALU_CYCLE_1)
	s_and_not1_b32 vcc_lo, exec_lo, s0
	s_cbranch_vccnz .LBB142_307
; %bb.257:
	v_cmp_gt_i16_e32 vcc_lo, 2, v12
	s_mov_b32 s0, -1
	s_cbranch_vccnz .LBB142_288
; %bb.258:
	v_cmp_gt_i16_e32 vcc_lo, 3, v12
	s_cbranch_vccnz .LBB142_278
; %bb.259:
	v_cmp_lt_i16_e32 vcc_lo, 3, v12
	s_cbranch_vccz .LBB142_268
; %bb.260:
	v_and_b32_e64 v0, 0xff, s7
	s_delay_alu instid0(VALU_DEP_1)
	v_cmp_gt_i16_e32 vcc_lo, 0x80, v0
	s_cbranch_vccnz .LBB142_262
; %bb.261:
	v_cmp_ne_u16_e64 s15, 0x80, v0
	s_mov_b32 s16, 0
	s_mov_b64 s[0:1], 0
	s_branch .LBB142_263
.LBB142_262:
	s_mov_b32 s16, -1
	s_mov_b32 s15, 0
                                        ; implicit-def: $sgpr0_sgpr1
.LBB142_263:
	s_and_not1_b32 vcc_lo, exec_lo, s16
	s_cbranch_vccnz .LBB142_265
; %bb.264:
	v_cmp_ne_u16_e64 s15, 0, v0
	s_mov_b64 s[0:1], 0
.LBB142_265:
	s_delay_alu instid0(SALU_CYCLE_1) | instskip(NEXT) | instid1(VALU_DEP_2)
	v_dual_mov_b32 v0, s0 :: v_dual_mov_b32 v1, s1
	s_and_not1_b32 vcc_lo, exec_lo, s15
	s_cbranch_vccnz .LBB142_267
; %bb.266:
	v_dual_mov_b32 v0, v4 :: v_dual_mov_b32 v1, v5
.LBB142_267:
	s_mov_b32 s0, 0
	global_store_b64 v[10:11], v[0:1], off
.LBB142_268:
	s_and_b32 vcc_lo, exec_lo, s0
	s_cbranch_vccz .LBB142_277
; %bb.269:
	v_and_b32_e64 v0, 0xff, s7
	s_delay_alu instid0(VALU_DEP_1)
	v_cmp_gt_i16_e32 vcc_lo, 0x80, v0
	s_cbranch_vccnz .LBB142_271
; %bb.270:
	v_cmp_ne_u16_e64 s0, 0x80, v0
	s_mov_b32 s15, 0
	s_mov_b32 s1, 0
	s_branch .LBB142_272
.LBB142_271:
	s_mov_b32 s15, -1
	s_mov_b32 s0, 0
                                        ; implicit-def: $sgpr1
.LBB142_272:
	s_and_not1_b32 vcc_lo, exec_lo, s15
	s_cbranch_vccnz .LBB142_274
; %bb.273:
	v_cmp_ne_u16_e64 s0, 0, v0
	s_mov_b32 s1, 0
.LBB142_274:
	s_delay_alu instid0(SALU_CYCLE_1) | instskip(NEXT) | instid1(VALU_DEP_2)
	v_mov_b32_e32 v0, s1
	s_and_not1_b32 vcc_lo, exec_lo, s0
	s_cbranch_vccnz .LBB142_276
; %bb.275:
	v_mov_b32_e32 v0, v13
.LBB142_276:
	global_store_b32 v[10:11], v0, off
.LBB142_277:
	s_mov_b32 s0, 0
.LBB142_278:
	s_delay_alu instid0(SALU_CYCLE_1)
	s_and_not1_b32 vcc_lo, exec_lo, s0
	s_cbranch_vccnz .LBB142_287
; %bb.279:
	v_and_b32_e64 v0, 0xff, s7
	s_delay_alu instid0(VALU_DEP_1)
	v_cmp_gt_i16_e32 vcc_lo, 0x80, v0
	s_cbranch_vccnz .LBB142_281
; %bb.280:
	v_cmp_ne_u16_e64 s0, 0x80, v0
	s_mov_b32 s15, 0
	s_mov_b32 s1, 0
	s_branch .LBB142_282
.LBB142_281:
	s_mov_b32 s15, -1
	s_mov_b32 s0, 0
                                        ; implicit-def: $sgpr1
.LBB142_282:
	s_and_not1_b32 vcc_lo, exec_lo, s15
	s_cbranch_vccnz .LBB142_284
; %bb.283:
	v_cmp_ne_u16_e64 s0, 0, v0
	s_mov_b32 s1, 0
.LBB142_284:
	s_delay_alu instid0(SALU_CYCLE_1) | instskip(NEXT) | instid1(VALU_DEP_2)
	v_mov_b32_e32 v0, s1
	s_and_not1_b32 vcc_lo, exec_lo, s0
	s_cbranch_vccnz .LBB142_286
; %bb.285:
	v_mov_b32_e32 v0, v13
.LBB142_286:
	global_store_b16 v[10:11], v0, off
.LBB142_287:
	s_mov_b32 s0, 0
.LBB142_288:
	s_delay_alu instid0(SALU_CYCLE_1)
	s_and_not1_b32 vcc_lo, exec_lo, s0
	s_cbranch_vccnz .LBB142_307
; %bb.289:
	v_cmp_lt_i16_e32 vcc_lo, 0, v12
	s_mov_b32 s0, 0
	s_mov_b32 s1, -1
	s_cbranch_vccz .LBB142_298
; %bb.290:
	v_and_b32_e64 v0, 0xff, s7
	s_delay_alu instid0(VALU_DEP_1)
	v_cmp_gt_i16_e32 vcc_lo, 0x80, v0
	s_cbranch_vccnz .LBB142_292
; %bb.291:
	v_cmp_ne_u16_e64 s0, 0x80, v0
	s_mov_b32 s15, 0
	s_mov_b32 s1, 0
	s_branch .LBB142_293
.LBB142_292:
	s_mov_b32 s15, -1
                                        ; implicit-def: $sgpr1
.LBB142_293:
	s_delay_alu instid0(SALU_CYCLE_1)
	s_and_not1_b32 vcc_lo, exec_lo, s15
	s_cbranch_vccnz .LBB142_295
; %bb.294:
	v_cmp_ne_u16_e64 s0, 0, v0
	s_mov_b32 s1, 0
.LBB142_295:
	s_delay_alu instid0(SALU_CYCLE_1) | instskip(NEXT) | instid1(VALU_DEP_2)
	v_mov_b32_e32 v0, s1
	s_and_not1_b32 vcc_lo, exec_lo, s0
	s_cbranch_vccnz .LBB142_297
; %bb.296:
	v_mov_b32_e32 v0, v13
.LBB142_297:
	s_mov_b32 s1, 0
	global_store_b8 v[10:11], v0, off
.LBB142_298:
	s_and_b32 vcc_lo, exec_lo, s1
	s_cbranch_vccz .LBB142_307
; %bb.299:
	v_and_b32_e64 v0, 0xff, s7
	s_delay_alu instid0(VALU_DEP_1)
	v_cmp_gt_i16_e32 vcc_lo, 0x80, v0
	s_cbranch_vccnz .LBB142_301
; %bb.300:
	v_cmp_ne_u16_e64 s0, 0x80, v0
	s_mov_b32 s15, 0
	s_mov_b32 s1, 0
	s_branch .LBB142_302
.LBB142_301:
	s_mov_b32 s15, -1
	s_mov_b32 s0, 0
                                        ; implicit-def: $sgpr1
.LBB142_302:
	s_and_not1_b32 vcc_lo, exec_lo, s15
	s_cbranch_vccnz .LBB142_304
; %bb.303:
	v_cmp_ne_u16_e64 s0, 0, v0
	s_mov_b32 s1, 0
.LBB142_304:
	s_delay_alu instid0(SALU_CYCLE_1) | instskip(NEXT) | instid1(VALU_DEP_2)
	v_mov_b32_e32 v0, s1
	s_and_not1_b32 vcc_lo, exec_lo, s0
	s_cbranch_vccnz .LBB142_306
; %bb.305:
	v_mov_b32_e32 v0, v4
.LBB142_306:
	global_store_b8 v[10:11], v0, off
.LBB142_307:
	s_branch .LBB142_13
.LBB142_308:
	s_mov_b32 s0, 0
                                        ; implicit-def: $vgpr17
.LBB142_309:
	s_and_b32 s12, s12, exec_lo
	s_or_not1_b32 s1, s0, exec_lo
.LBB142_310:
	s_or_b32 exec_lo, exec_lo, s13
	s_mov_b32 s0, 0
                                        ; implicit-def: $vgpr10_vgpr11
	s_and_saveexec_b32 s13, s1
	s_cbranch_execz .LBB142_321
; %bb.311:
	s_mov_b32 s0, -1
	s_mov_b32 s14, s12
	s_mov_b32 s15, exec_lo
	v_cmpx_gt_i32_e64 s11, v17
	s_cbranch_execz .LBB142_1392
; %bb.312:
	v_mul_lo_u32 v0, v17, s6
	v_cmp_gt_i16_e32 vcc_lo, 11, v12
	s_delay_alu instid0(VALU_DEP_2) | instskip(SKIP_1) | instid1(VALU_DEP_1)
	v_ashrrev_i32_e32 v1, 31, v0
	v_add_co_u32 v10, s0, s4, v0
	v_add_co_ci_u32_e64 v11, s0, s5, v1, s0
	s_cbranch_vccnz .LBB142_339
; %bb.313:
	v_cmp_lt_i16_e32 vcc_lo, 25, v12
	s_cbranch_vccz .LBB142_343
; %bb.314:
	v_cmp_lt_i16_e32 vcc_lo, 28, v12
	s_cbranch_vccz .LBB142_344
	;; [unrolled: 3-line block ×4, first 2 shown]
; %bb.317:
	v_cmp_eq_u16_e32 vcc_lo, 46, v12
	s_mov_b32 s1, 0
	s_mov_b32 s14, -1
	s_mov_b32 s0, 0
	s_cbranch_vccz .LBB142_1107
; %bb.318:
	v_and_b32_e64 v0, 0xff, s7
	s_delay_alu instid0(VALU_DEP_1)
	v_cmp_gt_i16_e32 vcc_lo, 0x80, v0
	s_cbranch_vccnz .LBB142_924
; %bb.319:
	v_cmp_eq_u16_e32 vcc_lo, 0x80, v0
	s_cbranch_vccz .LBB142_1100
; %bb.320:
	s_mov_b32 s14, 0
	s_mov_b32 s0, 0x7f800001
	s_branch .LBB142_1101
.LBB142_321:
	s_or_b32 exec_lo, exec_lo, s13
	s_mov_b32 s10, 0
	s_and_saveexec_b32 s1, s12
	s_cbranch_execnz .LBB142_2473
.LBB142_322:
	s_or_b32 exec_lo, exec_lo, s1
	s_and_saveexec_b32 s1, s14
	s_cbranch_execz .LBB142_331
.LBB142_323:
	v_and_b32_e64 v0, 0xff, s7
	s_delay_alu instid0(VALU_DEP_1)
	v_cmp_gt_i16_e32 vcc_lo, 0x80, v0
	s_cbranch_vccnz .LBB142_326
; %bb.324:
	v_cmp_eq_u16_e32 vcc_lo, 0x80, v0
	s_cbranch_vccz .LBB142_342
; %bb.325:
	s_mov_b32 s12, 0
	s_mov_b32 s11, -1
	s_branch .LBB142_328
.LBB142_326:
	s_mov_b32 s12, 0
                                        ; implicit-def: $sgpr11
	s_cbranch_execz .LBB142_328
; %bb.327:
	v_cmp_ne_u16_e64 s12, 0, v0
	s_mov_b32 s11, 0
.LBB142_328:
	s_delay_alu instid0(VALU_DEP_1)
	s_and_not1_b32 vcc_lo, exec_lo, s12
	s_cbranch_vccnz .LBB142_330
; %bb.329:
	s_mov_b32 s11, s9
.LBB142_330:
	s_delay_alu instid0(SALU_CYCLE_1)
	v_cndmask_b32_e64 v0, 0, 1, s11
	global_store_b8 v[10:11], v0, off
.LBB142_331:
	s_or_b32 exec_lo, exec_lo, s1
	s_and_saveexec_b32 s1, s0
	s_delay_alu instid0(SALU_CYCLE_1)
	s_xor_b32 s9, exec_lo, s1
	s_cbranch_execz .LBB142_472
; %bb.332:
	v_cmp_gt_i16_e32 vcc_lo, 5, v12
	s_mov_b32 s0, -1
	s_cbranch_vccnz .LBB142_421
; %bb.333:
	v_cmp_gt_i16_e32 vcc_lo, 8, v12
	s_cbranch_vccnz .LBB142_381
; %bb.334:
	v_cmp_gt_i16_e32 vcc_lo, 9, v12
	s_cbranch_vccnz .LBB142_368
; %bb.335:
	v_cmp_lt_i16_e32 vcc_lo, 9, v12
	s_cbranch_vccz .LBB142_355
; %bb.336:
	v_and_b32_e64 v0, 0xff, s7
	s_delay_alu instid0(VALU_DEP_1)
	v_cmp_gt_i16_e32 vcc_lo, 0x80, v0
	s_cbranch_vccnz .LBB142_346
; %bb.337:
	v_cmp_eq_u16_e32 vcc_lo, 0x80, v0
	s_cbranch_vccz .LBB142_348
; %bb.338:
	s_mov_b32 s11, 0
	s_mov_b32 s1, 0x7ff80000
	s_brev_b32 s0, 4
	s_branch .LBB142_349
.LBB142_339:
	s_mov_b32 s0, 0
	s_mov_b32 s14, s12
	s_cbranch_execnz .LBB142_1257
.LBB142_340:
	s_and_not1_b32 vcc_lo, exec_lo, s0
	s_cbranch_vccnz .LBB142_1390
.LBB142_341:
	v_add_nc_u32_e32 v17, 0x80, v17
	s_mov_b32 s0, -1
	s_branch .LBB142_1391
.LBB142_342:
	s_mov_b32 s12, -1
                                        ; implicit-def: $sgpr11
	s_branch .LBB142_328
.LBB142_343:
	s_mov_b32 s1, -1
	s_mov_b32 s0, 0
	s_mov_b32 s14, s12
	s_branch .LBB142_1159
.LBB142_344:
	s_mov_b32 s1, -1
	s_mov_b32 s0, 0
	s_mov_b32 s14, s12
	s_branch .LBB142_1134
.LBB142_345:
	s_mov_b32 s1, -1
	s_mov_b32 s0, 0
	s_mov_b32 s14, s12
	s_branch .LBB142_1121
.LBB142_346:
	s_mov_b32 s12, -1
	s_mov_b32 s11, 0
                                        ; implicit-def: $sgpr0_sgpr1
	s_branch .LBB142_350
.LBB142_347:
	s_mov_b32 s1, -1
	s_mov_b32 s0, 0
	s_mov_b32 s14, s12
	s_branch .LBB142_1107
.LBB142_348:
	s_mov_b32 s11, -1
                                        ; implicit-def: $sgpr0_sgpr1
.LBB142_349:
	s_mov_b32 s12, 0
.LBB142_350:
	s_delay_alu instid0(SALU_CYCLE_1)
	s_and_b32 vcc_lo, exec_lo, s12
	s_cbranch_vccz .LBB142_352
; %bb.351:
	v_cmp_ne_u16_e64 s11, 0, v0
	s_mov_b64 s[0:1], 0
.LBB142_352:
	s_delay_alu instid0(SALU_CYCLE_1) | instskip(NEXT) | instid1(VALU_DEP_2)
	v_dual_mov_b32 v0, s0 :: v_dual_mov_b32 v1, s1
	s_and_not1_b32 vcc_lo, exec_lo, s11
	s_cbranch_vccnz .LBB142_354
; %bb.353:
	v_dual_mov_b32 v0, v6 :: v_dual_mov_b32 v1, v7
.LBB142_354:
	v_mov_b32_e32 v2, 0
	s_mov_b32 s0, 0
	s_delay_alu instid0(VALU_DEP_1)
	v_mov_b32_e32 v3, v2
	global_store_b128 v[10:11], v[0:3], off
.LBB142_355:
	s_and_b32 vcc_lo, exec_lo, s0
	s_cbranch_vccz .LBB142_367
; %bb.356:
	v_and_b32_e64 v1, 0xff, s7
	s_delay_alu instid0(VALU_DEP_1)
	v_cmp_gt_i16_e32 vcc_lo, 0x80, v1
	s_cbranch_vccnz .LBB142_359
; %bb.357:
	v_cmp_eq_u16_e32 vcc_lo, 0x80, v1
	s_cbranch_vccz .LBB142_360
; %bb.358:
	s_mov_b32 s0, 0
	s_mov_b32 s1, 0x7f800001
	s_branch .LBB142_361
.LBB142_359:
	s_mov_b32 s11, -1
	s_mov_b32 s0, 0
                                        ; implicit-def: $sgpr1
	s_branch .LBB142_362
.LBB142_360:
	s_mov_b32 s0, -1
                                        ; implicit-def: $sgpr1
.LBB142_361:
	s_mov_b32 s11, 0
.LBB142_362:
	v_mov_b32_e32 v0, s1
	s_and_b32 vcc_lo, exec_lo, s11
	s_cbranch_vccz .LBB142_364
; %bb.363:
	v_and_b32_e32 v0, 0xffff, v1
	v_cmp_ne_u16_e64 s0, 0, v1
.LBB142_364:
	s_delay_alu instid0(VALU_DEP_1)
	s_and_not1_b32 vcc_lo, exec_lo, s0
	s_cbranch_vccnz .LBB142_366
; %bb.365:
	v_mov_b32_e32 v0, s2
.LBB142_366:
	v_mov_b32_e32 v1, 0
	global_store_b64 v[10:11], v[0:1], off
.LBB142_367:
	s_mov_b32 s0, 0
.LBB142_368:
	s_delay_alu instid0(SALU_CYCLE_1)
	s_and_not1_b32 vcc_lo, exec_lo, s0
	s_cbranch_vccnz .LBB142_380
; %bb.369:
	v_and_b32_e64 v0, 0xff, s7
	s_delay_alu instid0(VALU_DEP_1)
	v_cmp_gt_i16_e32 vcc_lo, 0x80, v0
	s_cbranch_vccnz .LBB142_372
; %bb.370:
	v_cmp_eq_u16_e32 vcc_lo, 0x80, v0
	s_cbranch_vccz .LBB142_373
; %bb.371:
	s_mov_b32 s0, 0
	s_movk_i32 s1, 0x7e00
	s_branch .LBB142_374
.LBB142_372:
	s_mov_b32 s11, -1
	s_mov_b32 s0, 0
                                        ; implicit-def: $sgpr1
	s_branch .LBB142_375
.LBB142_373:
	s_mov_b32 s0, -1
                                        ; implicit-def: $sgpr1
.LBB142_374:
	s_mov_b32 s11, 0
.LBB142_375:
	v_mov_b32_e32 v1, s1
	s_and_b32 vcc_lo, exec_lo, s11
	s_cbranch_vccz .LBB142_377
; %bb.376:
	v_and_b32_e32 v1, 0xffff, v0
	v_cmp_ne_u16_e64 s0, 0, v0
.LBB142_377:
	s_delay_alu instid0(VALU_DEP_1)
	s_and_not1_b32 vcc_lo, exec_lo, s0
	s_cbranch_vccnz .LBB142_379
; %bb.378:
	v_mov_b32_e32 v1, v15
.LBB142_379:
	global_store_b32 v[10:11], v1, off
.LBB142_380:
	s_mov_b32 s0, 0
.LBB142_381:
	s_delay_alu instid0(SALU_CYCLE_1)
	s_and_not1_b32 vcc_lo, exec_lo, s0
	s_cbranch_vccnz .LBB142_420
; %bb.382:
	v_cmp_gt_i16_e32 vcc_lo, 6, v12
	s_mov_b32 s0, -1
	s_cbranch_vccnz .LBB142_408
; %bb.383:
	v_cmp_lt_i16_e32 vcc_lo, 6, v12
	s_cbranch_vccz .LBB142_395
; %bb.384:
	v_and_b32_e64 v0, 0xff, s7
	s_delay_alu instid0(VALU_DEP_1)
	v_cmp_gt_i16_e32 vcc_lo, 0x80, v0
	s_cbranch_vccnz .LBB142_387
; %bb.385:
	v_cmp_eq_u16_e32 vcc_lo, 0x80, v0
	s_cbranch_vccz .LBB142_388
; %bb.386:
	s_mov_b32 s11, 0
	s_mov_b32 s1, 0x7ff80000
	s_brev_b32 s0, 4
	s_branch .LBB142_389
.LBB142_387:
	s_mov_b32 s12, -1
	s_mov_b32 s11, 0
                                        ; implicit-def: $sgpr0_sgpr1
	s_branch .LBB142_390
.LBB142_388:
	s_mov_b32 s11, -1
                                        ; implicit-def: $sgpr0_sgpr1
.LBB142_389:
	s_mov_b32 s12, 0
.LBB142_390:
	s_delay_alu instid0(SALU_CYCLE_1)
	s_and_b32 vcc_lo, exec_lo, s12
	s_cbranch_vccz .LBB142_392
; %bb.391:
	v_cmp_ne_u16_e64 s11, 0, v0
	s_mov_b64 s[0:1], 0
.LBB142_392:
	s_delay_alu instid0(SALU_CYCLE_1) | instskip(NEXT) | instid1(VALU_DEP_2)
	v_dual_mov_b32 v0, s0 :: v_dual_mov_b32 v1, s1
	s_and_not1_b32 vcc_lo, exec_lo, s11
	s_cbranch_vccnz .LBB142_394
; %bb.393:
	v_dual_mov_b32 v0, v6 :: v_dual_mov_b32 v1, v7
.LBB142_394:
	s_mov_b32 s0, 0
	global_store_b64 v[10:11], v[0:1], off
.LBB142_395:
	s_and_b32 vcc_lo, exec_lo, s0
	s_cbranch_vccz .LBB142_407
; %bb.396:
	v_and_b32_e64 v0, 0xff, s7
	s_delay_alu instid0(VALU_DEP_1)
	v_cmp_gt_i16_e32 vcc_lo, 0x80, v0
	s_cbranch_vccnz .LBB142_399
; %bb.397:
	v_cmp_eq_u16_e32 vcc_lo, 0x80, v0
	s_cbranch_vccz .LBB142_400
; %bb.398:
	s_mov_b32 s1, 0
	s_mov_b32 s0, 0x7f800001
	s_branch .LBB142_401
.LBB142_399:
	s_mov_b32 s11, -1
	s_mov_b32 s1, 0
                                        ; implicit-def: $sgpr0
	s_branch .LBB142_402
.LBB142_400:
	s_mov_b32 s1, -1
                                        ; implicit-def: $sgpr0
.LBB142_401:
	s_mov_b32 s11, 0
.LBB142_402:
	s_delay_alu instid0(SALU_CYCLE_1)
	s_and_b32 vcc_lo, exec_lo, s11
	s_cbranch_vccz .LBB142_404
; %bb.403:
	v_cmp_ne_u16_e64 s1, 0, v0
	s_mov_b32 s0, 0
.LBB142_404:
	s_delay_alu instid0(VALU_DEP_1)
	s_and_not1_b32 vcc_lo, exec_lo, s1
	s_cbranch_vccnz .LBB142_406
; %bb.405:
	s_mov_b32 s0, s2
.LBB142_406:
	s_delay_alu instid0(SALU_CYCLE_1)
	v_mov_b32_e32 v0, s0
	global_store_b32 v[10:11], v0, off
.LBB142_407:
	s_mov_b32 s0, 0
.LBB142_408:
	s_delay_alu instid0(SALU_CYCLE_1)
	s_and_not1_b32 vcc_lo, exec_lo, s0
	s_cbranch_vccnz .LBB142_420
; %bb.409:
	v_and_b32_e64 v0, 0xff, s7
	s_delay_alu instid0(VALU_DEP_1)
	v_cmp_gt_i16_e32 vcc_lo, 0x80, v0
	s_cbranch_vccnz .LBB142_412
; %bb.410:
	v_cmp_eq_u16_e32 vcc_lo, 0x80, v0
	s_cbranch_vccz .LBB142_413
; %bb.411:
	s_mov_b32 s0, 0
	s_movk_i32 s1, 0x7e00
	s_branch .LBB142_414
.LBB142_412:
	s_mov_b32 s2, -1
	s_mov_b32 s0, 0
                                        ; implicit-def: $sgpr1
	s_branch .LBB142_415
.LBB142_413:
	s_mov_b32 s0, -1
                                        ; implicit-def: $sgpr1
.LBB142_414:
	s_mov_b32 s2, 0
.LBB142_415:
	v_mov_b32_e32 v1, s1
	s_and_b32 vcc_lo, exec_lo, s2
	s_cbranch_vccz .LBB142_417
; %bb.416:
	v_cmp_ne_u16_e64 s0, 0, v0
	v_mov_b32_e32 v1, v0
.LBB142_417:
	s_delay_alu instid0(VALU_DEP_2)
	s_and_not1_b32 vcc_lo, exec_lo, s0
	s_cbranch_vccnz .LBB142_419
; %bb.418:
	v_mov_b32_e32 v1, v14
.LBB142_419:
	global_store_b16 v[10:11], v1, off
.LBB142_420:
	s_mov_b32 s0, 0
.LBB142_421:
	s_delay_alu instid0(SALU_CYCLE_1)
	s_and_not1_b32 vcc_lo, exec_lo, s0
	s_cbranch_vccnz .LBB142_472
; %bb.422:
	v_cmp_gt_i16_e32 vcc_lo, 2, v12
	s_mov_b32 s0, -1
	s_cbranch_vccnz .LBB142_453
; %bb.423:
	v_cmp_gt_i16_e32 vcc_lo, 3, v12
	s_cbranch_vccnz .LBB142_443
; %bb.424:
	v_cmp_lt_i16_e32 vcc_lo, 3, v12
	s_cbranch_vccz .LBB142_433
; %bb.425:
	v_and_b32_e64 v0, 0xff, s7
	s_delay_alu instid0(VALU_DEP_1)
	v_cmp_gt_i16_e32 vcc_lo, 0x80, v0
	s_cbranch_vccnz .LBB142_427
; %bb.426:
	v_cmp_ne_u16_e64 s2, 0x80, v0
	s_mov_b32 s11, 0
	s_mov_b64 s[0:1], 0
	s_branch .LBB142_428
.LBB142_427:
	s_mov_b32 s11, -1
	s_mov_b32 s2, 0
                                        ; implicit-def: $sgpr0_sgpr1
.LBB142_428:
	s_and_not1_b32 vcc_lo, exec_lo, s11
	s_cbranch_vccnz .LBB142_430
; %bb.429:
	v_cmp_ne_u16_e64 s2, 0, v0
	s_mov_b64 s[0:1], 0
.LBB142_430:
	s_delay_alu instid0(SALU_CYCLE_1) | instskip(NEXT) | instid1(VALU_DEP_2)
	v_dual_mov_b32 v0, s0 :: v_dual_mov_b32 v1, s1
	s_and_not1_b32 vcc_lo, exec_lo, s2
	s_cbranch_vccnz .LBB142_432
; %bb.431:
	v_dual_mov_b32 v0, v4 :: v_dual_mov_b32 v1, v5
.LBB142_432:
	s_mov_b32 s0, 0
	global_store_b64 v[10:11], v[0:1], off
.LBB142_433:
	s_and_b32 vcc_lo, exec_lo, s0
	s_cbranch_vccz .LBB142_442
; %bb.434:
	v_and_b32_e64 v0, 0xff, s7
	s_delay_alu instid0(VALU_DEP_1)
	v_cmp_gt_i16_e32 vcc_lo, 0x80, v0
	s_cbranch_vccnz .LBB142_436
; %bb.435:
	v_cmp_ne_u16_e64 s0, 0x80, v0
	s_mov_b32 s2, 0
	s_mov_b32 s1, 0
	s_branch .LBB142_437
.LBB142_436:
	s_mov_b32 s2, -1
	s_mov_b32 s0, 0
                                        ; implicit-def: $sgpr1
.LBB142_437:
	s_and_not1_b32 vcc_lo, exec_lo, s2
	s_cbranch_vccnz .LBB142_439
; %bb.438:
	v_cmp_ne_u16_e64 s0, 0, v0
	s_mov_b32 s1, 0
.LBB142_439:
	s_delay_alu instid0(SALU_CYCLE_1) | instskip(NEXT) | instid1(VALU_DEP_2)
	v_mov_b32_e32 v0, s1
	s_and_not1_b32 vcc_lo, exec_lo, s0
	s_cbranch_vccnz .LBB142_441
; %bb.440:
	v_mov_b32_e32 v0, v13
.LBB142_441:
	global_store_b32 v[10:11], v0, off
.LBB142_442:
	s_mov_b32 s0, 0
.LBB142_443:
	s_delay_alu instid0(SALU_CYCLE_1)
	s_and_not1_b32 vcc_lo, exec_lo, s0
	s_cbranch_vccnz .LBB142_452
; %bb.444:
	v_and_b32_e64 v0, 0xff, s7
	s_delay_alu instid0(VALU_DEP_1)
	v_cmp_gt_i16_e32 vcc_lo, 0x80, v0
	s_cbranch_vccnz .LBB142_446
; %bb.445:
	v_cmp_ne_u16_e64 s0, 0x80, v0
	s_mov_b32 s2, 0
	s_mov_b32 s1, 0
	s_branch .LBB142_447
.LBB142_446:
	s_mov_b32 s2, -1
	s_mov_b32 s0, 0
                                        ; implicit-def: $sgpr1
.LBB142_447:
	s_and_not1_b32 vcc_lo, exec_lo, s2
	s_cbranch_vccnz .LBB142_449
; %bb.448:
	v_cmp_ne_u16_e64 s0, 0, v0
	s_mov_b32 s1, 0
.LBB142_449:
	s_delay_alu instid0(SALU_CYCLE_1) | instskip(NEXT) | instid1(VALU_DEP_2)
	v_mov_b32_e32 v0, s1
	s_and_not1_b32 vcc_lo, exec_lo, s0
	s_cbranch_vccnz .LBB142_451
; %bb.450:
	v_mov_b32_e32 v0, v13
.LBB142_451:
	global_store_b16 v[10:11], v0, off
.LBB142_452:
	s_mov_b32 s0, 0
.LBB142_453:
	s_delay_alu instid0(SALU_CYCLE_1)
	s_and_not1_b32 vcc_lo, exec_lo, s0
	s_cbranch_vccnz .LBB142_472
; %bb.454:
	v_cmp_lt_i16_e32 vcc_lo, 0, v12
	s_mov_b32 s0, 0
	s_mov_b32 s1, -1
	s_cbranch_vccz .LBB142_463
; %bb.455:
	v_and_b32_e64 v0, 0xff, s7
	s_delay_alu instid0(VALU_DEP_1)
	v_cmp_gt_i16_e32 vcc_lo, 0x80, v0
	s_cbranch_vccnz .LBB142_457
; %bb.456:
	v_cmp_ne_u16_e64 s0, 0x80, v0
	s_mov_b32 s2, 0
	s_mov_b32 s1, 0
	s_branch .LBB142_458
.LBB142_457:
	s_mov_b32 s2, -1
                                        ; implicit-def: $sgpr1
.LBB142_458:
	s_delay_alu instid0(SALU_CYCLE_1)
	s_and_not1_b32 vcc_lo, exec_lo, s2
	s_cbranch_vccnz .LBB142_460
; %bb.459:
	v_cmp_ne_u16_e64 s0, 0, v0
	s_mov_b32 s1, 0
.LBB142_460:
	s_delay_alu instid0(SALU_CYCLE_1) | instskip(NEXT) | instid1(VALU_DEP_2)
	v_mov_b32_e32 v0, s1
	s_and_not1_b32 vcc_lo, exec_lo, s0
	s_cbranch_vccnz .LBB142_462
; %bb.461:
	v_mov_b32_e32 v0, v13
.LBB142_462:
	s_mov_b32 s1, 0
	global_store_b8 v[10:11], v0, off
.LBB142_463:
	s_and_b32 vcc_lo, exec_lo, s1
	s_cbranch_vccz .LBB142_472
; %bb.464:
	v_and_b32_e64 v0, 0xff, s7
	s_delay_alu instid0(VALU_DEP_1)
	v_cmp_gt_i16_e32 vcc_lo, 0x80, v0
	s_cbranch_vccnz .LBB142_466
; %bb.465:
	v_cmp_ne_u16_e64 s0, 0x80, v0
	s_mov_b32 s2, 0
	s_mov_b32 s1, 0
	s_branch .LBB142_467
.LBB142_466:
	s_mov_b32 s2, -1
	s_mov_b32 s0, 0
                                        ; implicit-def: $sgpr1
.LBB142_467:
	s_and_not1_b32 vcc_lo, exec_lo, s2
	s_cbranch_vccnz .LBB142_469
; %bb.468:
	v_cmp_ne_u16_e64 s0, 0, v0
	s_mov_b32 s1, 0
.LBB142_469:
	s_delay_alu instid0(SALU_CYCLE_1) | instskip(NEXT) | instid1(VALU_DEP_2)
	v_mov_b32_e32 v0, s1
	s_and_not1_b32 vcc_lo, exec_lo, s0
	s_cbranch_vccnz .LBB142_471
; %bb.470:
	v_mov_b32_e32 v0, v4
.LBB142_471:
	global_store_b8 v[10:11], v0, off
.LBB142_472:
	s_or_b32 exec_lo, exec_lo, s9
	s_delay_alu instid0(SALU_CYCLE_1)
	s_and_b32 s2, s10, exec_lo
                                        ; implicit-def: $vgpr12
                                        ; implicit-def: $vgpr17
.LBB142_473:
	s_or_saveexec_b32 s3, s3
	s_mov_b32 s0, 0
                                        ; implicit-def: $vgpr4_vgpr5
	s_xor_b32 exec_lo, exec_lo, s3
	s_cbranch_execz .LBB142_1718
; %bb.474:
	v_mul_lo_u32 v6, s6, v17
	v_cmp_gt_i16_e32 vcc_lo, 11, v12
	s_delay_alu instid0(VALU_DEP_2) | instskip(SKIP_1) | instid1(VALU_DEP_1)
	v_ashrrev_i32_e32 v0, 31, v6
	v_add_co_u32 v4, s0, s4, v6
	v_add_co_ci_u32_e64 v5, s0, s5, v0, s0
	s_cbranch_vccnz .LBB142_483
; %bb.475:
	v_cmp_lt_i16_e32 vcc_lo, 25, v12
	s_mov_b32 s8, -1
	s_mov_b32 s9, 0
	s_mov_b32 s1, 0
	;; [unrolled: 1-line block ×3, first 2 shown]
	s_cbranch_vccz .LBB142_677
; %bb.476:
	v_cmp_lt_i16_e32 vcc_lo, 28, v12
	s_cbranch_vccz .LBB142_652
; %bb.477:
	v_cmp_lt_i16_e32 vcc_lo, 43, v12
	;; [unrolled: 3-line block ×3, first 2 shown]
	s_cbranch_vccz .LBB142_625
; %bb.479:
	v_cmp_eq_u16_e32 vcc_lo, 46, v12
	s_mov_b32 s0, -1
	s_mov_b32 s8, 0
	s_cbranch_vccz .LBB142_625
; %bb.480:
	v_and_b32_e64 v0, 0xff, s7
	s_delay_alu instid0(VALU_DEP_1)
	v_cmp_gt_i16_e32 vcc_lo, 0x80, v0
	s_cbranch_vccnz .LBB142_492
; %bb.481:
	v_cmp_eq_u16_e32 vcc_lo, 0x80, v0
	s_cbranch_vccz .LBB142_618
; %bb.482:
	s_mov_b32 s0, 0x7f800001
	s_branch .LBB142_619
.LBB142_483:
	s_mov_b32 s1, 0
	s_mov_b32 s8, s2
	s_cbranch_execz .LBB142_777
; %bb.484:
	v_cmp_gt_i16_e32 vcc_lo, 5, v12
	s_mov_b32 s0, -1
	s_cbranch_vccnz .LBB142_566
; %bb.485:
	v_cmp_gt_i16_e32 vcc_lo, 8, v12
	s_cbranch_vccnz .LBB142_526
; %bb.486:
	v_cmp_gt_i16_e32 vcc_lo, 9, v12
	s_cbranch_vccnz .LBB142_513
; %bb.487:
	v_cmp_lt_i16_e32 vcc_lo, 9, v12
	s_cbranch_vccz .LBB142_500
; %bb.488:
	v_and_b32_e64 v0, 0xff, s7
	s_delay_alu instid0(VALU_DEP_1)
	v_cmp_gt_i16_e32 vcc_lo, 0x80, v0
	s_cbranch_vccnz .LBB142_491
; %bb.489:
	v_cmp_eq_u16_e32 vcc_lo, 0x80, v0
	s_cbranch_vccz .LBB142_493
; %bb.490:
	s_mov_b32 s9, 0
	s_mov_b32 s1, 0x7ff80000
	s_brev_b32 s0, 4
	s_branch .LBB142_494
.LBB142_491:
	s_mov_b32 s10, -1
	s_mov_b32 s9, 0
                                        ; implicit-def: $sgpr0_sgpr1
	s_branch .LBB142_495
.LBB142_492:
	s_mov_b32 s10, -1
                                        ; implicit-def: $sgpr0
	s_branch .LBB142_620
.LBB142_493:
	s_mov_b32 s9, -1
                                        ; implicit-def: $sgpr0_sgpr1
.LBB142_494:
	s_mov_b32 s10, 0
.LBB142_495:
	s_delay_alu instid0(SALU_CYCLE_1)
	s_and_b32 vcc_lo, exec_lo, s10
	s_cbranch_vccz .LBB142_497
; %bb.496:
	v_cmp_ne_u16_e64 s9, 0, v0
	s_mov_b64 s[0:1], 0
.LBB142_497:
	s_delay_alu instid0(SALU_CYCLE_1) | instskip(NEXT) | instid1(VALU_DEP_2)
	v_dual_mov_b32 v0, s0 :: v_dual_mov_b32 v1, s1
	s_and_not1_b32 vcc_lo, exec_lo, s9
	s_cbranch_vccnz .LBB142_499
; %bb.498:
	v_lshrrev_b16 v0, 3, s7
	s_and_b32 s0, s7, 7
	s_lshl_b32 s11, s7, 24
	s_clz_i32_u32 s1, s0
	s_delay_alu instid0(SALU_CYCLE_1) | instskip(SKIP_4) | instid1(VALU_DEP_1)
	s_min_u32 s1, s1, 32
	v_readfirstlane_b32 s9, v0
	s_sub_i32 s10, s1, 28
	s_sub_i32 s1, 29, s1
	s_lshl_b32 s10, s7, s10
	s_and_b32 s9, s9, 15
	s_and_b32 s10, s10, 7
	s_cmp_eq_u32 s9, 0
	s_cselect_b32 s1, s1, s9
	s_cselect_b32 s0, s10, s0
	s_lshl_b32 s1, s1, 23
	s_and_b32 s9, s11, 0x80000000
	s_add_i32 s1, s1, 0x3b800000
	s_lshl_b32 s0, s0, 20
	s_or_b32 s1, s9, s1
	s_delay_alu instid0(SALU_CYCLE_1) | instskip(NEXT) | instid1(SALU_CYCLE_1)
	s_or_b32 s0, s1, s0
	v_cvt_f64_f32_e32 v[0:1], s0
.LBB142_499:
	v_mov_b32_e32 v2, 0
	s_mov_b32 s0, 0
	s_delay_alu instid0(VALU_DEP_1)
	v_mov_b32_e32 v3, v2
	global_store_b128 v[4:5], v[0:3], off
.LBB142_500:
	s_and_b32 vcc_lo, exec_lo, s0
	s_cbranch_vccz .LBB142_512
; %bb.501:
	v_and_b32_e64 v1, 0xff, s7
	s_delay_alu instid0(VALU_DEP_1)
	v_cmp_gt_i16_e32 vcc_lo, 0x80, v1
	s_cbranch_vccnz .LBB142_504
; %bb.502:
	v_cmp_eq_u16_e32 vcc_lo, 0x80, v1
	s_cbranch_vccz .LBB142_505
; %bb.503:
	s_mov_b32 s0, 0
	s_mov_b32 s1, 0x7f800001
	s_branch .LBB142_506
.LBB142_504:
	s_mov_b32 s9, -1
	s_mov_b32 s0, 0
                                        ; implicit-def: $sgpr1
	s_branch .LBB142_507
.LBB142_505:
	s_mov_b32 s0, -1
                                        ; implicit-def: $sgpr1
.LBB142_506:
	s_mov_b32 s9, 0
.LBB142_507:
	v_mov_b32_e32 v0, s1
	s_and_b32 vcc_lo, exec_lo, s9
	s_cbranch_vccz .LBB142_509
; %bb.508:
	v_and_b32_e32 v0, 0xffff, v1
	v_cmp_ne_u16_e64 s0, 0, v1
.LBB142_509:
	s_delay_alu instid0(VALU_DEP_1)
	s_and_not1_b32 vcc_lo, exec_lo, s0
	s_cbranch_vccnz .LBB142_511
; %bb.510:
	v_lshrrev_b16 v0, 3, s7
	s_and_b32 s0, s7, 7
	s_lshl_b32 s11, s7, 24
	s_clz_i32_u32 s1, s0
	s_delay_alu instid0(SALU_CYCLE_1) | instskip(SKIP_4) | instid1(VALU_DEP_1)
	s_min_u32 s1, s1, 32
	v_readfirstlane_b32 s9, v0
	s_sub_i32 s10, s1, 28
	s_sub_i32 s1, 29, s1
	s_lshl_b32 s10, s7, s10
	s_and_b32 s9, s9, 15
	s_and_b32 s10, s10, 7
	s_cmp_eq_u32 s9, 0
	s_cselect_b32 s1, s1, s9
	s_cselect_b32 s0, s10, s0
	s_lshl_b32 s1, s1, 23
	s_and_b32 s9, s11, 0x80000000
	s_add_i32 s1, s1, 0x3b800000
	s_lshl_b32 s0, s0, 20
	s_or_b32 s1, s9, s1
	s_delay_alu instid0(SALU_CYCLE_1) | instskip(NEXT) | instid1(SALU_CYCLE_1)
	s_or_b32 s0, s1, s0
	v_mov_b32_e32 v0, s0
.LBB142_511:
	v_mov_b32_e32 v1, 0
	global_store_b64 v[4:5], v[0:1], off
.LBB142_512:
	s_mov_b32 s0, 0
.LBB142_513:
	s_delay_alu instid0(SALU_CYCLE_1)
	s_and_not1_b32 vcc_lo, exec_lo, s0
	s_cbranch_vccnz .LBB142_525
; %bb.514:
	v_and_b32_e64 v0, 0xff, s7
	s_delay_alu instid0(VALU_DEP_1)
	v_cmp_gt_i16_e32 vcc_lo, 0x80, v0
	s_cbranch_vccnz .LBB142_517
; %bb.515:
	v_cmp_eq_u16_e32 vcc_lo, 0x80, v0
	s_cbranch_vccz .LBB142_518
; %bb.516:
	s_mov_b32 s0, 0
	s_movk_i32 s1, 0x7e00
	s_branch .LBB142_519
.LBB142_517:
	s_mov_b32 s9, -1
	s_mov_b32 s0, 0
                                        ; implicit-def: $sgpr1
	s_branch .LBB142_520
.LBB142_518:
	s_mov_b32 s0, -1
                                        ; implicit-def: $sgpr1
.LBB142_519:
	s_mov_b32 s9, 0
.LBB142_520:
	v_mov_b32_e32 v1, s1
	s_and_b32 vcc_lo, exec_lo, s9
	s_cbranch_vccz .LBB142_522
; %bb.521:
	v_and_b32_e32 v1, 0xffff, v0
	v_cmp_ne_u16_e64 s0, 0, v0
.LBB142_522:
	s_delay_alu instid0(VALU_DEP_1)
	s_and_not1_b32 vcc_lo, exec_lo, s0
	s_cbranch_vccnz .LBB142_524
; %bb.523:
	v_lshrrev_b16 v0, 3, s7
	s_and_b32 s0, s7, 7
	s_lshl_b32 s11, s7, 24
	s_clz_i32_u32 s1, s0
	s_delay_alu instid0(SALU_CYCLE_1) | instskip(SKIP_4) | instid1(VALU_DEP_1)
	s_min_u32 s1, s1, 32
	v_readfirstlane_b32 s9, v0
	s_sub_i32 s10, s1, 28
	s_sub_i32 s1, 29, s1
	s_lshl_b32 s10, s7, s10
	s_and_b32 s9, s9, 15
	s_and_b32 s10, s10, 7
	s_cmp_eq_u32 s9, 0
	s_cselect_b32 s1, s1, s9
	s_cselect_b32 s0, s10, s0
	s_lshl_b32 s1, s1, 23
	s_and_b32 s9, s11, 0x80000000
	s_add_i32 s1, s1, 0x3b800000
	s_lshl_b32 s0, s0, 20
	s_or_b32 s1, s9, s1
	s_delay_alu instid0(SALU_CYCLE_1) | instskip(NEXT) | instid1(SALU_CYCLE_1)
	s_or_b32 s0, s1, s0
	v_cvt_f16_f32_e32 v0, s0
	s_delay_alu instid0(VALU_DEP_1)
	v_and_b32_e32 v1, 0xffff, v0
.LBB142_524:
	global_store_b32 v[4:5], v1, off
.LBB142_525:
	s_mov_b32 s0, 0
.LBB142_526:
	s_delay_alu instid0(SALU_CYCLE_1)
	s_and_not1_b32 vcc_lo, exec_lo, s0
	s_cbranch_vccnz .LBB142_565
; %bb.527:
	v_cmp_gt_i16_e32 vcc_lo, 6, v12
	s_mov_b32 s0, -1
	s_cbranch_vccnz .LBB142_553
; %bb.528:
	v_cmp_lt_i16_e32 vcc_lo, 6, v12
	s_cbranch_vccz .LBB142_540
; %bb.529:
	v_and_b32_e64 v0, 0xff, s7
	s_delay_alu instid0(VALU_DEP_1)
	v_cmp_gt_i16_e32 vcc_lo, 0x80, v0
	s_cbranch_vccnz .LBB142_532
; %bb.530:
	v_cmp_eq_u16_e32 vcc_lo, 0x80, v0
	s_cbranch_vccz .LBB142_533
; %bb.531:
	s_mov_b32 s9, 0
	s_mov_b32 s1, 0x7ff80000
	s_brev_b32 s0, 4
	s_branch .LBB142_534
.LBB142_532:
	s_mov_b32 s10, -1
	s_mov_b32 s9, 0
                                        ; implicit-def: $sgpr0_sgpr1
	s_branch .LBB142_535
.LBB142_533:
	s_mov_b32 s9, -1
                                        ; implicit-def: $sgpr0_sgpr1
.LBB142_534:
	s_mov_b32 s10, 0
.LBB142_535:
	s_delay_alu instid0(SALU_CYCLE_1)
	s_and_b32 vcc_lo, exec_lo, s10
	s_cbranch_vccz .LBB142_537
; %bb.536:
	v_cmp_ne_u16_e64 s9, 0, v0
	s_mov_b64 s[0:1], 0
.LBB142_537:
	s_delay_alu instid0(SALU_CYCLE_1) | instskip(NEXT) | instid1(VALU_DEP_2)
	v_dual_mov_b32 v0, s0 :: v_dual_mov_b32 v1, s1
	s_and_not1_b32 vcc_lo, exec_lo, s9
	s_cbranch_vccnz .LBB142_539
; %bb.538:
	v_lshrrev_b16 v0, 3, s7
	s_and_b32 s0, s7, 7
	s_lshl_b32 s11, s7, 24
	s_clz_i32_u32 s1, s0
	s_delay_alu instid0(SALU_CYCLE_1) | instskip(SKIP_4) | instid1(VALU_DEP_1)
	s_min_u32 s1, s1, 32
	v_readfirstlane_b32 s9, v0
	s_sub_i32 s10, s1, 28
	s_sub_i32 s1, 29, s1
	s_lshl_b32 s10, s7, s10
	s_and_b32 s9, s9, 15
	s_and_b32 s10, s10, 7
	s_cmp_eq_u32 s9, 0
	s_cselect_b32 s1, s1, s9
	s_cselect_b32 s0, s10, s0
	s_lshl_b32 s1, s1, 23
	s_and_b32 s9, s11, 0x80000000
	s_add_i32 s1, s1, 0x3b800000
	s_lshl_b32 s0, s0, 20
	s_or_b32 s1, s9, s1
	s_delay_alu instid0(SALU_CYCLE_1) | instskip(NEXT) | instid1(SALU_CYCLE_1)
	s_or_b32 s0, s1, s0
	v_cvt_f64_f32_e32 v[0:1], s0
.LBB142_539:
	s_mov_b32 s0, 0
	global_store_b64 v[4:5], v[0:1], off
.LBB142_540:
	s_and_b32 vcc_lo, exec_lo, s0
	s_cbranch_vccz .LBB142_552
; %bb.541:
	v_and_b32_e64 v0, 0xff, s7
	s_delay_alu instid0(VALU_DEP_1)
	v_cmp_gt_i16_e32 vcc_lo, 0x80, v0
	s_cbranch_vccnz .LBB142_544
; %bb.542:
	v_cmp_eq_u16_e32 vcc_lo, 0x80, v0
	s_cbranch_vccz .LBB142_545
; %bb.543:
	s_mov_b32 s0, 0
	s_mov_b32 s1, 0x7f800001
	s_branch .LBB142_546
.LBB142_544:
	s_mov_b32 s9, -1
	s_mov_b32 s0, 0
                                        ; implicit-def: $sgpr1
	s_branch .LBB142_547
.LBB142_545:
	s_mov_b32 s0, -1
                                        ; implicit-def: $sgpr1
.LBB142_546:
	s_mov_b32 s9, 0
.LBB142_547:
	v_mov_b32_e32 v1, s1
	s_and_b32 vcc_lo, exec_lo, s9
	s_cbranch_vccz .LBB142_549
; %bb.548:
	v_and_b32_e32 v1, 0xffff, v0
	v_cmp_ne_u16_e64 s0, 0, v0
.LBB142_549:
	s_delay_alu instid0(VALU_DEP_1)
	s_and_not1_b32 vcc_lo, exec_lo, s0
	s_cbranch_vccnz .LBB142_551
; %bb.550:
	v_lshrrev_b16 v0, 3, s7
	s_and_b32 s0, s7, 7
	s_lshl_b32 s11, s7, 24
	s_clz_i32_u32 s1, s0
	s_delay_alu instid0(SALU_CYCLE_1) | instskip(SKIP_4) | instid1(VALU_DEP_1)
	s_min_u32 s1, s1, 32
	v_readfirstlane_b32 s9, v0
	s_sub_i32 s10, s1, 28
	s_sub_i32 s1, 29, s1
	s_lshl_b32 s10, s7, s10
	s_and_b32 s9, s9, 15
	s_and_b32 s10, s10, 7
	s_cmp_eq_u32 s9, 0
	s_cselect_b32 s1, s1, s9
	s_cselect_b32 s0, s10, s0
	s_lshl_b32 s1, s1, 23
	s_and_b32 s9, s11, 0x80000000
	s_add_i32 s1, s1, 0x3b800000
	s_lshl_b32 s0, s0, 20
	s_or_b32 s1, s9, s1
	s_delay_alu instid0(SALU_CYCLE_1) | instskip(NEXT) | instid1(SALU_CYCLE_1)
	s_or_b32 s0, s1, s0
	v_mov_b32_e32 v1, s0
.LBB142_551:
	global_store_b32 v[4:5], v1, off
.LBB142_552:
	s_mov_b32 s0, 0
.LBB142_553:
	s_delay_alu instid0(SALU_CYCLE_1)
	s_and_not1_b32 vcc_lo, exec_lo, s0
	s_cbranch_vccnz .LBB142_565
; %bb.554:
	v_and_b32_e64 v0, 0xff, s7
	s_delay_alu instid0(VALU_DEP_1)
	v_cmp_gt_i16_e32 vcc_lo, 0x80, v0
	s_cbranch_vccnz .LBB142_557
; %bb.555:
	v_cmp_eq_u16_e32 vcc_lo, 0x80, v0
	s_cbranch_vccz .LBB142_558
; %bb.556:
	s_mov_b32 s0, 0
	s_movk_i32 s1, 0x7e00
	s_branch .LBB142_559
.LBB142_557:
	s_mov_b32 s9, -1
	s_mov_b32 s0, 0
                                        ; implicit-def: $sgpr1
	s_branch .LBB142_560
.LBB142_558:
	s_mov_b32 s0, -1
                                        ; implicit-def: $sgpr1
.LBB142_559:
	s_mov_b32 s9, 0
.LBB142_560:
	v_mov_b32_e32 v1, s1
	s_and_b32 vcc_lo, exec_lo, s9
	s_cbranch_vccz .LBB142_562
; %bb.561:
	v_cmp_ne_u16_e64 s0, 0, v0
	v_mov_b32_e32 v1, v0
.LBB142_562:
	s_delay_alu instid0(VALU_DEP_2)
	s_and_not1_b32 vcc_lo, exec_lo, s0
	s_cbranch_vccnz .LBB142_564
; %bb.563:
	v_lshrrev_b16 v0, 3, s7
	s_and_b32 s0, s7, 7
	s_lshl_b32 s11, s7, 24
	s_clz_i32_u32 s1, s0
	s_delay_alu instid0(SALU_CYCLE_1) | instskip(SKIP_4) | instid1(VALU_DEP_1)
	s_min_u32 s1, s1, 32
	v_readfirstlane_b32 s9, v0
	s_sub_i32 s10, s1, 28
	s_sub_i32 s1, 29, s1
	s_lshl_b32 s10, s7, s10
	s_and_b32 s9, s9, 15
	s_and_b32 s10, s10, 7
	s_cmp_eq_u32 s9, 0
	s_cselect_b32 s1, s1, s9
	s_cselect_b32 s0, s10, s0
	s_lshl_b32 s1, s1, 23
	s_and_b32 s9, s11, 0x80000000
	s_add_i32 s1, s1, 0x3b800000
	s_lshl_b32 s0, s0, 20
	s_or_b32 s1, s9, s1
	s_delay_alu instid0(SALU_CYCLE_1) | instskip(NEXT) | instid1(SALU_CYCLE_1)
	s_or_b32 s0, s1, s0
	v_cvt_f16_f32_e32 v1, s0
.LBB142_564:
	global_store_b16 v[4:5], v1, off
.LBB142_565:
	s_mov_b32 s0, 0
.LBB142_566:
	s_delay_alu instid0(SALU_CYCLE_1)
	s_and_not1_b32 vcc_lo, exec_lo, s0
	s_cbranch_vccnz .LBB142_617
; %bb.567:
	v_cmp_gt_i16_e32 vcc_lo, 2, v12
	s_mov_b32 s0, -1
	s_cbranch_vccnz .LBB142_598
; %bb.568:
	v_cmp_gt_i16_e32 vcc_lo, 3, v12
	s_cbranch_vccnz .LBB142_588
; %bb.569:
	v_cmp_lt_i16_e32 vcc_lo, 3, v12
	s_cbranch_vccz .LBB142_578
; %bb.570:
	v_and_b32_e64 v0, 0xff, s7
	s_delay_alu instid0(VALU_DEP_1)
	v_cmp_gt_i16_e32 vcc_lo, 0x80, v0
	s_cbranch_vccnz .LBB142_572
; %bb.571:
	v_cmp_ne_u16_e64 s9, 0x80, v0
	s_mov_b32 s10, 0
	s_mov_b64 s[0:1], 0
	s_branch .LBB142_573
.LBB142_572:
	s_mov_b32 s10, -1
	s_mov_b32 s9, 0
                                        ; implicit-def: $sgpr0_sgpr1
.LBB142_573:
	s_and_not1_b32 vcc_lo, exec_lo, s10
	s_cbranch_vccnz .LBB142_575
; %bb.574:
	v_cmp_ne_u16_e64 s9, 0, v0
	s_mov_b64 s[0:1], 0
.LBB142_575:
	s_delay_alu instid0(SALU_CYCLE_1) | instskip(NEXT) | instid1(VALU_DEP_2)
	v_dual_mov_b32 v0, s0 :: v_dual_mov_b32 v1, s1
	s_and_not1_b32 vcc_lo, exec_lo, s9
	s_cbranch_vccnz .LBB142_577
; %bb.576:
	v_lshrrev_b16 v0, 3, s7
	s_and_b32 s0, s7, 7
	s_lshl_b32 s10, s7, 24
	s_clz_i32_u32 s1, s0
	s_delay_alu instid0(SALU_CYCLE_1) | instskip(SKIP_4) | instid1(VALU_DEP_1)
	s_min_u32 s1, s1, 32
	v_readfirstlane_b32 s9, v0
	s_sub_i32 s11, s1, 28
	s_sub_i32 s1, 29, s1
	s_lshl_b32 s11, s7, s11
	s_and_b32 s9, s9, 15
	s_and_b32 s11, s11, 7
	s_cmp_eq_u32 s9, 0
	s_cselect_b32 s1, s1, s9
	s_cselect_b32 s0, s11, s0
	s_lshl_b32 s1, s1, 23
	s_and_b32 s9, s10, 0x80000000
	s_add_i32 s1, s1, 0x3b800000
	s_lshl_b32 s0, s0, 20
	s_or_b32 s1, s9, s1
	s_delay_alu instid0(SALU_CYCLE_1) | instskip(NEXT) | instid1(SALU_CYCLE_1)
	s_or_b32 s0, s1, s0
	v_trunc_f32_e32 v0, s0
	s_delay_alu instid0(VALU_DEP_1) | instskip(SKIP_1) | instid1(VALU_DEP_2)
	v_mul_f32_e64 v1, 0x2f800000, |v0|
	v_ashrrev_i32_e32 v3, 31, v0
	v_floor_f32_e32 v1, v1
	s_delay_alu instid0(VALU_DEP_1) | instskip(SKIP_1) | instid1(VALU_DEP_2)
	v_fma_f32 v2, 0xcf800000, v1, |v0|
	v_cvt_u32_f32_e32 v1, v1
	v_cvt_u32_f32_e32 v0, v2
	s_delay_alu instid0(VALU_DEP_2) | instskip(NEXT) | instid1(VALU_DEP_2)
	v_xor_b32_e32 v1, v1, v3
	v_xor_b32_e32 v0, v0, v3
	s_delay_alu instid0(VALU_DEP_1) | instskip(NEXT) | instid1(VALU_DEP_3)
	v_sub_co_u32 v0, vcc_lo, v0, v3
	v_sub_co_ci_u32_e32 v1, vcc_lo, v1, v3, vcc_lo
.LBB142_577:
	s_mov_b32 s0, 0
	global_store_b64 v[4:5], v[0:1], off
.LBB142_578:
	s_and_b32 vcc_lo, exec_lo, s0
	s_cbranch_vccz .LBB142_587
; %bb.579:
	v_and_b32_e64 v0, 0xff, s7
	s_delay_alu instid0(VALU_DEP_1)
	v_cmp_gt_i16_e32 vcc_lo, 0x80, v0
	s_cbranch_vccnz .LBB142_581
; %bb.580:
	v_cmp_ne_u16_e64 s0, 0x80, v0
	s_mov_b32 s9, 0
	s_mov_b32 s1, 0
	s_branch .LBB142_582
.LBB142_581:
	s_mov_b32 s9, -1
	s_mov_b32 s0, 0
                                        ; implicit-def: $sgpr1
.LBB142_582:
	s_and_not1_b32 vcc_lo, exec_lo, s9
	s_cbranch_vccnz .LBB142_584
; %bb.583:
	v_cmp_ne_u16_e64 s0, 0, v0
	s_mov_b32 s1, 0
.LBB142_584:
	s_delay_alu instid0(SALU_CYCLE_1) | instskip(NEXT) | instid1(VALU_DEP_2)
	v_mov_b32_e32 v0, s1
	s_and_not1_b32 vcc_lo, exec_lo, s0
	s_cbranch_vccnz .LBB142_586
; %bb.585:
	v_lshrrev_b16 v0, 3, s7
	s_and_b32 s0, s7, 7
	s_lshl_b32 s11, s7, 24
	s_clz_i32_u32 s1, s0
	s_delay_alu instid0(SALU_CYCLE_1) | instskip(SKIP_4) | instid1(VALU_DEP_1)
	s_min_u32 s1, s1, 32
	v_readfirstlane_b32 s9, v0
	s_sub_i32 s10, s1, 28
	s_sub_i32 s1, 29, s1
	s_lshl_b32 s10, s7, s10
	s_and_b32 s9, s9, 15
	s_and_b32 s10, s10, 7
	s_cmp_eq_u32 s9, 0
	s_cselect_b32 s1, s1, s9
	s_cselect_b32 s0, s10, s0
	s_lshl_b32 s1, s1, 23
	s_and_b32 s9, s11, 0x80000000
	s_add_i32 s1, s1, 0x3b800000
	s_lshl_b32 s0, s0, 20
	s_or_b32 s1, s9, s1
	s_delay_alu instid0(SALU_CYCLE_1) | instskip(NEXT) | instid1(SALU_CYCLE_1)
	s_or_b32 s0, s1, s0
	v_cvt_i32_f32_e32 v0, s0
.LBB142_586:
	global_store_b32 v[4:5], v0, off
.LBB142_587:
	s_mov_b32 s0, 0
.LBB142_588:
	s_delay_alu instid0(SALU_CYCLE_1)
	s_and_not1_b32 vcc_lo, exec_lo, s0
	s_cbranch_vccnz .LBB142_597
; %bb.589:
	v_and_b32_e64 v0, 0xff, s7
	s_delay_alu instid0(VALU_DEP_1)
	v_cmp_gt_i16_e32 vcc_lo, 0x80, v0
	s_cbranch_vccnz .LBB142_591
; %bb.590:
	v_cmp_ne_u16_e64 s0, 0x80, v0
	s_mov_b32 s9, 0
	s_mov_b32 s1, 0
	s_branch .LBB142_592
.LBB142_591:
	s_mov_b32 s9, -1
	s_mov_b32 s0, 0
                                        ; implicit-def: $sgpr1
.LBB142_592:
	s_and_not1_b32 vcc_lo, exec_lo, s9
	s_cbranch_vccnz .LBB142_594
; %bb.593:
	v_cmp_ne_u16_e64 s0, 0, v0
	s_mov_b32 s1, 0
.LBB142_594:
	s_delay_alu instid0(SALU_CYCLE_1) | instskip(NEXT) | instid1(VALU_DEP_2)
	v_mov_b32_e32 v0, s1
	s_and_not1_b32 vcc_lo, exec_lo, s0
	s_cbranch_vccnz .LBB142_596
; %bb.595:
	v_lshrrev_b16 v0, 3, s7
	s_and_b32 s0, s7, 7
	s_lshl_b32 s11, s7, 24
	s_clz_i32_u32 s1, s0
	s_delay_alu instid0(SALU_CYCLE_1) | instskip(SKIP_4) | instid1(VALU_DEP_1)
	s_min_u32 s1, s1, 32
	v_readfirstlane_b32 s9, v0
	s_sub_i32 s10, s1, 28
	s_sub_i32 s1, 29, s1
	s_lshl_b32 s10, s7, s10
	s_and_b32 s9, s9, 15
	s_and_b32 s10, s10, 7
	s_cmp_eq_u32 s9, 0
	s_cselect_b32 s1, s1, s9
	s_cselect_b32 s0, s10, s0
	s_lshl_b32 s1, s1, 23
	s_and_b32 s9, s11, 0x80000000
	s_add_i32 s1, s1, 0x3b800000
	s_lshl_b32 s0, s0, 20
	s_or_b32 s1, s9, s1
	s_delay_alu instid0(SALU_CYCLE_1) | instskip(NEXT) | instid1(SALU_CYCLE_1)
	s_or_b32 s0, s1, s0
	v_cvt_i32_f32_e32 v0, s0
.LBB142_596:
	global_store_b16 v[4:5], v0, off
.LBB142_597:
	s_mov_b32 s0, 0
.LBB142_598:
	s_delay_alu instid0(SALU_CYCLE_1)
	s_and_not1_b32 vcc_lo, exec_lo, s0
	s_cbranch_vccnz .LBB142_617
; %bb.599:
	v_cmp_lt_i16_e32 vcc_lo, 0, v12
	s_mov_b32 s0, 0
	s_mov_b32 s1, -1
	s_cbranch_vccz .LBB142_608
; %bb.600:
	v_and_b32_e64 v0, 0xff, s7
	s_delay_alu instid0(VALU_DEP_1)
	v_cmp_gt_i16_e32 vcc_lo, 0x80, v0
	s_cbranch_vccnz .LBB142_602
; %bb.601:
	v_cmp_ne_u16_e64 s0, 0x80, v0
	s_mov_b32 s9, 0
	s_mov_b32 s1, 0
	s_branch .LBB142_603
.LBB142_602:
	s_mov_b32 s9, -1
                                        ; implicit-def: $sgpr1
.LBB142_603:
	s_delay_alu instid0(SALU_CYCLE_1)
	s_and_not1_b32 vcc_lo, exec_lo, s9
	s_cbranch_vccnz .LBB142_605
; %bb.604:
	v_cmp_ne_u16_e64 s0, 0, v0
	s_mov_b32 s1, 0
.LBB142_605:
	s_delay_alu instid0(SALU_CYCLE_1) | instskip(NEXT) | instid1(VALU_DEP_2)
	v_mov_b32_e32 v0, s1
	s_and_not1_b32 vcc_lo, exec_lo, s0
	s_cbranch_vccnz .LBB142_607
; %bb.606:
	v_lshrrev_b16 v0, 3, s7
	s_and_b32 s0, s7, 7
	s_lshl_b32 s11, s7, 24
	s_clz_i32_u32 s1, s0
	s_delay_alu instid0(SALU_CYCLE_1) | instskip(SKIP_4) | instid1(VALU_DEP_1)
	s_min_u32 s1, s1, 32
	v_readfirstlane_b32 s9, v0
	s_sub_i32 s10, s1, 28
	s_sub_i32 s1, 29, s1
	s_lshl_b32 s10, s7, s10
	s_and_b32 s9, s9, 15
	s_and_b32 s10, s10, 7
	s_cmp_eq_u32 s9, 0
	s_cselect_b32 s1, s1, s9
	s_cselect_b32 s0, s10, s0
	s_lshl_b32 s1, s1, 23
	s_and_b32 s9, s11, 0x80000000
	s_add_i32 s1, s1, 0x3b800000
	s_lshl_b32 s0, s0, 20
	s_or_b32 s1, s9, s1
	s_delay_alu instid0(SALU_CYCLE_1) | instskip(NEXT) | instid1(SALU_CYCLE_1)
	s_or_b32 s0, s1, s0
	v_cvt_i32_f32_e32 v0, s0
.LBB142_607:
	s_mov_b32 s1, 0
	global_store_b8 v[4:5], v0, off
.LBB142_608:
	s_and_b32 vcc_lo, exec_lo, s1
	s_cbranch_vccz .LBB142_617
; %bb.609:
	v_and_b32_e64 v0, 0xff, s7
	s_delay_alu instid0(VALU_DEP_1)
	v_cmp_gt_i16_e32 vcc_lo, 0x80, v0
	s_cbranch_vccnz .LBB142_611
; %bb.610:
	v_cmp_ne_u16_e64 s0, 0x80, v0
	s_mov_b32 s9, 0
	s_mov_b32 s1, 0
	s_branch .LBB142_612
.LBB142_611:
	s_mov_b32 s9, -1
	s_mov_b32 s0, 0
                                        ; implicit-def: $sgpr1
.LBB142_612:
	s_and_not1_b32 vcc_lo, exec_lo, s9
	s_cbranch_vccnz .LBB142_614
; %bb.613:
	v_cmp_ne_u16_e64 s0, 0, v0
	s_mov_b32 s1, 0
.LBB142_614:
	s_delay_alu instid0(SALU_CYCLE_1) | instskip(NEXT) | instid1(VALU_DEP_2)
	v_mov_b32_e32 v0, s1
	s_and_not1_b32 vcc_lo, exec_lo, s0
	s_cbranch_vccnz .LBB142_616
; %bb.615:
	v_lshrrev_b16 v0, 3, s7
	s_and_b32 s0, s7, 7
	s_lshl_b32 s10, s7, 24
	s_clz_i32_u32 s1, s0
	s_delay_alu instid0(SALU_CYCLE_1) | instskip(SKIP_4) | instid1(VALU_DEP_1)
	s_min_u32 s1, s1, 32
	v_readfirstlane_b32 s9, v0
	s_sub_i32 s11, s1, 28
	s_sub_i32 s1, 29, s1
	s_lshl_b32 s11, s7, s11
	s_and_b32 s9, s9, 15
	s_and_b32 s11, s11, 7
	s_cmp_eq_u32 s9, 0
	s_cselect_b32 s1, s1, s9
	s_cselect_b32 s0, s11, s0
	s_lshl_b32 s1, s1, 23
	s_and_b32 s9, s10, 0x80000000
	s_add_i32 s1, s1, 0x3b800000
	s_lshl_b32 s0, s0, 20
	s_or_b32 s1, s9, s1
	s_delay_alu instid0(SALU_CYCLE_1) | instskip(NEXT) | instid1(SALU_CYCLE_1)
	s_or_b32 s0, s1, s0
	v_trunc_f32_e32 v0, s0
	s_delay_alu instid0(VALU_DEP_1) | instskip(NEXT) | instid1(VALU_DEP_1)
	v_mul_f32_e64 v1, 0x2f800000, |v0|
	v_floor_f32_e32 v1, v1
	s_delay_alu instid0(VALU_DEP_1) | instskip(SKIP_1) | instid1(VALU_DEP_2)
	v_fma_f32 v1, 0xcf800000, v1, |v0|
	v_ashrrev_i32_e32 v0, 31, v0
	v_cvt_u32_f32_e32 v1, v1
	s_delay_alu instid0(VALU_DEP_1) | instskip(NEXT) | instid1(VALU_DEP_1)
	v_xor_b32_e32 v1, v1, v0
	v_sub_nc_u32_e32 v0, v1, v0
.LBB142_616:
	global_store_b8 v[4:5], v0, off
.LBB142_617:
	s_branch .LBB142_778
.LBB142_618:
	s_mov_b32 s1, -1
                                        ; implicit-def: $sgpr0
.LBB142_619:
	s_mov_b32 s10, 0
.LBB142_620:
	s_delay_alu instid0(SALU_CYCLE_1)
	s_and_b32 vcc_lo, exec_lo, s10
	s_cbranch_vccz .LBB142_622
; %bb.621:
	v_cmp_ne_u16_e64 s1, 0, v0
	s_mov_b32 s0, 0
.LBB142_622:
	s_delay_alu instid0(VALU_DEP_1)
	s_and_not1_b32 vcc_lo, exec_lo, s1
	s_cbranch_vccnz .LBB142_624
; %bb.623:
	v_lshrrev_b16 v0, 3, s7
	s_and_b32 s0, s7, 7
	s_lshl_b32 s12, s7, 24
	s_clz_i32_u32 s1, s0
	s_delay_alu instid0(SALU_CYCLE_1) | instskip(SKIP_4) | instid1(VALU_DEP_1)
	s_min_u32 s1, s1, 32
	v_readfirstlane_b32 s10, v0
	s_sub_i32 s11, s1, 28
	s_sub_i32 s1, 29, s1
	s_lshl_b32 s11, s7, s11
	s_and_b32 s10, s10, 15
	s_and_b32 s11, s11, 7
	s_cmp_eq_u32 s10, 0
	s_cselect_b32 s1, s1, s10
	s_cselect_b32 s0, s11, s0
	s_lshl_b32 s1, s1, 23
	s_and_b32 s10, s12, 0x80000000
	s_add_i32 s1, s1, 0x3b800000
	s_lshl_b32 s0, s0, 20
	s_or_b32 s1, s10, s1
	s_delay_alu instid0(SALU_CYCLE_1)
	s_or_b32 s0, s1, s0
.LBB142_624:
	s_delay_alu instid0(SALU_CYCLE_1) | instskip(NEXT) | instid1(SALU_CYCLE_1)
	s_bfe_u32 s1, s0, 0x10010
	s_add_i32 s1, s0, s1
	v_cmp_o_f32_e64 s0, s0, s0
	s_addk_i32 s1, 0x7fff
	s_delay_alu instid0(SALU_CYCLE_1) | instskip(NEXT) | instid1(VALU_DEP_1)
	s_lshr_b32 s1, s1, 16
	s_and_b32 s0, s0, exec_lo
	s_cselect_b32 s0, s1, 0x7fc0
	s_mov_b32 s1, -1
	v_mov_b32_e32 v0, s0
	s_mov_b32 s0, 0
	global_store_b32 v[4:5], v0, off
.LBB142_625:
	s_and_b32 vcc_lo, exec_lo, s8
	s_cbranch_vccz .LBB142_638
; %bb.626:
	v_cmp_eq_u16_e32 vcc_lo, 44, v12
	s_mov_b32 s0, -1
	s_cbranch_vccz .LBB142_638
; %bb.627:
	v_and_b32_e64 v0, 0xff, s7
	s_delay_alu instid0(VALU_DEP_1)
	v_cmp_gt_i16_e32 vcc_lo, 0x80, v0
	v_readfirstlane_b32 s1, v0
	s_cbranch_vccnz .LBB142_630
; %bb.628:
	s_delay_alu instid0(VALU_DEP_1) | instskip(NEXT) | instid1(VALU_DEP_1)
	v_cmp_eq_u16_e64 s0, 0x80, s1
	s_and_b32 vcc_lo, exec_lo, s0
	s_cbranch_vccz .LBB142_631
; %bb.629:
	s_mov_b32 s8, 0
	s_mov_b32 s0, 0x7f800001
	s_branch .LBB142_632
.LBB142_630:
	s_mov_b32 s10, -1
	s_mov_b32 s8, 0
                                        ; implicit-def: $sgpr0
	s_branch .LBB142_633
.LBB142_631:
	s_mov_b32 s8, -1
                                        ; implicit-def: $sgpr0
.LBB142_632:
	s_mov_b32 s10, 0
.LBB142_633:
	s_delay_alu instid0(SALU_CYCLE_1)
	s_and_b32 vcc_lo, exec_lo, s10
	s_cbranch_vccz .LBB142_643
; %bb.634:
	v_cmp_ne_u16_e64 s8, s1, 0
	s_and_b32 s0, 0xffff, s1
	s_delay_alu instid0(VALU_DEP_1)
	s_and_not1_b32 vcc_lo, exec_lo, s8
	s_cbranch_vccz .LBB142_644
.LBB142_635:
	v_mov_b32_e32 v0, 0xff
	s_bfe_u32 s1, s0, 0x80017
	s_delay_alu instid0(SALU_CYCLE_1)
	s_cmpk_eq_i32 s1, 0xff
	s_cbranch_scc1 .LBB142_637
.LBB142_636:
	s_lshr_b32 s8, s0, 23
	s_bitcmp1_b32 s0, 22
	s_cselect_b32 s10, -1, 0
	s_and_b32 s0, s0, 0x3fffff
	s_delay_alu instid0(SALU_CYCLE_1) | instskip(NEXT) | instid1(SALU_CYCLE_1)
	s_or_b32 s0, s1, s0
	s_cmp_lg_u32 s0, 0
	s_cselect_b32 s0, -1, 0
	s_delay_alu instid0(SALU_CYCLE_1) | instskip(NEXT) | instid1(SALU_CYCLE_1)
	s_and_b32 s0, s10, s0
	v_cndmask_b32_e64 v0, 0, 1, s0
	s_delay_alu instid0(VALU_DEP_1)
	v_add_nc_u32_e32 v0, s8, v0
.LBB142_637:
	s_mov_b32 s0, 0
	s_mov_b32 s1, -1
	global_store_b8 v[4:5], v0, off
.LBB142_638:
	s_mov_b32 s8, 0
.LBB142_639:
	s_delay_alu instid0(SALU_CYCLE_1)
	s_and_b32 vcc_lo, exec_lo, s8
	s_cbranch_vccz .LBB142_651
; %bb.640:
	v_cmp_eq_u16_e32 vcc_lo, 29, v12
	s_mov_b32 s0, -1
	s_cbranch_vccz .LBB142_651
; %bb.641:
	v_and_b32_e64 v0, 0xff, s7
	s_delay_alu instid0(VALU_DEP_1)
	v_cmp_gt_i16_e32 vcc_lo, 0x80, v0
	s_cbranch_vccnz .LBB142_645
; %bb.642:
	v_cmp_ne_u16_e64 s8, 0x80, v0
	s_mov_b32 s10, 0
	s_mov_b64 s[0:1], 0
	s_branch .LBB142_646
.LBB142_643:
	s_and_not1_b32 vcc_lo, exec_lo, s8
	s_cbranch_vccnz .LBB142_635
.LBB142_644:
	v_lshrrev_b16 v0, 3, s7
	s_and_b32 s0, s7, 7
	s_delay_alu instid0(SALU_CYCLE_1) | instskip(NEXT) | instid1(SALU_CYCLE_1)
	s_clz_i32_u32 s1, s0
	s_min_u32 s1, s1, 32
	s_delay_alu instid0(VALU_DEP_1) | instskip(SKIP_3) | instid1(VALU_DEP_1)
	v_readfirstlane_b32 s8, v0
	s_sub_i32 s10, s1, 28
	s_sub_i32 s1, 29, s1
	s_lshl_b32 s10, s7, s10
	s_and_b32 s8, s8, 15
	s_and_b32 s10, s10, 7
	s_cmp_eq_u32 s8, 0
	s_cselect_b32 s0, s10, s0
	s_cselect_b32 s1, s1, s8
	s_lshl_b32 s0, s0, 20
	s_lshl_b32 s1, s1, 23
	s_delay_alu instid0(SALU_CYCLE_1) | instskip(NEXT) | instid1(SALU_CYCLE_1)
	s_or_b32 s0, s1, s0
	s_add_i32 s0, s0, 0x3b800000
	v_mov_b32_e32 v0, 0xff
	s_bfe_u32 s1, s0, 0x80017
	s_delay_alu instid0(SALU_CYCLE_1)
	s_cmpk_eq_i32 s1, 0xff
	s_cbranch_scc0 .LBB142_636
	s_branch .LBB142_637
.LBB142_645:
	s_mov_b32 s10, -1
	s_mov_b32 s8, 0
                                        ; implicit-def: $sgpr0_sgpr1
.LBB142_646:
	s_and_not1_b32 vcc_lo, exec_lo, s10
	s_cbranch_vccnz .LBB142_648
; %bb.647:
	v_cmp_ne_u16_e64 s8, 0, v0
	s_mov_b64 s[0:1], 0
.LBB142_648:
	s_delay_alu instid0(SALU_CYCLE_1) | instskip(NEXT) | instid1(VALU_DEP_2)
	v_dual_mov_b32 v0, s0 :: v_dual_mov_b32 v1, s1
	s_and_not1_b32 vcc_lo, exec_lo, s8
	s_cbranch_vccnz .LBB142_650
; %bb.649:
	v_lshrrev_b16 v0, 3, s7
	s_and_b32 s0, s7, 7
	s_lshl_b32 s10, s7, 24
	s_clz_i32_u32 s1, s0
	s_delay_alu instid0(SALU_CYCLE_1) | instskip(SKIP_4) | instid1(VALU_DEP_1)
	s_min_u32 s1, s1, 32
	v_readfirstlane_b32 s8, v0
	s_sub_i32 s11, s1, 28
	s_sub_i32 s1, 29, s1
	s_lshl_b32 s11, s7, s11
	s_and_b32 s8, s8, 15
	s_and_b32 s11, s11, 7
	s_cmp_eq_u32 s8, 0
	s_cselect_b32 s1, s1, s8
	s_cselect_b32 s0, s11, s0
	s_lshl_b32 s1, s1, 23
	s_and_b32 s8, s10, 0x80000000
	s_add_i32 s1, s1, 0x3b800000
	s_lshl_b32 s0, s0, 20
	s_or_b32 s1, s8, s1
	s_delay_alu instid0(SALU_CYCLE_1) | instskip(NEXT) | instid1(SALU_CYCLE_1)
	s_or_b32 s0, s1, s0
	v_trunc_f32_e32 v0, s0
	s_delay_alu instid0(VALU_DEP_1) | instskip(NEXT) | instid1(VALU_DEP_1)
	v_mul_f32_e32 v1, 0x2f800000, v0
	v_floor_f32_e32 v1, v1
	s_delay_alu instid0(VALU_DEP_1) | instskip(SKIP_1) | instid1(VALU_DEP_2)
	v_fmamk_f32 v0, v1, 0xcf800000, v0
	v_cvt_u32_f32_e32 v1, v1
	v_cvt_u32_f32_e32 v0, v0
.LBB142_650:
	s_mov_b32 s0, 0
	s_mov_b32 s1, -1
	global_store_b64 v[4:5], v[0:1], off
.LBB142_651:
	s_mov_b32 s8, 0
.LBB142_652:
	s_delay_alu instid0(SALU_CYCLE_1)
	s_and_b32 vcc_lo, exec_lo, s8
	s_cbranch_vccz .LBB142_676
; %bb.653:
	v_cmp_gt_i16_e32 vcc_lo, 27, v12
	s_mov_b32 s1, -1
	s_cbranch_vccnz .LBB142_673
; %bb.654:
	v_cmp_lt_i16_e32 vcc_lo, 27, v12
	s_cbranch_vccz .LBB142_663
; %bb.655:
	v_and_b32_e64 v0, 0xff, s7
	s_delay_alu instid0(VALU_DEP_1)
	v_cmp_gt_i16_e32 vcc_lo, 0x80, v0
	s_cbranch_vccnz .LBB142_657
; %bb.656:
	v_cmp_ne_u16_e64 s1, 0x80, v0
	s_mov_b32 s10, 0
	s_mov_b32 s8, 0
	s_branch .LBB142_658
.LBB142_657:
	s_mov_b32 s10, -1
	s_mov_b32 s1, 0
                                        ; implicit-def: $sgpr8
.LBB142_658:
	s_and_not1_b32 vcc_lo, exec_lo, s10
	s_cbranch_vccnz .LBB142_660
; %bb.659:
	v_cmp_ne_u16_e64 s1, 0, v0
	s_mov_b32 s8, 0
.LBB142_660:
	s_delay_alu instid0(SALU_CYCLE_1) | instskip(NEXT) | instid1(VALU_DEP_2)
	v_mov_b32_e32 v0, s8
	s_and_not1_b32 vcc_lo, exec_lo, s1
	s_cbranch_vccnz .LBB142_662
; %bb.661:
	v_lshrrev_b16 v0, 3, s7
	s_and_b32 s1, s7, 7
	s_lshl_b32 s12, s7, 24
	s_clz_i32_u32 s8, s1
	s_delay_alu instid0(SALU_CYCLE_1) | instskip(SKIP_4) | instid1(VALU_DEP_1)
	s_min_u32 s8, s8, 32
	v_readfirstlane_b32 s10, v0
	s_sub_i32 s11, s8, 28
	s_sub_i32 s8, 29, s8
	s_lshl_b32 s11, s7, s11
	s_and_b32 s10, s10, 15
	s_and_b32 s11, s11, 7
	s_cmp_eq_u32 s10, 0
	s_cselect_b32 s8, s8, s10
	s_cselect_b32 s1, s11, s1
	s_lshl_b32 s8, s8, 23
	s_and_b32 s10, s12, 0x80000000
	s_add_i32 s8, s8, 0x3b800000
	s_lshl_b32 s1, s1, 20
	s_or_b32 s8, s10, s8
	s_delay_alu instid0(SALU_CYCLE_1) | instskip(NEXT) | instid1(SALU_CYCLE_1)
	s_or_b32 s1, s8, s1
	v_cvt_u32_f32_e32 v0, s1
.LBB142_662:
	s_mov_b32 s1, 0
	global_store_b32 v[4:5], v0, off
.LBB142_663:
	s_and_b32 vcc_lo, exec_lo, s1
	s_cbranch_vccz .LBB142_672
; %bb.664:
	v_and_b32_e64 v0, 0xff, s7
	s_delay_alu instid0(VALU_DEP_1)
	v_cmp_gt_i16_e32 vcc_lo, 0x80, v0
	s_cbranch_vccnz .LBB142_666
; %bb.665:
	v_cmp_ne_u16_e64 s1, 0x80, v0
	s_mov_b32 s10, 0
	s_mov_b32 s8, 0
	s_branch .LBB142_667
.LBB142_666:
	s_mov_b32 s10, -1
	s_mov_b32 s1, 0
                                        ; implicit-def: $sgpr8
.LBB142_667:
	s_and_not1_b32 vcc_lo, exec_lo, s10
	s_cbranch_vccnz .LBB142_669
; %bb.668:
	v_cmp_ne_u16_e64 s1, 0, v0
	s_mov_b32 s8, 0
.LBB142_669:
	s_delay_alu instid0(SALU_CYCLE_1) | instskip(NEXT) | instid1(VALU_DEP_2)
	v_mov_b32_e32 v0, s8
	s_and_not1_b32 vcc_lo, exec_lo, s1
	s_cbranch_vccnz .LBB142_671
; %bb.670:
	v_lshrrev_b16 v0, 3, s7
	s_and_b32 s1, s7, 7
	s_lshl_b32 s12, s7, 24
	s_clz_i32_u32 s8, s1
	s_delay_alu instid0(SALU_CYCLE_1) | instskip(SKIP_4) | instid1(VALU_DEP_1)
	s_min_u32 s8, s8, 32
	v_readfirstlane_b32 s10, v0
	s_sub_i32 s11, s8, 28
	s_sub_i32 s8, 29, s8
	s_lshl_b32 s11, s7, s11
	s_and_b32 s10, s10, 15
	s_and_b32 s11, s11, 7
	s_cmp_eq_u32 s10, 0
	s_cselect_b32 s8, s8, s10
	s_cselect_b32 s1, s11, s1
	s_lshl_b32 s8, s8, 23
	s_and_b32 s10, s12, 0x80000000
	s_add_i32 s8, s8, 0x3b800000
	s_lshl_b32 s1, s1, 20
	s_or_b32 s8, s10, s8
	s_delay_alu instid0(SALU_CYCLE_1) | instskip(NEXT) | instid1(SALU_CYCLE_1)
	s_or_b32 s1, s8, s1
	v_cvt_u32_f32_e32 v0, s1
.LBB142_671:
	global_store_b16 v[4:5], v0, off
.LBB142_672:
	s_mov_b32 s1, 0
.LBB142_673:
	s_delay_alu instid0(SALU_CYCLE_1)
	s_and_not1_b32 vcc_lo, exec_lo, s1
	s_cbranch_vccnz .LBB142_675
; %bb.674:
	v_mov_b32_e32 v0, s7
	global_store_b8 v[4:5], v0, off
.LBB142_675:
	s_mov_b32 s1, -1
.LBB142_676:
	s_mov_b32 s8, 0
.LBB142_677:
	s_delay_alu instid0(SALU_CYCLE_1)
	s_and_b32 vcc_lo, exec_lo, s8
	s_cbranch_vccz .LBB142_762
; %bb.678:
	v_cmp_lt_i16_e32 vcc_lo, 22, v12
	s_mov_b32 s8, -1
	s_cbranch_vccz .LBB142_745
; %bb.679:
	v_cmp_gt_i16_e32 vcc_lo, 24, v12
	s_mov_b32 s1, -1
	s_cbranch_vccnz .LBB142_722
; %bb.680:
	v_cmp_lt_i16_e32 vcc_lo, 24, v12
	s_cbranch_vccz .LBB142_699
; %bb.681:
	v_and_b32_e64 v0, 0xff, s7
	s_delay_alu instid0(VALU_DEP_1)
	v_cmp_gt_i16_e32 vcc_lo, 0x80, v0
	s_cbranch_vccnz .LBB142_684
; %bb.682:
	v_cmp_eq_u16_e32 vcc_lo, 0x80, v0
	s_cbranch_vccz .LBB142_685
; %bb.683:
	s_mov_b32 s8, 0
	s_mov_b32 s1, 0x7f800001
	s_branch .LBB142_686
.LBB142_684:
	s_mov_b32 s9, -1
	s_mov_b32 s8, 0
.LBB142_685:
                                        ; implicit-def: $sgpr1
.LBB142_686:
	s_and_b32 vcc_lo, exec_lo, s9
	s_cbranch_vccz .LBB142_689
; %bb.687:
	v_cmp_ne_u16_e64 s8, 0, v0
	s_mov_b32 s1, 0
	s_delay_alu instid0(VALU_DEP_1)
	s_and_not1_b32 vcc_lo, exec_lo, s8
	s_cbranch_vccz .LBB142_690
.LBB142_688:
	v_mov_b32_e32 v1, 0x80
	s_and_b32 s8, s1, 0x7fffffff
	s_delay_alu instid0(SALU_CYCLE_1)
	s_cmp_gt_u32 s8, 0x477fffff
	s_cbranch_scc0 .LBB142_691
	s_branch .LBB142_698
.LBB142_689:
	s_and_not1_b32 vcc_lo, exec_lo, s8
	s_cbranch_vccnz .LBB142_688
.LBB142_690:
	v_lshrrev_b16 v0, 3, s7
	s_and_b32 s1, s7, 7
	s_lshl_b32 s11, s7, 24
	s_clz_i32_u32 s8, s1
	s_delay_alu instid0(SALU_CYCLE_1) | instskip(SKIP_4) | instid1(VALU_DEP_1)
	s_min_u32 s8, s8, 32
	v_readfirstlane_b32 s9, v0
	s_sub_i32 s10, s8, 28
	s_sub_i32 s8, 29, s8
	s_lshl_b32 s10, s7, s10
	s_and_b32 s9, s9, 15
	s_and_b32 s10, s10, 7
	s_cmp_eq_u32 s9, 0
	s_cselect_b32 s8, s8, s9
	s_cselect_b32 s1, s10, s1
	s_lshl_b32 s8, s8, 23
	s_and_b32 s9, s11, 0x80000000
	s_add_i32 s8, s8, 0x3b800000
	s_lshl_b32 s1, s1, 20
	s_or_b32 s8, s9, s8
	s_delay_alu instid0(SALU_CYCLE_1) | instskip(SKIP_2) | instid1(SALU_CYCLE_1)
	s_or_b32 s1, s8, s1
	v_mov_b32_e32 v1, 0x80
	s_and_b32 s8, s1, 0x7fffffff
	s_cmp_gt_u32 s8, 0x477fffff
	s_cbranch_scc1 .LBB142_698
.LBB142_691:
	s_cmp_gt_u32 s8, 0x37ffffff
	s_cbranch_scc0 .LBB142_693
; %bb.692:
	s_bfe_u32 s8, s1, 0x10015
	s_mov_b32 s9, 0
	s_add_i32 s8, s1, s8
	s_delay_alu instid0(SALU_CYCLE_1) | instskip(NEXT) | instid1(SALU_CYCLE_1)
	s_add_i32 s8, s8, 0x88fffff
	s_lshr_b32 s10, s8, 21
	s_mov_b32 s8, -1
	s_branch .LBB142_694
.LBB142_693:
	s_mov_b32 s9, -1
	s_mov_b32 s8, 0
                                        ; implicit-def: $sgpr10
.LBB142_694:
	v_mov_b32_e32 v0, s10
	s_and_not1_b32 vcc_lo, exec_lo, s9
                                        ; implicit-def: $sgpr9
	s_cbranch_vccnz .LBB142_696
; %bb.695:
	v_add_f32_e64 v0, 0x42800000, |s1|
	s_mov_b32 s9, 0
	s_delay_alu instid0(VALU_DEP_1) | instskip(NEXT) | instid1(VALU_DEP_1)
	v_and_b32_e32 v0, 0xff, v0
	v_cmp_ne_u32_e64 s8, 0, v0
.LBB142_696:
	v_mov_b32_e32 v1, s9
	s_delay_alu instid0(VALU_DEP_2)
	s_and_not1_b32 vcc_lo, exec_lo, s8
	s_cbranch_vccnz .LBB142_698
; %bb.697:
	s_lshr_b32 s1, s1, 24
	s_delay_alu instid0(SALU_CYCLE_1) | instskip(NEXT) | instid1(SALU_CYCLE_1)
	s_and_b32 s1, s1, 0x80
	v_or_b32_e32 v1, s1, v0
.LBB142_698:
	s_mov_b32 s1, 0
	global_store_b8 v[4:5], v1, off
.LBB142_699:
	s_and_b32 vcc_lo, exec_lo, s1
	s_cbranch_vccz .LBB142_721
; %bb.700:
	v_and_b32_e64 v0, 0xff, s7
	s_delay_alu instid0(VALU_DEP_1)
	v_cmp_gt_i16_e32 vcc_lo, 0x80, v0
	s_cbranch_vccnz .LBB142_703
; %bb.701:
	v_cmp_eq_u16_e32 vcc_lo, 0x80, v0
	s_cbranch_vccz .LBB142_704
; %bb.702:
	s_mov_b32 s8, 0
	s_mov_b32 s1, 0x7f800001
	s_branch .LBB142_705
.LBB142_703:
	s_mov_b32 s9, -1
	s_mov_b32 s8, 0
                                        ; implicit-def: $sgpr1
	s_branch .LBB142_706
.LBB142_704:
	s_mov_b32 s8, -1
                                        ; implicit-def: $sgpr1
.LBB142_705:
	s_mov_b32 s9, 0
.LBB142_706:
	s_delay_alu instid0(SALU_CYCLE_1)
	s_and_b32 vcc_lo, exec_lo, s9
	s_cbranch_vccz .LBB142_711
; %bb.707:
	v_cmp_ne_u16_e64 s8, 0, v0
	s_mov_b32 s1, 0
	s_delay_alu instid0(VALU_DEP_1)
	s_and_not1_b32 vcc_lo, exec_lo, s8
	s_cbranch_vccz .LBB142_712
.LBB142_708:
	s_and_b32 s8, s1, 0x7fffffff
	s_delay_alu instid0(SALU_CYCLE_1)
	s_cmp_lt_u32 s8, 0x43f00000
	s_cbranch_scc0 .LBB142_713
.LBB142_709:
	s_cmp_gt_u32 s8, 0x3c7fffff
	s_cbranch_scc0 .LBB142_714
; %bb.710:
	s_bfe_u32 s9, s1, 0x10014
	s_delay_alu instid0(SALU_CYCLE_1) | instskip(NEXT) | instid1(SALU_CYCLE_1)
	s_add_i32 s9, s1, s9
	s_add_i32 s9, s9, 0x407ffff
	s_delay_alu instid0(SALU_CYCLE_1)
	s_and_b32 s10, s9, 0xff00000
	s_lshr_b32 s9, s9, 20
	s_cmp_lg_u32 s10, 0x7f00000
	s_cselect_b32 s10, s9, 0x7e
	s_mov_b32 s9, 0
	s_branch .LBB142_715
.LBB142_711:
	s_and_not1_b32 vcc_lo, exec_lo, s8
	s_cbranch_vccnz .LBB142_708
.LBB142_712:
	v_lshrrev_b16 v0, 3, s7
	s_and_b32 s1, s7, 7
	s_lshl_b32 s11, s7, 24
	s_clz_i32_u32 s8, s1
	s_delay_alu instid0(SALU_CYCLE_1) | instskip(SKIP_4) | instid1(VALU_DEP_1)
	s_min_u32 s8, s8, 32
	v_readfirstlane_b32 s9, v0
	s_sub_i32 s10, s8, 28
	s_sub_i32 s8, 29, s8
	s_lshl_b32 s10, s7, s10
	s_and_b32 s9, s9, 15
	s_and_b32 s10, s10, 7
	s_cmp_eq_u32 s9, 0
	s_cselect_b32 s8, s8, s9
	s_cselect_b32 s1, s10, s1
	s_lshl_b32 s8, s8, 23
	s_and_b32 s9, s11, 0x80000000
	s_add_i32 s8, s8, 0x3b800000
	s_lshl_b32 s1, s1, 20
	s_or_b32 s8, s9, s8
	s_delay_alu instid0(SALU_CYCLE_1) | instskip(NEXT) | instid1(SALU_CYCLE_1)
	s_or_b32 s1, s8, s1
	s_and_b32 s8, s1, 0x7fffffff
	s_delay_alu instid0(SALU_CYCLE_1)
	s_cmp_lt_u32 s8, 0x43f00000
	s_cbranch_scc1 .LBB142_709
.LBB142_713:
	s_mov_b32 s9, -1
                                        ; implicit-def: $vgpr0
	s_branch .LBB142_718
.LBB142_714:
	s_mov_b32 s9, -1
                                        ; implicit-def: $sgpr10
.LBB142_715:
	v_mov_b32_e32 v0, s10
	s_and_not1_b32 vcc_lo, exec_lo, s9
	s_cbranch_vccnz .LBB142_717
; %bb.716:
	v_add_f32_e64 v0, 0x46800000, |s1|
.LBB142_717:
	s_mov_b32 s9, 0
.LBB142_718:
	s_delay_alu instid0(SALU_CYCLE_1)
	s_and_not1_b32 vcc_lo, exec_lo, s9
	s_cbranch_vccnz .LBB142_720
; %bb.719:
	s_cmp_gt_u32 s8, 0x7f800000
	s_movk_i32 s8, 0x7f
	s_delay_alu instid0(SALU_CYCLE_1) | instskip(NEXT) | instid1(SALU_CYCLE_1)
	s_cselect_b32 s8, s8, 0x7e
	v_mov_b32_e32 v0, s8
.LBB142_720:
	s_lshr_b32 s1, s1, 24
	s_delay_alu instid0(SALU_CYCLE_1)
	s_and_b32 s1, s1, 0x80
	s_delay_alu instid0(VALU_DEP_1) | instid1(SALU_CYCLE_1)
	v_or_b32_e32 v0, s1, v0
	global_store_b8 v[4:5], v0, off
.LBB142_721:
	s_mov_b32 s1, 0
.LBB142_722:
	s_delay_alu instid0(SALU_CYCLE_1)
	s_and_not1_b32 vcc_lo, exec_lo, s1
	s_cbranch_vccnz .LBB142_744
; %bb.723:
	v_and_b32_e64 v0, 0xff, s7
	s_delay_alu instid0(VALU_DEP_1)
	v_cmp_gt_i16_e32 vcc_lo, 0x80, v0
	s_cbranch_vccnz .LBB142_726
; %bb.724:
	v_cmp_eq_u16_e32 vcc_lo, 0x80, v0
	s_cbranch_vccz .LBB142_727
; %bb.725:
	s_mov_b32 s8, 0
	s_mov_b32 s1, 0x7f800001
	s_branch .LBB142_728
.LBB142_726:
	s_mov_b32 s9, -1
	s_mov_b32 s8, 0
                                        ; implicit-def: $sgpr1
	s_branch .LBB142_729
.LBB142_727:
	s_mov_b32 s8, -1
                                        ; implicit-def: $sgpr1
.LBB142_728:
	s_mov_b32 s9, 0
.LBB142_729:
	s_delay_alu instid0(SALU_CYCLE_1)
	s_and_b32 vcc_lo, exec_lo, s9
	s_cbranch_vccz .LBB142_734
; %bb.730:
	v_cmp_ne_u16_e64 s8, 0, v0
	s_mov_b32 s1, 0
	s_delay_alu instid0(VALU_DEP_1)
	s_and_not1_b32 vcc_lo, exec_lo, s8
	s_cbranch_vccz .LBB142_735
.LBB142_731:
	s_and_b32 s8, s1, 0x7fffffff
	s_delay_alu instid0(SALU_CYCLE_1)
	s_cmp_lt_u32 s8, 0x47800000
	s_cbranch_scc0 .LBB142_736
.LBB142_732:
	s_cmp_gt_u32 s8, 0x387fffff
	s_cbranch_scc0 .LBB142_737
; %bb.733:
	s_bfe_u32 s9, s1, 0x10015
	s_delay_alu instid0(SALU_CYCLE_1) | instskip(NEXT) | instid1(SALU_CYCLE_1)
	s_add_i32 s9, s1, s9
	s_add_i32 s9, s9, 0x80fffff
	s_delay_alu instid0(SALU_CYCLE_1)
	s_lshr_b32 s10, s9, 21
	s_mov_b32 s9, 0
	s_branch .LBB142_738
.LBB142_734:
	s_and_not1_b32 vcc_lo, exec_lo, s8
	s_cbranch_vccnz .LBB142_731
.LBB142_735:
	v_lshrrev_b16 v0, 3, s7
	s_and_b32 s1, s7, 7
	s_lshl_b32 s11, s7, 24
	s_clz_i32_u32 s8, s1
	s_delay_alu instid0(SALU_CYCLE_1) | instskip(SKIP_4) | instid1(VALU_DEP_1)
	s_min_u32 s8, s8, 32
	v_readfirstlane_b32 s9, v0
	s_sub_i32 s10, s8, 28
	s_sub_i32 s8, 29, s8
	s_lshl_b32 s10, s7, s10
	s_and_b32 s9, s9, 15
	s_and_b32 s10, s10, 7
	s_cmp_eq_u32 s9, 0
	s_cselect_b32 s8, s8, s9
	s_cselect_b32 s1, s10, s1
	s_lshl_b32 s8, s8, 23
	s_and_b32 s9, s11, 0x80000000
	s_add_i32 s8, s8, 0x3b800000
	s_lshl_b32 s1, s1, 20
	s_or_b32 s8, s9, s8
	s_delay_alu instid0(SALU_CYCLE_1) | instskip(NEXT) | instid1(SALU_CYCLE_1)
	s_or_b32 s1, s8, s1
	s_and_b32 s8, s1, 0x7fffffff
	s_delay_alu instid0(SALU_CYCLE_1)
	s_cmp_lt_u32 s8, 0x47800000
	s_cbranch_scc1 .LBB142_732
.LBB142_736:
	s_mov_b32 s9, -1
                                        ; implicit-def: $vgpr0
	s_branch .LBB142_741
.LBB142_737:
	s_mov_b32 s9, -1
                                        ; implicit-def: $sgpr10
.LBB142_738:
	v_mov_b32_e32 v0, s10
	s_and_not1_b32 vcc_lo, exec_lo, s9
	s_cbranch_vccnz .LBB142_740
; %bb.739:
	v_add_f32_e64 v0, 0x43000000, |s1|
.LBB142_740:
	s_mov_b32 s9, 0
.LBB142_741:
	s_delay_alu instid0(SALU_CYCLE_1)
	s_and_not1_b32 vcc_lo, exec_lo, s9
	s_cbranch_vccnz .LBB142_743
; %bb.742:
	s_cmp_gt_u32 s8, 0x7f800000
	s_movk_i32 s8, 0x7f
	s_delay_alu instid0(SALU_CYCLE_1) | instskip(NEXT) | instid1(SALU_CYCLE_1)
	s_cselect_b32 s8, s8, 0x7c
	v_mov_b32_e32 v0, s8
.LBB142_743:
	s_lshr_b32 s1, s1, 24
	s_delay_alu instid0(SALU_CYCLE_1)
	s_and_b32 s1, s1, 0x80
	s_delay_alu instid0(VALU_DEP_1) | instid1(SALU_CYCLE_1)
	v_or_b32_e32 v0, s1, v0
	global_store_b8 v[4:5], v0, off
.LBB142_744:
	s_mov_b32 s8, 0
	s_mov_b32 s1, -1
.LBB142_745:
	s_and_not1_b32 vcc_lo, exec_lo, s8
	s_mov_b32 s9, 0
	s_cbranch_vccnz .LBB142_762
; %bb.746:
	v_cmp_lt_i16_e32 vcc_lo, 14, v12
	s_mov_b32 s8, -1
	s_cbranch_vccz .LBB142_760
; %bb.747:
	v_cmp_eq_u16_e32 vcc_lo, 15, v12
	s_mov_b32 s0, -1
	s_cbranch_vccz .LBB142_759
; %bb.748:
	v_and_b32_e64 v0, 0xff, s7
	s_delay_alu instid0(VALU_DEP_1)
	v_cmp_gt_i16_e32 vcc_lo, 0x80, v0
	s_cbranch_vccnz .LBB142_751
; %bb.749:
	v_cmp_eq_u16_e32 vcc_lo, 0x80, v0
	s_cbranch_vccz .LBB142_752
; %bb.750:
	s_mov_b32 s1, 0
	s_mov_b32 s0, 0x7f800001
	s_branch .LBB142_753
.LBB142_751:
	s_mov_b32 s1, 0
                                        ; implicit-def: $sgpr0
	s_branch .LBB142_754
.LBB142_752:
	s_mov_b32 s1, -1
                                        ; implicit-def: $sgpr0
.LBB142_753:
	s_mov_b32 s8, 0
.LBB142_754:
	s_delay_alu instid0(SALU_CYCLE_1)
	s_and_b32 vcc_lo, exec_lo, s8
	s_cbranch_vccz .LBB142_756
; %bb.755:
	v_cmp_ne_u16_e64 s1, 0, v0
	s_mov_b32 s0, 0
.LBB142_756:
	s_delay_alu instid0(VALU_DEP_1)
	s_and_not1_b32 vcc_lo, exec_lo, s1
	s_cbranch_vccnz .LBB142_758
; %bb.757:
	v_lshrrev_b16 v0, 3, s7
	s_and_b32 s0, s7, 7
	s_lshl_b32 s10, s7, 24
	s_clz_i32_u32 s1, s0
	s_delay_alu instid0(SALU_CYCLE_1) | instskip(SKIP_4) | instid1(VALU_DEP_1)
	s_min_u32 s1, s1, 32
	v_readfirstlane_b32 s8, v0
	s_sub_i32 s9, s1, 28
	s_sub_i32 s1, 29, s1
	s_lshl_b32 s9, s7, s9
	s_and_b32 s8, s8, 15
	s_and_b32 s9, s9, 7
	s_cmp_eq_u32 s8, 0
	s_cselect_b32 s1, s1, s8
	s_cselect_b32 s0, s9, s0
	s_lshl_b32 s1, s1, 23
	s_and_b32 s8, s10, 0x80000000
	s_add_i32 s1, s1, 0x3b800000
	s_lshl_b32 s0, s0, 20
	s_or_b32 s1, s8, s1
	s_delay_alu instid0(SALU_CYCLE_1)
	s_or_b32 s0, s1, s0
.LBB142_758:
	s_delay_alu instid0(SALU_CYCLE_1) | instskip(NEXT) | instid1(SALU_CYCLE_1)
	s_bfe_u32 s1, s0, 0x10010
	s_add_i32 s1, s0, s1
	v_cmp_o_f32_e64 s0, s0, s0
	s_addk_i32 s1, 0x7fff
	s_delay_alu instid0(SALU_CYCLE_1) | instskip(NEXT) | instid1(VALU_DEP_1)
	s_lshr_b32 s1, s1, 16
	s_and_b32 s0, s0, exec_lo
	s_cselect_b32 s0, s1, 0x7fc0
	s_mov_b32 s1, -1
	v_mov_b32_e32 v0, s0
	s_mov_b32 s0, 0
	global_store_b16 v[4:5], v0, off
.LBB142_759:
	s_mov_b32 s8, 0
.LBB142_760:
	s_delay_alu instid0(SALU_CYCLE_1)
	s_and_b32 vcc_lo, exec_lo, s8
	s_mov_b32 s9, 0
	s_cbranch_vccz .LBB142_762
; %bb.761:
	v_cmp_ne_u16_e64 s0, 11, v12
	s_mov_b32 s9, -1
.LBB142_762:
	s_delay_alu instid0(VALU_DEP_1)
	s_and_b32 vcc_lo, exec_lo, s0
	s_mov_b32 s8, s2
	s_cbranch_vccnz .LBB142_774
; %bb.763:
	s_and_not1_b32 vcc_lo, exec_lo, s9
	s_cbranch_vccnz .LBB142_776
.LBB142_764:
	v_and_b32_e64 v0, 0xff, s7
	s_delay_alu instid0(VALU_DEP_1)
	v_cmp_gt_i16_e32 vcc_lo, 0x80, v0
	s_cbranch_vccnz .LBB142_767
; %bb.765:
	v_cmp_eq_u16_e32 vcc_lo, 0x80, v0
	s_cbranch_vccz .LBB142_768
; %bb.766:
	s_mov_b32 s1, 0
	s_mov_b32 s0, -1
	s_branch .LBB142_769
.LBB142_767:
	s_mov_b32 s1, 0
                                        ; implicit-def: $sgpr0
	s_cbranch_execnz .LBB142_770
	s_branch .LBB142_771
.LBB142_768:
	s_mov_b32 s1, -1
                                        ; implicit-def: $sgpr0
.LBB142_769:
	s_branch .LBB142_771
.LBB142_770:
	v_cmp_ne_u16_e64 s1, 0, v0
	s_mov_b32 s0, 0
.LBB142_771:
	s_delay_alu instid0(VALU_DEP_1)
	s_and_not1_b32 vcc_lo, exec_lo, s1
	s_cbranch_vccnz .LBB142_773
; %bb.772:
	v_lshrrev_b16 v0, 3, s7
	s_and_b32 s0, s7, 7
	s_delay_alu instid0(SALU_CYCLE_1) | instskip(NEXT) | instid1(SALU_CYCLE_1)
	s_clz_i32_u32 s1, s0
	s_min_u32 s1, s1, 32
	s_delay_alu instid0(VALU_DEP_1) | instskip(SKIP_3) | instid1(VALU_DEP_1)
	v_readfirstlane_b32 s9, v0
	s_sub_i32 s10, s1, 28
	s_sub_i32 s1, 29, s1
	s_lshl_b32 s10, s7, s10
	s_and_b32 s9, s9, 15
	s_and_b32 s10, s10, 7
	s_cmp_eq_u32 s9, 0
	s_cselect_b32 s1, s1, s9
	s_cselect_b32 s0, s10, s0
	s_lshl_b32 s1, s1, 23
	s_lshl_b32 s0, s0, 20
	s_add_i32 s1, s1, 0x3b800000
	s_delay_alu instid0(SALU_CYCLE_1) | instskip(NEXT) | instid1(SALU_CYCLE_1)
	s_and_b32 s1, s1, 0x7f800000
	s_or_b32 s0, s1, s0
	s_delay_alu instid0(SALU_CYCLE_1)
	s_cmp_lg_u32 s0, 0
	s_cselect_b32 s0, -1, 0
.LBB142_773:
	s_delay_alu instid0(SALU_CYCLE_1)
	v_cndmask_b32_e64 v0, 0, 1, s0
	s_mov_b32 s1, -1
	global_store_b8 v[4:5], v0, off
	s_branch .LBB142_777
.LBB142_774:
	s_cbranch_execnz .LBB142_795
; %bb.775:
	s_or_b32 s8, s2, exec_lo
	s_cbranch_execz .LBB142_764
.LBB142_776:
.LBB142_777:
	s_and_not1_b32 vcc_lo, exec_lo, s1
	s_cbranch_vccnz .LBB142_1716
.LBB142_778:
	s_lshl_b32 s6, s6, 7
	v_cmp_gt_i16_e32 vcc_lo, 11, v12
	v_add_nc_u32_e32 v6, s6, v6
	s_delay_alu instid0(VALU_DEP_1) | instskip(SKIP_1) | instid1(VALU_DEP_1)
	v_ashrrev_i32_e32 v0, 31, v6
	v_add_co_u32 v4, s0, s4, v6
	v_add_co_ci_u32_e64 v5, s0, s5, v0, s0
	s_cbranch_vccnz .LBB142_787
; %bb.779:
	v_cmp_lt_i16_e32 vcc_lo, 25, v12
	s_mov_b32 s10, -1
	s_mov_b32 s9, 0
	s_mov_b32 s1, 0
	;; [unrolled: 1-line block ×3, first 2 shown]
	s_cbranch_vccz .LBB142_984
; %bb.780:
	v_cmp_lt_i16_e32 vcc_lo, 28, v12
	s_cbranch_vccz .LBB142_959
; %bb.781:
	v_cmp_lt_i16_e32 vcc_lo, 43, v12
	;; [unrolled: 3-line block ×3, first 2 shown]
	s_cbranch_vccz .LBB142_932
; %bb.783:
	v_cmp_eq_u16_e32 vcc_lo, 46, v12
	s_mov_b32 s0, -1
	s_mov_b32 s10, 0
	s_cbranch_vccz .LBB142_932
; %bb.784:
	v_and_b32_e64 v0, 0xff, s7
	s_delay_alu instid0(VALU_DEP_1)
	v_cmp_gt_i16_e32 vcc_lo, 0x80, v0
	s_cbranch_vccnz .LBB142_798
; %bb.785:
	v_cmp_eq_u16_e32 vcc_lo, 0x80, v0
	s_cbranch_vccz .LBB142_925
; %bb.786:
	s_mov_b32 s0, 0x7f800001
	s_branch .LBB142_926
.LBB142_787:
	s_mov_b32 s1, 0
	s_cbranch_execz .LBB142_1086
; %bb.788:
	v_cmp_gt_i16_e32 vcc_lo, 5, v12
	s_mov_b32 s0, -1
	s_cbranch_vccnz .LBB142_872
; %bb.789:
	v_cmp_gt_i16_e32 vcc_lo, 8, v12
	s_cbranch_vccnz .LBB142_832
; %bb.790:
	v_cmp_gt_i16_e32 vcc_lo, 9, v12
	s_cbranch_vccnz .LBB142_819
; %bb.791:
	v_cmp_lt_i16_e32 vcc_lo, 9, v12
	s_cbranch_vccz .LBB142_806
; %bb.792:
	v_and_b32_e64 v0, 0xff, s7
	s_delay_alu instid0(VALU_DEP_1)
	v_cmp_gt_i16_e32 vcc_lo, 0x80, v0
	s_cbranch_vccnz .LBB142_797
; %bb.793:
	v_cmp_eq_u16_e32 vcc_lo, 0x80, v0
	s_cbranch_vccz .LBB142_799
; %bb.794:
	s_mov_b32 s9, 0
	s_mov_b32 s1, 0x7ff80000
	s_brev_b32 s0, 4
	s_branch .LBB142_800
.LBB142_795:
	s_trap 2
	s_sendmsg_rtn_b32 s0, sendmsg(MSG_RTN_GET_DOORBELL)
	s_mov_b32 ttmp2, m0
	s_waitcnt lgkmcnt(0)
	s_and_b32 s0, s0, 0x3ff
	s_delay_alu instid0(SALU_CYCLE_1) | instskip(NEXT) | instid1(SALU_CYCLE_1)
	s_bitset1_b32 s0, 10
	s_mov_b32 m0, s0
	s_sendmsg sendmsg(MSG_INTERRUPT)
	s_mov_b32 m0, ttmp2
.LBB142_796:                            ; =>This Inner Loop Header: Depth=1
	s_sethalt 5
	s_branch .LBB142_796
.LBB142_797:
	s_mov_b32 s10, -1
	s_mov_b32 s9, 0
                                        ; implicit-def: $sgpr0_sgpr1
	s_branch .LBB142_801
.LBB142_798:
	s_mov_b32 s11, -1
                                        ; implicit-def: $sgpr0
	s_branch .LBB142_927
.LBB142_799:
	s_mov_b32 s9, -1
                                        ; implicit-def: $sgpr0_sgpr1
.LBB142_800:
	s_mov_b32 s10, 0
.LBB142_801:
	s_delay_alu instid0(SALU_CYCLE_1)
	s_and_b32 vcc_lo, exec_lo, s10
	s_cbranch_vccz .LBB142_803
; %bb.802:
	v_cmp_ne_u16_e64 s9, 0, v0
	s_mov_b64 s[0:1], 0
.LBB142_803:
	s_delay_alu instid0(SALU_CYCLE_1) | instskip(NEXT) | instid1(VALU_DEP_2)
	v_dual_mov_b32 v0, s0 :: v_dual_mov_b32 v1, s1
	s_and_not1_b32 vcc_lo, exec_lo, s9
	s_cbranch_vccnz .LBB142_805
; %bb.804:
	v_lshrrev_b16 v0, 3, s7
	s_and_b32 s0, s7, 7
	s_lshl_b32 s11, s7, 24
	s_clz_i32_u32 s1, s0
	s_delay_alu instid0(SALU_CYCLE_1) | instskip(SKIP_4) | instid1(VALU_DEP_1)
	s_min_u32 s1, s1, 32
	v_readfirstlane_b32 s9, v0
	s_sub_i32 s10, s1, 28
	s_sub_i32 s1, 29, s1
	s_lshl_b32 s10, s7, s10
	s_and_b32 s9, s9, 15
	s_and_b32 s10, s10, 7
	s_cmp_eq_u32 s9, 0
	s_cselect_b32 s1, s1, s9
	s_cselect_b32 s0, s10, s0
	s_lshl_b32 s1, s1, 23
	s_and_b32 s9, s11, 0x80000000
	s_add_i32 s1, s1, 0x3b800000
	s_lshl_b32 s0, s0, 20
	s_or_b32 s1, s9, s1
	s_delay_alu instid0(SALU_CYCLE_1) | instskip(NEXT) | instid1(SALU_CYCLE_1)
	s_or_b32 s0, s1, s0
	v_cvt_f64_f32_e32 v[0:1], s0
.LBB142_805:
	v_mov_b32_e32 v2, 0
	s_mov_b32 s0, 0
	s_delay_alu instid0(VALU_DEP_1)
	v_mov_b32_e32 v3, v2
	global_store_b128 v[4:5], v[0:3], off
.LBB142_806:
	s_and_b32 vcc_lo, exec_lo, s0
	s_cbranch_vccz .LBB142_818
; %bb.807:
	v_and_b32_e64 v1, 0xff, s7
	s_delay_alu instid0(VALU_DEP_1)
	v_cmp_gt_i16_e32 vcc_lo, 0x80, v1
	s_cbranch_vccnz .LBB142_810
; %bb.808:
	v_cmp_eq_u16_e32 vcc_lo, 0x80, v1
	s_cbranch_vccz .LBB142_811
; %bb.809:
	s_mov_b32 s0, 0
	s_mov_b32 s1, 0x7f800001
	s_branch .LBB142_812
.LBB142_810:
	s_mov_b32 s9, -1
	s_mov_b32 s0, 0
                                        ; implicit-def: $sgpr1
	s_branch .LBB142_813
.LBB142_811:
	s_mov_b32 s0, -1
                                        ; implicit-def: $sgpr1
.LBB142_812:
	s_mov_b32 s9, 0
.LBB142_813:
	v_mov_b32_e32 v0, s1
	s_and_b32 vcc_lo, exec_lo, s9
	s_cbranch_vccz .LBB142_815
; %bb.814:
	v_and_b32_e32 v0, 0xffff, v1
	v_cmp_ne_u16_e64 s0, 0, v1
.LBB142_815:
	s_delay_alu instid0(VALU_DEP_1)
	s_and_not1_b32 vcc_lo, exec_lo, s0
	s_cbranch_vccnz .LBB142_817
; %bb.816:
	v_lshrrev_b16 v0, 3, s7
	s_and_b32 s0, s7, 7
	s_lshl_b32 s11, s7, 24
	s_clz_i32_u32 s1, s0
	s_delay_alu instid0(SALU_CYCLE_1) | instskip(SKIP_4) | instid1(VALU_DEP_1)
	s_min_u32 s1, s1, 32
	v_readfirstlane_b32 s9, v0
	s_sub_i32 s10, s1, 28
	s_sub_i32 s1, 29, s1
	s_lshl_b32 s10, s7, s10
	s_and_b32 s9, s9, 15
	s_and_b32 s10, s10, 7
	s_cmp_eq_u32 s9, 0
	s_cselect_b32 s1, s1, s9
	s_cselect_b32 s0, s10, s0
	s_lshl_b32 s1, s1, 23
	s_and_b32 s9, s11, 0x80000000
	s_add_i32 s1, s1, 0x3b800000
	s_lshl_b32 s0, s0, 20
	s_or_b32 s1, s9, s1
	s_delay_alu instid0(SALU_CYCLE_1) | instskip(NEXT) | instid1(SALU_CYCLE_1)
	s_or_b32 s0, s1, s0
	v_mov_b32_e32 v0, s0
.LBB142_817:
	v_mov_b32_e32 v1, 0
	global_store_b64 v[4:5], v[0:1], off
.LBB142_818:
	s_mov_b32 s0, 0
.LBB142_819:
	s_delay_alu instid0(SALU_CYCLE_1)
	s_and_not1_b32 vcc_lo, exec_lo, s0
	s_cbranch_vccnz .LBB142_831
; %bb.820:
	v_and_b32_e64 v0, 0xff, s7
	s_delay_alu instid0(VALU_DEP_1)
	v_cmp_gt_i16_e32 vcc_lo, 0x80, v0
	s_cbranch_vccnz .LBB142_823
; %bb.821:
	v_cmp_eq_u16_e32 vcc_lo, 0x80, v0
	s_cbranch_vccz .LBB142_824
; %bb.822:
	s_mov_b32 s0, 0
	s_movk_i32 s1, 0x7e00
	s_branch .LBB142_825
.LBB142_823:
	s_mov_b32 s9, -1
	s_mov_b32 s0, 0
                                        ; implicit-def: $sgpr1
	s_branch .LBB142_826
.LBB142_824:
	s_mov_b32 s0, -1
                                        ; implicit-def: $sgpr1
.LBB142_825:
	s_mov_b32 s9, 0
.LBB142_826:
	v_mov_b32_e32 v1, s1
	s_and_b32 vcc_lo, exec_lo, s9
	s_cbranch_vccz .LBB142_828
; %bb.827:
	v_and_b32_e32 v1, 0xffff, v0
	v_cmp_ne_u16_e64 s0, 0, v0
.LBB142_828:
	s_delay_alu instid0(VALU_DEP_1)
	s_and_not1_b32 vcc_lo, exec_lo, s0
	s_cbranch_vccnz .LBB142_830
; %bb.829:
	v_lshrrev_b16 v0, 3, s7
	s_and_b32 s0, s7, 7
	s_lshl_b32 s11, s7, 24
	s_clz_i32_u32 s1, s0
	s_delay_alu instid0(SALU_CYCLE_1) | instskip(SKIP_4) | instid1(VALU_DEP_1)
	s_min_u32 s1, s1, 32
	v_readfirstlane_b32 s9, v0
	s_sub_i32 s10, s1, 28
	s_sub_i32 s1, 29, s1
	s_lshl_b32 s10, s7, s10
	s_and_b32 s9, s9, 15
	s_and_b32 s10, s10, 7
	s_cmp_eq_u32 s9, 0
	s_cselect_b32 s1, s1, s9
	s_cselect_b32 s0, s10, s0
	s_lshl_b32 s1, s1, 23
	s_and_b32 s9, s11, 0x80000000
	s_add_i32 s1, s1, 0x3b800000
	s_lshl_b32 s0, s0, 20
	s_or_b32 s1, s9, s1
	s_delay_alu instid0(SALU_CYCLE_1) | instskip(NEXT) | instid1(SALU_CYCLE_1)
	s_or_b32 s0, s1, s0
	v_cvt_f16_f32_e32 v0, s0
	s_delay_alu instid0(VALU_DEP_1)
	v_and_b32_e32 v1, 0xffff, v0
.LBB142_830:
	global_store_b32 v[4:5], v1, off
.LBB142_831:
	s_mov_b32 s0, 0
.LBB142_832:
	s_delay_alu instid0(SALU_CYCLE_1)
	s_and_not1_b32 vcc_lo, exec_lo, s0
	s_cbranch_vccnz .LBB142_871
; %bb.833:
	v_cmp_gt_i16_e32 vcc_lo, 6, v12
	s_mov_b32 s0, -1
	s_cbranch_vccnz .LBB142_859
; %bb.834:
	v_cmp_lt_i16_e32 vcc_lo, 6, v12
	s_cbranch_vccz .LBB142_846
; %bb.835:
	v_and_b32_e64 v0, 0xff, s7
	s_delay_alu instid0(VALU_DEP_1)
	v_cmp_gt_i16_e32 vcc_lo, 0x80, v0
	s_cbranch_vccnz .LBB142_838
; %bb.836:
	v_cmp_eq_u16_e32 vcc_lo, 0x80, v0
	s_cbranch_vccz .LBB142_839
; %bb.837:
	s_mov_b32 s9, 0
	s_mov_b32 s1, 0x7ff80000
	s_brev_b32 s0, 4
	s_branch .LBB142_840
.LBB142_838:
	s_mov_b32 s10, -1
	s_mov_b32 s9, 0
                                        ; implicit-def: $sgpr0_sgpr1
	s_branch .LBB142_841
.LBB142_839:
	s_mov_b32 s9, -1
                                        ; implicit-def: $sgpr0_sgpr1
.LBB142_840:
	s_mov_b32 s10, 0
.LBB142_841:
	s_delay_alu instid0(SALU_CYCLE_1)
	s_and_b32 vcc_lo, exec_lo, s10
	s_cbranch_vccz .LBB142_843
; %bb.842:
	v_cmp_ne_u16_e64 s9, 0, v0
	s_mov_b64 s[0:1], 0
.LBB142_843:
	s_delay_alu instid0(SALU_CYCLE_1) | instskip(NEXT) | instid1(VALU_DEP_2)
	v_dual_mov_b32 v0, s0 :: v_dual_mov_b32 v1, s1
	s_and_not1_b32 vcc_lo, exec_lo, s9
	s_cbranch_vccnz .LBB142_845
; %bb.844:
	v_lshrrev_b16 v0, 3, s7
	s_and_b32 s0, s7, 7
	s_lshl_b32 s11, s7, 24
	s_clz_i32_u32 s1, s0
	s_delay_alu instid0(SALU_CYCLE_1) | instskip(SKIP_4) | instid1(VALU_DEP_1)
	s_min_u32 s1, s1, 32
	v_readfirstlane_b32 s9, v0
	s_sub_i32 s10, s1, 28
	s_sub_i32 s1, 29, s1
	s_lshl_b32 s10, s7, s10
	s_and_b32 s9, s9, 15
	s_and_b32 s10, s10, 7
	s_cmp_eq_u32 s9, 0
	s_cselect_b32 s1, s1, s9
	s_cselect_b32 s0, s10, s0
	s_lshl_b32 s1, s1, 23
	s_and_b32 s9, s11, 0x80000000
	s_add_i32 s1, s1, 0x3b800000
	s_lshl_b32 s0, s0, 20
	s_or_b32 s1, s9, s1
	s_delay_alu instid0(SALU_CYCLE_1) | instskip(NEXT) | instid1(SALU_CYCLE_1)
	s_or_b32 s0, s1, s0
	v_cvt_f64_f32_e32 v[0:1], s0
.LBB142_845:
	s_mov_b32 s0, 0
	global_store_b64 v[4:5], v[0:1], off
.LBB142_846:
	s_and_b32 vcc_lo, exec_lo, s0
	s_cbranch_vccz .LBB142_858
; %bb.847:
	v_and_b32_e64 v0, 0xff, s7
	s_delay_alu instid0(VALU_DEP_1)
	v_cmp_gt_i16_e32 vcc_lo, 0x80, v0
	s_cbranch_vccnz .LBB142_850
; %bb.848:
	v_cmp_eq_u16_e32 vcc_lo, 0x80, v0
	s_cbranch_vccz .LBB142_851
; %bb.849:
	s_mov_b32 s0, 0
	s_mov_b32 s1, 0x7f800001
	s_branch .LBB142_852
.LBB142_850:
	s_mov_b32 s9, -1
	s_mov_b32 s0, 0
                                        ; implicit-def: $sgpr1
	s_branch .LBB142_853
.LBB142_851:
	s_mov_b32 s0, -1
                                        ; implicit-def: $sgpr1
.LBB142_852:
	s_mov_b32 s9, 0
.LBB142_853:
	v_mov_b32_e32 v1, s1
	s_and_b32 vcc_lo, exec_lo, s9
	s_cbranch_vccz .LBB142_855
; %bb.854:
	v_and_b32_e32 v1, 0xffff, v0
	v_cmp_ne_u16_e64 s0, 0, v0
.LBB142_855:
	s_delay_alu instid0(VALU_DEP_1)
	s_and_not1_b32 vcc_lo, exec_lo, s0
	s_cbranch_vccnz .LBB142_857
; %bb.856:
	v_lshrrev_b16 v0, 3, s7
	s_and_b32 s0, s7, 7
	s_lshl_b32 s11, s7, 24
	s_clz_i32_u32 s1, s0
	s_delay_alu instid0(SALU_CYCLE_1) | instskip(SKIP_4) | instid1(VALU_DEP_1)
	s_min_u32 s1, s1, 32
	v_readfirstlane_b32 s9, v0
	s_sub_i32 s10, s1, 28
	s_sub_i32 s1, 29, s1
	s_lshl_b32 s10, s7, s10
	s_and_b32 s9, s9, 15
	s_and_b32 s10, s10, 7
	s_cmp_eq_u32 s9, 0
	s_cselect_b32 s1, s1, s9
	s_cselect_b32 s0, s10, s0
	s_lshl_b32 s1, s1, 23
	s_and_b32 s9, s11, 0x80000000
	s_add_i32 s1, s1, 0x3b800000
	s_lshl_b32 s0, s0, 20
	s_or_b32 s1, s9, s1
	s_delay_alu instid0(SALU_CYCLE_1) | instskip(NEXT) | instid1(SALU_CYCLE_1)
	s_or_b32 s0, s1, s0
	v_mov_b32_e32 v1, s0
.LBB142_857:
	global_store_b32 v[4:5], v1, off
.LBB142_858:
	s_mov_b32 s0, 0
.LBB142_859:
	s_delay_alu instid0(SALU_CYCLE_1)
	s_and_not1_b32 vcc_lo, exec_lo, s0
	s_cbranch_vccnz .LBB142_871
; %bb.860:
	v_and_b32_e64 v0, 0xff, s7
	s_delay_alu instid0(VALU_DEP_1)
	v_cmp_gt_i16_e32 vcc_lo, 0x80, v0
	s_cbranch_vccnz .LBB142_863
; %bb.861:
	v_cmp_eq_u16_e32 vcc_lo, 0x80, v0
	s_cbranch_vccz .LBB142_864
; %bb.862:
	s_mov_b32 s0, 0
	s_movk_i32 s1, 0x7e00
	s_branch .LBB142_865
.LBB142_863:
	s_mov_b32 s9, -1
	s_mov_b32 s0, 0
                                        ; implicit-def: $sgpr1
	s_branch .LBB142_866
.LBB142_864:
	s_mov_b32 s0, -1
                                        ; implicit-def: $sgpr1
.LBB142_865:
	s_mov_b32 s9, 0
.LBB142_866:
	v_mov_b32_e32 v1, s1
	s_and_b32 vcc_lo, exec_lo, s9
	s_cbranch_vccz .LBB142_868
; %bb.867:
	v_cmp_ne_u16_e64 s0, 0, v0
	v_mov_b32_e32 v1, v0
.LBB142_868:
	s_delay_alu instid0(VALU_DEP_2)
	s_and_not1_b32 vcc_lo, exec_lo, s0
	s_cbranch_vccnz .LBB142_870
; %bb.869:
	v_lshrrev_b16 v0, 3, s7
	s_and_b32 s0, s7, 7
	s_lshl_b32 s11, s7, 24
	s_clz_i32_u32 s1, s0
	s_delay_alu instid0(SALU_CYCLE_1) | instskip(SKIP_4) | instid1(VALU_DEP_1)
	s_min_u32 s1, s1, 32
	v_readfirstlane_b32 s9, v0
	s_sub_i32 s10, s1, 28
	s_sub_i32 s1, 29, s1
	s_lshl_b32 s10, s7, s10
	s_and_b32 s9, s9, 15
	s_and_b32 s10, s10, 7
	s_cmp_eq_u32 s9, 0
	s_cselect_b32 s1, s1, s9
	s_cselect_b32 s0, s10, s0
	s_lshl_b32 s1, s1, 23
	s_and_b32 s9, s11, 0x80000000
	s_add_i32 s1, s1, 0x3b800000
	s_lshl_b32 s0, s0, 20
	s_or_b32 s1, s9, s1
	s_delay_alu instid0(SALU_CYCLE_1) | instskip(NEXT) | instid1(SALU_CYCLE_1)
	s_or_b32 s0, s1, s0
	v_cvt_f16_f32_e32 v1, s0
.LBB142_870:
	global_store_b16 v[4:5], v1, off
.LBB142_871:
	s_mov_b32 s0, 0
.LBB142_872:
	s_delay_alu instid0(SALU_CYCLE_1)
	s_and_not1_b32 vcc_lo, exec_lo, s0
	s_cbranch_vccnz .LBB142_923
; %bb.873:
	v_cmp_gt_i16_e32 vcc_lo, 2, v12
	s_mov_b32 s0, -1
	s_cbranch_vccnz .LBB142_904
; %bb.874:
	v_cmp_gt_i16_e32 vcc_lo, 3, v12
	s_cbranch_vccnz .LBB142_894
; %bb.875:
	v_cmp_lt_i16_e32 vcc_lo, 3, v12
	s_cbranch_vccz .LBB142_884
; %bb.876:
	v_and_b32_e64 v0, 0xff, s7
	s_delay_alu instid0(VALU_DEP_1)
	v_cmp_gt_i16_e32 vcc_lo, 0x80, v0
	s_cbranch_vccnz .LBB142_878
; %bb.877:
	v_cmp_ne_u16_e64 s9, 0x80, v0
	s_mov_b32 s10, 0
	s_mov_b64 s[0:1], 0
	s_branch .LBB142_879
.LBB142_878:
	s_mov_b32 s10, -1
	s_mov_b32 s9, 0
                                        ; implicit-def: $sgpr0_sgpr1
.LBB142_879:
	s_and_not1_b32 vcc_lo, exec_lo, s10
	s_cbranch_vccnz .LBB142_881
; %bb.880:
	v_cmp_ne_u16_e64 s9, 0, v0
	s_mov_b64 s[0:1], 0
.LBB142_881:
	s_delay_alu instid0(SALU_CYCLE_1) | instskip(NEXT) | instid1(VALU_DEP_2)
	v_dual_mov_b32 v0, s0 :: v_dual_mov_b32 v1, s1
	s_and_not1_b32 vcc_lo, exec_lo, s9
	s_cbranch_vccnz .LBB142_883
; %bb.882:
	v_lshrrev_b16 v0, 3, s7
	s_and_b32 s0, s7, 7
	s_lshl_b32 s10, s7, 24
	s_clz_i32_u32 s1, s0
	s_delay_alu instid0(SALU_CYCLE_1) | instskip(SKIP_4) | instid1(VALU_DEP_1)
	s_min_u32 s1, s1, 32
	v_readfirstlane_b32 s9, v0
	s_sub_i32 s11, s1, 28
	s_sub_i32 s1, 29, s1
	s_lshl_b32 s11, s7, s11
	s_and_b32 s9, s9, 15
	s_and_b32 s11, s11, 7
	s_cmp_eq_u32 s9, 0
	s_cselect_b32 s1, s1, s9
	s_cselect_b32 s0, s11, s0
	s_lshl_b32 s1, s1, 23
	s_and_b32 s9, s10, 0x80000000
	s_add_i32 s1, s1, 0x3b800000
	s_lshl_b32 s0, s0, 20
	s_or_b32 s1, s9, s1
	s_delay_alu instid0(SALU_CYCLE_1) | instskip(NEXT) | instid1(SALU_CYCLE_1)
	s_or_b32 s0, s1, s0
	v_trunc_f32_e32 v0, s0
	s_delay_alu instid0(VALU_DEP_1) | instskip(SKIP_1) | instid1(VALU_DEP_2)
	v_mul_f32_e64 v1, 0x2f800000, |v0|
	v_ashrrev_i32_e32 v3, 31, v0
	v_floor_f32_e32 v1, v1
	s_delay_alu instid0(VALU_DEP_1) | instskip(SKIP_1) | instid1(VALU_DEP_2)
	v_fma_f32 v2, 0xcf800000, v1, |v0|
	v_cvt_u32_f32_e32 v1, v1
	v_cvt_u32_f32_e32 v0, v2
	s_delay_alu instid0(VALU_DEP_2) | instskip(NEXT) | instid1(VALU_DEP_2)
	v_xor_b32_e32 v1, v1, v3
	v_xor_b32_e32 v0, v0, v3
	s_delay_alu instid0(VALU_DEP_1) | instskip(NEXT) | instid1(VALU_DEP_3)
	v_sub_co_u32 v0, vcc_lo, v0, v3
	v_sub_co_ci_u32_e32 v1, vcc_lo, v1, v3, vcc_lo
.LBB142_883:
	s_mov_b32 s0, 0
	global_store_b64 v[4:5], v[0:1], off
.LBB142_884:
	s_and_b32 vcc_lo, exec_lo, s0
	s_cbranch_vccz .LBB142_893
; %bb.885:
	v_and_b32_e64 v0, 0xff, s7
	s_delay_alu instid0(VALU_DEP_1)
	v_cmp_gt_i16_e32 vcc_lo, 0x80, v0
	s_cbranch_vccnz .LBB142_887
; %bb.886:
	v_cmp_ne_u16_e64 s0, 0x80, v0
	s_mov_b32 s9, 0
	s_mov_b32 s1, 0
	s_branch .LBB142_888
.LBB142_887:
	s_mov_b32 s9, -1
	s_mov_b32 s0, 0
                                        ; implicit-def: $sgpr1
.LBB142_888:
	s_and_not1_b32 vcc_lo, exec_lo, s9
	s_cbranch_vccnz .LBB142_890
; %bb.889:
	v_cmp_ne_u16_e64 s0, 0, v0
	s_mov_b32 s1, 0
.LBB142_890:
	s_delay_alu instid0(SALU_CYCLE_1) | instskip(NEXT) | instid1(VALU_DEP_2)
	v_mov_b32_e32 v0, s1
	s_and_not1_b32 vcc_lo, exec_lo, s0
	s_cbranch_vccnz .LBB142_892
; %bb.891:
	v_lshrrev_b16 v0, 3, s7
	s_and_b32 s0, s7, 7
	s_lshl_b32 s11, s7, 24
	s_clz_i32_u32 s1, s0
	s_delay_alu instid0(SALU_CYCLE_1) | instskip(SKIP_4) | instid1(VALU_DEP_1)
	s_min_u32 s1, s1, 32
	v_readfirstlane_b32 s9, v0
	s_sub_i32 s10, s1, 28
	s_sub_i32 s1, 29, s1
	s_lshl_b32 s10, s7, s10
	s_and_b32 s9, s9, 15
	s_and_b32 s10, s10, 7
	s_cmp_eq_u32 s9, 0
	s_cselect_b32 s1, s1, s9
	s_cselect_b32 s0, s10, s0
	s_lshl_b32 s1, s1, 23
	s_and_b32 s9, s11, 0x80000000
	s_add_i32 s1, s1, 0x3b800000
	s_lshl_b32 s0, s0, 20
	s_or_b32 s1, s9, s1
	s_delay_alu instid0(SALU_CYCLE_1) | instskip(NEXT) | instid1(SALU_CYCLE_1)
	s_or_b32 s0, s1, s0
	v_cvt_i32_f32_e32 v0, s0
.LBB142_892:
	global_store_b32 v[4:5], v0, off
.LBB142_893:
	s_mov_b32 s0, 0
.LBB142_894:
	s_delay_alu instid0(SALU_CYCLE_1)
	s_and_not1_b32 vcc_lo, exec_lo, s0
	s_cbranch_vccnz .LBB142_903
; %bb.895:
	v_and_b32_e64 v0, 0xff, s7
	s_delay_alu instid0(VALU_DEP_1)
	v_cmp_gt_i16_e32 vcc_lo, 0x80, v0
	s_cbranch_vccnz .LBB142_897
; %bb.896:
	v_cmp_ne_u16_e64 s0, 0x80, v0
	s_mov_b32 s9, 0
	s_mov_b32 s1, 0
	s_branch .LBB142_898
.LBB142_897:
	s_mov_b32 s9, -1
	s_mov_b32 s0, 0
                                        ; implicit-def: $sgpr1
.LBB142_898:
	s_and_not1_b32 vcc_lo, exec_lo, s9
	s_cbranch_vccnz .LBB142_900
; %bb.899:
	v_cmp_ne_u16_e64 s0, 0, v0
	s_mov_b32 s1, 0
.LBB142_900:
	s_delay_alu instid0(SALU_CYCLE_1) | instskip(NEXT) | instid1(VALU_DEP_2)
	v_mov_b32_e32 v0, s1
	s_and_not1_b32 vcc_lo, exec_lo, s0
	s_cbranch_vccnz .LBB142_902
; %bb.901:
	v_lshrrev_b16 v0, 3, s7
	s_and_b32 s0, s7, 7
	s_lshl_b32 s11, s7, 24
	s_clz_i32_u32 s1, s0
	s_delay_alu instid0(SALU_CYCLE_1) | instskip(SKIP_4) | instid1(VALU_DEP_1)
	s_min_u32 s1, s1, 32
	v_readfirstlane_b32 s9, v0
	s_sub_i32 s10, s1, 28
	s_sub_i32 s1, 29, s1
	s_lshl_b32 s10, s7, s10
	s_and_b32 s9, s9, 15
	s_and_b32 s10, s10, 7
	s_cmp_eq_u32 s9, 0
	s_cselect_b32 s1, s1, s9
	s_cselect_b32 s0, s10, s0
	s_lshl_b32 s1, s1, 23
	s_and_b32 s9, s11, 0x80000000
	s_add_i32 s1, s1, 0x3b800000
	s_lshl_b32 s0, s0, 20
	s_or_b32 s1, s9, s1
	s_delay_alu instid0(SALU_CYCLE_1) | instskip(NEXT) | instid1(SALU_CYCLE_1)
	s_or_b32 s0, s1, s0
	v_cvt_i32_f32_e32 v0, s0
.LBB142_902:
	global_store_b16 v[4:5], v0, off
.LBB142_903:
	s_mov_b32 s0, 0
.LBB142_904:
	s_delay_alu instid0(SALU_CYCLE_1)
	s_and_not1_b32 vcc_lo, exec_lo, s0
	s_cbranch_vccnz .LBB142_923
; %bb.905:
	v_cmp_lt_i16_e32 vcc_lo, 0, v12
	s_mov_b32 s0, 0
	s_mov_b32 s1, -1
	s_cbranch_vccz .LBB142_914
; %bb.906:
	v_and_b32_e64 v0, 0xff, s7
	s_delay_alu instid0(VALU_DEP_1)
	v_cmp_gt_i16_e32 vcc_lo, 0x80, v0
	s_cbranch_vccnz .LBB142_908
; %bb.907:
	v_cmp_ne_u16_e64 s0, 0x80, v0
	s_mov_b32 s9, 0
	s_mov_b32 s1, 0
	s_branch .LBB142_909
.LBB142_908:
	s_mov_b32 s9, -1
                                        ; implicit-def: $sgpr1
.LBB142_909:
	s_delay_alu instid0(SALU_CYCLE_1)
	s_and_not1_b32 vcc_lo, exec_lo, s9
	s_cbranch_vccnz .LBB142_911
; %bb.910:
	v_cmp_ne_u16_e64 s0, 0, v0
	s_mov_b32 s1, 0
.LBB142_911:
	s_delay_alu instid0(SALU_CYCLE_1) | instskip(NEXT) | instid1(VALU_DEP_2)
	v_mov_b32_e32 v0, s1
	s_and_not1_b32 vcc_lo, exec_lo, s0
	s_cbranch_vccnz .LBB142_913
; %bb.912:
	v_lshrrev_b16 v0, 3, s7
	s_and_b32 s0, s7, 7
	s_lshl_b32 s11, s7, 24
	s_clz_i32_u32 s1, s0
	s_delay_alu instid0(SALU_CYCLE_1) | instskip(SKIP_4) | instid1(VALU_DEP_1)
	s_min_u32 s1, s1, 32
	v_readfirstlane_b32 s9, v0
	s_sub_i32 s10, s1, 28
	s_sub_i32 s1, 29, s1
	s_lshl_b32 s10, s7, s10
	s_and_b32 s9, s9, 15
	s_and_b32 s10, s10, 7
	s_cmp_eq_u32 s9, 0
	s_cselect_b32 s1, s1, s9
	s_cselect_b32 s0, s10, s0
	s_lshl_b32 s1, s1, 23
	s_and_b32 s9, s11, 0x80000000
	s_add_i32 s1, s1, 0x3b800000
	s_lshl_b32 s0, s0, 20
	s_or_b32 s1, s9, s1
	s_delay_alu instid0(SALU_CYCLE_1) | instskip(NEXT) | instid1(SALU_CYCLE_1)
	s_or_b32 s0, s1, s0
	v_cvt_i32_f32_e32 v0, s0
.LBB142_913:
	s_mov_b32 s1, 0
	global_store_b8 v[4:5], v0, off
.LBB142_914:
	s_and_b32 vcc_lo, exec_lo, s1
	s_cbranch_vccz .LBB142_923
; %bb.915:
	v_and_b32_e64 v0, 0xff, s7
	s_delay_alu instid0(VALU_DEP_1)
	v_cmp_gt_i16_e32 vcc_lo, 0x80, v0
	s_cbranch_vccnz .LBB142_917
; %bb.916:
	v_cmp_ne_u16_e64 s0, 0x80, v0
	s_mov_b32 s9, 0
	s_mov_b32 s1, 0
	s_branch .LBB142_918
.LBB142_917:
	s_mov_b32 s9, -1
	s_mov_b32 s0, 0
                                        ; implicit-def: $sgpr1
.LBB142_918:
	s_and_not1_b32 vcc_lo, exec_lo, s9
	s_cbranch_vccnz .LBB142_920
; %bb.919:
	v_cmp_ne_u16_e64 s0, 0, v0
	s_mov_b32 s1, 0
.LBB142_920:
	s_delay_alu instid0(SALU_CYCLE_1) | instskip(NEXT) | instid1(VALU_DEP_2)
	v_mov_b32_e32 v0, s1
	s_and_not1_b32 vcc_lo, exec_lo, s0
	s_cbranch_vccnz .LBB142_922
; %bb.921:
	v_lshrrev_b16 v0, 3, s7
	s_and_b32 s0, s7, 7
	s_lshl_b32 s10, s7, 24
	s_clz_i32_u32 s1, s0
	s_delay_alu instid0(SALU_CYCLE_1) | instskip(SKIP_4) | instid1(VALU_DEP_1)
	s_min_u32 s1, s1, 32
	v_readfirstlane_b32 s9, v0
	s_sub_i32 s11, s1, 28
	s_sub_i32 s1, 29, s1
	s_lshl_b32 s11, s7, s11
	s_and_b32 s9, s9, 15
	s_and_b32 s11, s11, 7
	s_cmp_eq_u32 s9, 0
	s_cselect_b32 s1, s1, s9
	s_cselect_b32 s0, s11, s0
	s_lshl_b32 s1, s1, 23
	s_and_b32 s9, s10, 0x80000000
	s_add_i32 s1, s1, 0x3b800000
	s_lshl_b32 s0, s0, 20
	s_or_b32 s1, s9, s1
	s_delay_alu instid0(SALU_CYCLE_1) | instskip(NEXT) | instid1(SALU_CYCLE_1)
	s_or_b32 s0, s1, s0
	v_trunc_f32_e32 v0, s0
	s_delay_alu instid0(VALU_DEP_1) | instskip(NEXT) | instid1(VALU_DEP_1)
	v_mul_f32_e64 v1, 0x2f800000, |v0|
	v_floor_f32_e32 v1, v1
	s_delay_alu instid0(VALU_DEP_1) | instskip(SKIP_1) | instid1(VALU_DEP_2)
	v_fma_f32 v1, 0xcf800000, v1, |v0|
	v_ashrrev_i32_e32 v0, 31, v0
	v_cvt_u32_f32_e32 v1, v1
	s_delay_alu instid0(VALU_DEP_1) | instskip(NEXT) | instid1(VALU_DEP_1)
	v_xor_b32_e32 v1, v1, v0
	v_sub_nc_u32_e32 v0, v1, v0
.LBB142_922:
	global_store_b8 v[4:5], v0, off
.LBB142_923:
	s_branch .LBB142_1087
.LBB142_924:
	s_mov_b32 s16, -1
	s_mov_b32 s14, 0
                                        ; implicit-def: $sgpr0
	s_branch .LBB142_1102
.LBB142_925:
	s_mov_b32 s1, -1
                                        ; implicit-def: $sgpr0
.LBB142_926:
	s_mov_b32 s11, 0
.LBB142_927:
	s_delay_alu instid0(SALU_CYCLE_1)
	s_and_b32 vcc_lo, exec_lo, s11
	s_cbranch_vccz .LBB142_929
; %bb.928:
	v_cmp_ne_u16_e64 s1, 0, v0
	s_mov_b32 s0, 0
.LBB142_929:
	s_delay_alu instid0(VALU_DEP_1)
	s_and_not1_b32 vcc_lo, exec_lo, s1
	s_cbranch_vccnz .LBB142_931
; %bb.930:
	v_lshrrev_b16 v0, 3, s7
	s_and_b32 s0, s7, 7
	s_lshl_b32 s13, s7, 24
	s_clz_i32_u32 s1, s0
	s_delay_alu instid0(SALU_CYCLE_1) | instskip(SKIP_4) | instid1(VALU_DEP_1)
	s_min_u32 s1, s1, 32
	v_readfirstlane_b32 s11, v0
	s_sub_i32 s12, s1, 28
	s_sub_i32 s1, 29, s1
	s_lshl_b32 s12, s7, s12
	s_and_b32 s11, s11, 15
	s_and_b32 s12, s12, 7
	s_cmp_eq_u32 s11, 0
	s_cselect_b32 s1, s1, s11
	s_cselect_b32 s0, s12, s0
	s_lshl_b32 s1, s1, 23
	s_and_b32 s11, s13, 0x80000000
	s_add_i32 s1, s1, 0x3b800000
	s_lshl_b32 s0, s0, 20
	s_or_b32 s1, s11, s1
	s_delay_alu instid0(SALU_CYCLE_1)
	s_or_b32 s0, s1, s0
.LBB142_931:
	s_delay_alu instid0(SALU_CYCLE_1) | instskip(NEXT) | instid1(SALU_CYCLE_1)
	s_bfe_u32 s1, s0, 0x10010
	s_add_i32 s1, s0, s1
	v_cmp_o_f32_e64 s0, s0, s0
	s_addk_i32 s1, 0x7fff
	s_delay_alu instid0(SALU_CYCLE_1) | instskip(NEXT) | instid1(VALU_DEP_1)
	s_lshr_b32 s1, s1, 16
	s_and_b32 s0, s0, exec_lo
	s_cselect_b32 s0, s1, 0x7fc0
	s_mov_b32 s1, -1
	v_mov_b32_e32 v0, s0
	s_mov_b32 s0, 0
	global_store_b32 v[4:5], v0, off
.LBB142_932:
	s_and_b32 vcc_lo, exec_lo, s10
	s_cbranch_vccz .LBB142_945
; %bb.933:
	v_cmp_eq_u16_e32 vcc_lo, 44, v12
	s_mov_b32 s0, -1
	s_cbranch_vccz .LBB142_945
; %bb.934:
	v_and_b32_e64 v0, 0xff, s7
	s_delay_alu instid0(VALU_DEP_1)
	v_cmp_gt_i16_e32 vcc_lo, 0x80, v0
	v_readfirstlane_b32 s1, v0
	s_cbranch_vccnz .LBB142_937
; %bb.935:
	s_delay_alu instid0(VALU_DEP_1) | instskip(NEXT) | instid1(VALU_DEP_1)
	v_cmp_eq_u16_e64 s0, 0x80, s1
	s_and_b32 vcc_lo, exec_lo, s0
	s_cbranch_vccz .LBB142_938
; %bb.936:
	s_mov_b32 s10, 0
	s_mov_b32 s0, 0x7f800001
	s_branch .LBB142_939
.LBB142_937:
	s_mov_b32 s11, -1
	s_mov_b32 s10, 0
                                        ; implicit-def: $sgpr0
	s_branch .LBB142_940
.LBB142_938:
	s_mov_b32 s10, -1
                                        ; implicit-def: $sgpr0
.LBB142_939:
	s_mov_b32 s11, 0
.LBB142_940:
	s_delay_alu instid0(SALU_CYCLE_1)
	s_and_b32 vcc_lo, exec_lo, s11
	s_cbranch_vccz .LBB142_950
; %bb.941:
	v_cmp_ne_u16_e64 s10, s1, 0
	s_and_b32 s0, 0xffff, s1
	s_delay_alu instid0(VALU_DEP_1)
	s_and_not1_b32 vcc_lo, exec_lo, s10
	s_cbranch_vccz .LBB142_951
.LBB142_942:
	v_mov_b32_e32 v0, 0xff
	s_bfe_u32 s1, s0, 0x80017
	s_delay_alu instid0(SALU_CYCLE_1)
	s_cmpk_eq_i32 s1, 0xff
	s_cbranch_scc1 .LBB142_944
.LBB142_943:
	s_lshr_b32 s10, s0, 23
	s_bitcmp1_b32 s0, 22
	s_cselect_b32 s11, -1, 0
	s_and_b32 s0, s0, 0x3fffff
	s_delay_alu instid0(SALU_CYCLE_1) | instskip(NEXT) | instid1(SALU_CYCLE_1)
	s_or_b32 s0, s1, s0
	s_cmp_lg_u32 s0, 0
	s_cselect_b32 s0, -1, 0
	s_delay_alu instid0(SALU_CYCLE_1) | instskip(NEXT) | instid1(SALU_CYCLE_1)
	s_and_b32 s0, s11, s0
	v_cndmask_b32_e64 v0, 0, 1, s0
	s_delay_alu instid0(VALU_DEP_1)
	v_add_nc_u32_e32 v0, s10, v0
.LBB142_944:
	s_mov_b32 s0, 0
	s_mov_b32 s1, -1
	global_store_b8 v[4:5], v0, off
.LBB142_945:
	s_mov_b32 s10, 0
.LBB142_946:
	s_delay_alu instid0(SALU_CYCLE_1)
	s_and_b32 vcc_lo, exec_lo, s10
	s_cbranch_vccz .LBB142_958
; %bb.947:
	v_cmp_eq_u16_e32 vcc_lo, 29, v12
	s_mov_b32 s0, -1
	s_cbranch_vccz .LBB142_958
; %bb.948:
	v_and_b32_e64 v0, 0xff, s7
	s_delay_alu instid0(VALU_DEP_1)
	v_cmp_gt_i16_e32 vcc_lo, 0x80, v0
	s_cbranch_vccnz .LBB142_952
; %bb.949:
	v_cmp_ne_u16_e64 s10, 0x80, v0
	s_mov_b32 s11, 0
	s_mov_b64 s[0:1], 0
	s_branch .LBB142_953
.LBB142_950:
	s_and_not1_b32 vcc_lo, exec_lo, s10
	s_cbranch_vccnz .LBB142_942
.LBB142_951:
	v_lshrrev_b16 v0, 3, s7
	s_and_b32 s0, s7, 7
	s_delay_alu instid0(SALU_CYCLE_1) | instskip(NEXT) | instid1(SALU_CYCLE_1)
	s_clz_i32_u32 s1, s0
	s_min_u32 s1, s1, 32
	s_delay_alu instid0(VALU_DEP_1) | instskip(SKIP_3) | instid1(VALU_DEP_1)
	v_readfirstlane_b32 s10, v0
	s_sub_i32 s11, s1, 28
	s_sub_i32 s1, 29, s1
	s_lshl_b32 s11, s7, s11
	s_and_b32 s10, s10, 15
	s_and_b32 s11, s11, 7
	s_cmp_eq_u32 s10, 0
	s_cselect_b32 s0, s11, s0
	s_cselect_b32 s1, s1, s10
	s_lshl_b32 s0, s0, 20
	s_lshl_b32 s1, s1, 23
	s_delay_alu instid0(SALU_CYCLE_1) | instskip(NEXT) | instid1(SALU_CYCLE_1)
	s_or_b32 s0, s1, s0
	s_add_i32 s0, s0, 0x3b800000
	v_mov_b32_e32 v0, 0xff
	s_bfe_u32 s1, s0, 0x80017
	s_delay_alu instid0(SALU_CYCLE_1)
	s_cmpk_eq_i32 s1, 0xff
	s_cbranch_scc0 .LBB142_943
	s_branch .LBB142_944
.LBB142_952:
	s_mov_b32 s11, -1
	s_mov_b32 s10, 0
                                        ; implicit-def: $sgpr0_sgpr1
.LBB142_953:
	s_and_not1_b32 vcc_lo, exec_lo, s11
	s_cbranch_vccnz .LBB142_955
; %bb.954:
	v_cmp_ne_u16_e64 s10, 0, v0
	s_mov_b64 s[0:1], 0
.LBB142_955:
	s_delay_alu instid0(SALU_CYCLE_1) | instskip(NEXT) | instid1(VALU_DEP_2)
	v_dual_mov_b32 v0, s0 :: v_dual_mov_b32 v1, s1
	s_and_not1_b32 vcc_lo, exec_lo, s10
	s_cbranch_vccnz .LBB142_957
; %bb.956:
	v_lshrrev_b16 v0, 3, s7
	s_and_b32 s0, s7, 7
	s_lshl_b32 s11, s7, 24
	s_clz_i32_u32 s1, s0
	s_delay_alu instid0(SALU_CYCLE_1) | instskip(SKIP_4) | instid1(VALU_DEP_1)
	s_min_u32 s1, s1, 32
	v_readfirstlane_b32 s10, v0
	s_sub_i32 s12, s1, 28
	s_sub_i32 s1, 29, s1
	s_lshl_b32 s12, s7, s12
	s_and_b32 s10, s10, 15
	s_and_b32 s12, s12, 7
	s_cmp_eq_u32 s10, 0
	s_cselect_b32 s1, s1, s10
	s_cselect_b32 s0, s12, s0
	s_lshl_b32 s1, s1, 23
	s_and_b32 s10, s11, 0x80000000
	s_add_i32 s1, s1, 0x3b800000
	s_lshl_b32 s0, s0, 20
	s_or_b32 s1, s10, s1
	s_delay_alu instid0(SALU_CYCLE_1) | instskip(NEXT) | instid1(SALU_CYCLE_1)
	s_or_b32 s0, s1, s0
	v_trunc_f32_e32 v0, s0
	s_delay_alu instid0(VALU_DEP_1) | instskip(NEXT) | instid1(VALU_DEP_1)
	v_mul_f32_e32 v1, 0x2f800000, v0
	v_floor_f32_e32 v1, v1
	s_delay_alu instid0(VALU_DEP_1) | instskip(SKIP_1) | instid1(VALU_DEP_2)
	v_fmamk_f32 v0, v1, 0xcf800000, v0
	v_cvt_u32_f32_e32 v1, v1
	v_cvt_u32_f32_e32 v0, v0
.LBB142_957:
	s_mov_b32 s0, 0
	s_mov_b32 s1, -1
	global_store_b64 v[4:5], v[0:1], off
.LBB142_958:
	s_mov_b32 s10, 0
.LBB142_959:
	s_delay_alu instid0(SALU_CYCLE_1)
	s_and_b32 vcc_lo, exec_lo, s10
	s_cbranch_vccz .LBB142_983
; %bb.960:
	v_cmp_gt_i16_e32 vcc_lo, 27, v12
	s_mov_b32 s1, -1
	s_cbranch_vccnz .LBB142_980
; %bb.961:
	v_cmp_lt_i16_e32 vcc_lo, 27, v12
	s_cbranch_vccz .LBB142_970
; %bb.962:
	v_and_b32_e64 v0, 0xff, s7
	s_delay_alu instid0(VALU_DEP_1)
	v_cmp_gt_i16_e32 vcc_lo, 0x80, v0
	s_cbranch_vccnz .LBB142_964
; %bb.963:
	v_cmp_ne_u16_e64 s1, 0x80, v0
	s_mov_b32 s11, 0
	s_mov_b32 s10, 0
	s_branch .LBB142_965
.LBB142_964:
	s_mov_b32 s11, -1
	s_mov_b32 s1, 0
                                        ; implicit-def: $sgpr10
.LBB142_965:
	s_and_not1_b32 vcc_lo, exec_lo, s11
	s_cbranch_vccnz .LBB142_967
; %bb.966:
	v_cmp_ne_u16_e64 s1, 0, v0
	s_mov_b32 s10, 0
.LBB142_967:
	s_delay_alu instid0(SALU_CYCLE_1) | instskip(NEXT) | instid1(VALU_DEP_2)
	v_mov_b32_e32 v0, s10
	s_and_not1_b32 vcc_lo, exec_lo, s1
	s_cbranch_vccnz .LBB142_969
; %bb.968:
	v_lshrrev_b16 v0, 3, s7
	s_and_b32 s1, s7, 7
	s_lshl_b32 s13, s7, 24
	s_clz_i32_u32 s10, s1
	s_delay_alu instid0(SALU_CYCLE_1) | instskip(SKIP_4) | instid1(VALU_DEP_1)
	s_min_u32 s10, s10, 32
	v_readfirstlane_b32 s11, v0
	s_sub_i32 s12, s10, 28
	s_sub_i32 s10, 29, s10
	s_lshl_b32 s12, s7, s12
	s_and_b32 s11, s11, 15
	s_and_b32 s12, s12, 7
	s_cmp_eq_u32 s11, 0
	s_cselect_b32 s10, s10, s11
	s_cselect_b32 s1, s12, s1
	s_lshl_b32 s10, s10, 23
	s_and_b32 s11, s13, 0x80000000
	s_add_i32 s10, s10, 0x3b800000
	s_lshl_b32 s1, s1, 20
	s_or_b32 s10, s11, s10
	s_delay_alu instid0(SALU_CYCLE_1) | instskip(NEXT) | instid1(SALU_CYCLE_1)
	s_or_b32 s1, s10, s1
	v_cvt_u32_f32_e32 v0, s1
.LBB142_969:
	s_mov_b32 s1, 0
	global_store_b32 v[4:5], v0, off
.LBB142_970:
	s_and_b32 vcc_lo, exec_lo, s1
	s_cbranch_vccz .LBB142_979
; %bb.971:
	v_and_b32_e64 v0, 0xff, s7
	s_delay_alu instid0(VALU_DEP_1)
	v_cmp_gt_i16_e32 vcc_lo, 0x80, v0
	s_cbranch_vccnz .LBB142_973
; %bb.972:
	v_cmp_ne_u16_e64 s1, 0x80, v0
	s_mov_b32 s11, 0
	s_mov_b32 s10, 0
	s_branch .LBB142_974
.LBB142_973:
	s_mov_b32 s11, -1
	s_mov_b32 s1, 0
                                        ; implicit-def: $sgpr10
.LBB142_974:
	s_and_not1_b32 vcc_lo, exec_lo, s11
	s_cbranch_vccnz .LBB142_976
; %bb.975:
	v_cmp_ne_u16_e64 s1, 0, v0
	s_mov_b32 s10, 0
.LBB142_976:
	s_delay_alu instid0(SALU_CYCLE_1) | instskip(NEXT) | instid1(VALU_DEP_2)
	v_mov_b32_e32 v0, s10
	s_and_not1_b32 vcc_lo, exec_lo, s1
	s_cbranch_vccnz .LBB142_978
; %bb.977:
	v_lshrrev_b16 v0, 3, s7
	s_and_b32 s1, s7, 7
	s_lshl_b32 s13, s7, 24
	s_clz_i32_u32 s10, s1
	s_delay_alu instid0(SALU_CYCLE_1) | instskip(SKIP_4) | instid1(VALU_DEP_1)
	s_min_u32 s10, s10, 32
	v_readfirstlane_b32 s11, v0
	s_sub_i32 s12, s10, 28
	s_sub_i32 s10, 29, s10
	s_lshl_b32 s12, s7, s12
	s_and_b32 s11, s11, 15
	s_and_b32 s12, s12, 7
	s_cmp_eq_u32 s11, 0
	s_cselect_b32 s10, s10, s11
	s_cselect_b32 s1, s12, s1
	s_lshl_b32 s10, s10, 23
	s_and_b32 s11, s13, 0x80000000
	s_add_i32 s10, s10, 0x3b800000
	s_lshl_b32 s1, s1, 20
	s_or_b32 s10, s11, s10
	s_delay_alu instid0(SALU_CYCLE_1) | instskip(NEXT) | instid1(SALU_CYCLE_1)
	s_or_b32 s1, s10, s1
	v_cvt_u32_f32_e32 v0, s1
.LBB142_978:
	global_store_b16 v[4:5], v0, off
.LBB142_979:
	s_mov_b32 s1, 0
.LBB142_980:
	s_delay_alu instid0(SALU_CYCLE_1)
	s_and_not1_b32 vcc_lo, exec_lo, s1
	s_cbranch_vccnz .LBB142_982
; %bb.981:
	v_mov_b32_e32 v0, s7
	global_store_b8 v[4:5], v0, off
.LBB142_982:
	s_mov_b32 s1, -1
.LBB142_983:
	s_mov_b32 s10, 0
.LBB142_984:
	s_delay_alu instid0(SALU_CYCLE_1)
	s_and_b32 vcc_lo, exec_lo, s10
	s_cbranch_vccz .LBB142_1070
; %bb.985:
	v_cmp_lt_i16_e32 vcc_lo, 22, v12
	s_mov_b32 s9, -1
	s_cbranch_vccz .LBB142_1053
; %bb.986:
	v_cmp_gt_i16_e32 vcc_lo, 24, v12
	s_mov_b32 s1, -1
	s_cbranch_vccnz .LBB142_1030
; %bb.987:
	v_cmp_lt_i16_e32 vcc_lo, 24, v12
	s_cbranch_vccz .LBB142_1007
; %bb.988:
	v_and_b32_e64 v0, 0xff, s7
	s_delay_alu instid0(VALU_DEP_1)
	v_cmp_gt_i16_e32 vcc_lo, 0x80, v0
	s_cbranch_vccnz .LBB142_991
; %bb.989:
	v_cmp_eq_u16_e32 vcc_lo, 0x80, v0
	s_cbranch_vccz .LBB142_992
; %bb.990:
	s_mov_b32 s9, 0
	s_mov_b32 s1, 0x7f800001
	s_branch .LBB142_993
.LBB142_991:
	s_mov_b32 s10, -1
	s_mov_b32 s9, 0
                                        ; implicit-def: $sgpr1
	s_branch .LBB142_994
.LBB142_992:
                                        ; implicit-def: $sgpr1
.LBB142_993:
	s_mov_b32 s10, 0
.LBB142_994:
	s_delay_alu instid0(SALU_CYCLE_1)
	s_and_b32 vcc_lo, exec_lo, s10
	s_cbranch_vccz .LBB142_997
; %bb.995:
	v_cmp_ne_u16_e64 s9, 0, v0
	s_mov_b32 s1, 0
	s_delay_alu instid0(VALU_DEP_1)
	s_and_not1_b32 vcc_lo, exec_lo, s9
	s_cbranch_vccz .LBB142_998
.LBB142_996:
	v_mov_b32_e32 v1, 0x80
	s_and_b32 s9, s1, 0x7fffffff
	s_delay_alu instid0(SALU_CYCLE_1)
	s_cmp_gt_u32 s9, 0x477fffff
	s_cbranch_scc0 .LBB142_999
	s_branch .LBB142_1006
.LBB142_997:
	s_and_not1_b32 vcc_lo, exec_lo, s9
	s_cbranch_vccnz .LBB142_996
.LBB142_998:
	v_lshrrev_b16 v0, 3, s7
	s_and_b32 s1, s7, 7
	s_lshl_b32 s12, s7, 24
	s_clz_i32_u32 s9, s1
	s_delay_alu instid0(SALU_CYCLE_1) | instskip(SKIP_4) | instid1(VALU_DEP_1)
	s_min_u32 s9, s9, 32
	v_readfirstlane_b32 s10, v0
	s_sub_i32 s11, s9, 28
	s_sub_i32 s9, 29, s9
	s_lshl_b32 s11, s7, s11
	s_and_b32 s10, s10, 15
	s_and_b32 s11, s11, 7
	s_cmp_eq_u32 s10, 0
	s_cselect_b32 s9, s9, s10
	s_cselect_b32 s1, s11, s1
	s_lshl_b32 s9, s9, 23
	s_and_b32 s10, s12, 0x80000000
	s_add_i32 s9, s9, 0x3b800000
	s_lshl_b32 s1, s1, 20
	s_or_b32 s9, s10, s9
	s_delay_alu instid0(SALU_CYCLE_1) | instskip(SKIP_2) | instid1(SALU_CYCLE_1)
	s_or_b32 s1, s9, s1
	v_mov_b32_e32 v1, 0x80
	s_and_b32 s9, s1, 0x7fffffff
	s_cmp_gt_u32 s9, 0x477fffff
	s_cbranch_scc1 .LBB142_1006
.LBB142_999:
	s_cmp_gt_u32 s9, 0x37ffffff
	s_cbranch_scc0 .LBB142_1001
; %bb.1000:
	s_bfe_u32 s9, s1, 0x10015
	s_mov_b32 s10, 0
	s_add_i32 s9, s1, s9
	s_delay_alu instid0(SALU_CYCLE_1) | instskip(NEXT) | instid1(SALU_CYCLE_1)
	s_add_i32 s9, s9, 0x88fffff
	s_lshr_b32 s11, s9, 21
	s_mov_b32 s9, -1
	s_branch .LBB142_1002
.LBB142_1001:
	s_mov_b32 s10, -1
	s_mov_b32 s9, 0
                                        ; implicit-def: $sgpr11
.LBB142_1002:
	v_mov_b32_e32 v0, s11
	s_and_not1_b32 vcc_lo, exec_lo, s10
                                        ; implicit-def: $sgpr10
	s_cbranch_vccnz .LBB142_1004
; %bb.1003:
	v_add_f32_e64 v0, 0x42800000, |s1|
	s_mov_b32 s10, 0
	s_delay_alu instid0(VALU_DEP_1) | instskip(NEXT) | instid1(VALU_DEP_1)
	v_and_b32_e32 v0, 0xff, v0
	v_cmp_ne_u32_e64 s9, 0, v0
.LBB142_1004:
	v_mov_b32_e32 v1, s10
	s_delay_alu instid0(VALU_DEP_2)
	s_and_not1_b32 vcc_lo, exec_lo, s9
	s_cbranch_vccnz .LBB142_1006
; %bb.1005:
	s_lshr_b32 s1, s1, 24
	s_delay_alu instid0(SALU_CYCLE_1) | instskip(NEXT) | instid1(SALU_CYCLE_1)
	s_and_b32 s1, s1, 0x80
	v_or_b32_e32 v1, s1, v0
.LBB142_1006:
	s_mov_b32 s1, 0
	global_store_b8 v[4:5], v1, off
.LBB142_1007:
	s_and_b32 vcc_lo, exec_lo, s1
	s_cbranch_vccz .LBB142_1029
; %bb.1008:
	v_and_b32_e64 v0, 0xff, s7
	s_delay_alu instid0(VALU_DEP_1)
	v_cmp_gt_i16_e32 vcc_lo, 0x80, v0
	s_cbranch_vccnz .LBB142_1011
; %bb.1009:
	v_cmp_eq_u16_e32 vcc_lo, 0x80, v0
	s_cbranch_vccz .LBB142_1012
; %bb.1010:
	s_mov_b32 s9, 0
	s_mov_b32 s1, 0x7f800001
	s_branch .LBB142_1013
.LBB142_1011:
	s_mov_b32 s10, -1
	s_mov_b32 s9, 0
                                        ; implicit-def: $sgpr1
	s_branch .LBB142_1014
.LBB142_1012:
	s_mov_b32 s9, -1
                                        ; implicit-def: $sgpr1
.LBB142_1013:
	s_mov_b32 s10, 0
.LBB142_1014:
	s_delay_alu instid0(SALU_CYCLE_1)
	s_and_b32 vcc_lo, exec_lo, s10
	s_cbranch_vccz .LBB142_1019
; %bb.1015:
	v_cmp_ne_u16_e64 s9, 0, v0
	s_mov_b32 s1, 0
	s_delay_alu instid0(VALU_DEP_1)
	s_and_not1_b32 vcc_lo, exec_lo, s9
	s_cbranch_vccz .LBB142_1020
.LBB142_1016:
	s_and_b32 s9, s1, 0x7fffffff
	s_delay_alu instid0(SALU_CYCLE_1)
	s_cmp_lt_u32 s9, 0x43f00000
	s_cbranch_scc0 .LBB142_1021
.LBB142_1017:
	s_cmp_gt_u32 s9, 0x3c7fffff
	s_cbranch_scc0 .LBB142_1022
; %bb.1018:
	s_bfe_u32 s10, s1, 0x10014
	s_delay_alu instid0(SALU_CYCLE_1) | instskip(NEXT) | instid1(SALU_CYCLE_1)
	s_add_i32 s10, s1, s10
	s_add_i32 s10, s10, 0x407ffff
	s_delay_alu instid0(SALU_CYCLE_1)
	s_and_b32 s11, s10, 0xff00000
	s_lshr_b32 s10, s10, 20
	s_cmp_lg_u32 s11, 0x7f00000
	s_cselect_b32 s11, s10, 0x7e
	s_mov_b32 s10, 0
	s_branch .LBB142_1023
.LBB142_1019:
	s_and_not1_b32 vcc_lo, exec_lo, s9
	s_cbranch_vccnz .LBB142_1016
.LBB142_1020:
	v_lshrrev_b16 v0, 3, s7
	s_and_b32 s1, s7, 7
	s_lshl_b32 s12, s7, 24
	s_clz_i32_u32 s9, s1
	s_delay_alu instid0(SALU_CYCLE_1) | instskip(SKIP_4) | instid1(VALU_DEP_1)
	s_min_u32 s9, s9, 32
	v_readfirstlane_b32 s10, v0
	s_sub_i32 s11, s9, 28
	s_sub_i32 s9, 29, s9
	s_lshl_b32 s11, s7, s11
	s_and_b32 s10, s10, 15
	s_and_b32 s11, s11, 7
	s_cmp_eq_u32 s10, 0
	s_cselect_b32 s9, s9, s10
	s_cselect_b32 s1, s11, s1
	s_lshl_b32 s9, s9, 23
	s_and_b32 s10, s12, 0x80000000
	s_add_i32 s9, s9, 0x3b800000
	s_lshl_b32 s1, s1, 20
	s_or_b32 s9, s10, s9
	s_delay_alu instid0(SALU_CYCLE_1) | instskip(NEXT) | instid1(SALU_CYCLE_1)
	s_or_b32 s1, s9, s1
	s_and_b32 s9, s1, 0x7fffffff
	s_delay_alu instid0(SALU_CYCLE_1)
	s_cmp_lt_u32 s9, 0x43f00000
	s_cbranch_scc1 .LBB142_1017
.LBB142_1021:
	s_mov_b32 s10, -1
                                        ; implicit-def: $vgpr0
	s_branch .LBB142_1026
.LBB142_1022:
	s_mov_b32 s10, -1
                                        ; implicit-def: $sgpr11
.LBB142_1023:
	v_mov_b32_e32 v0, s11
	s_and_not1_b32 vcc_lo, exec_lo, s10
	s_cbranch_vccnz .LBB142_1025
; %bb.1024:
	v_add_f32_e64 v0, 0x46800000, |s1|
.LBB142_1025:
	s_mov_b32 s10, 0
.LBB142_1026:
	s_delay_alu instid0(SALU_CYCLE_1)
	s_and_not1_b32 vcc_lo, exec_lo, s10
	s_cbranch_vccnz .LBB142_1028
; %bb.1027:
	s_cmp_gt_u32 s9, 0x7f800000
	s_movk_i32 s9, 0x7f
	s_delay_alu instid0(SALU_CYCLE_1) | instskip(NEXT) | instid1(SALU_CYCLE_1)
	s_cselect_b32 s9, s9, 0x7e
	v_mov_b32_e32 v0, s9
.LBB142_1028:
	s_lshr_b32 s1, s1, 24
	s_delay_alu instid0(SALU_CYCLE_1)
	s_and_b32 s1, s1, 0x80
	s_delay_alu instid0(VALU_DEP_1) | instid1(SALU_CYCLE_1)
	v_or_b32_e32 v0, s1, v0
	global_store_b8 v[4:5], v0, off
.LBB142_1029:
	s_mov_b32 s1, 0
.LBB142_1030:
	s_delay_alu instid0(SALU_CYCLE_1)
	s_and_not1_b32 vcc_lo, exec_lo, s1
	s_cbranch_vccnz .LBB142_1052
; %bb.1031:
	v_and_b32_e64 v0, 0xff, s7
	s_delay_alu instid0(VALU_DEP_1)
	v_cmp_gt_i16_e32 vcc_lo, 0x80, v0
	s_cbranch_vccnz .LBB142_1034
; %bb.1032:
	v_cmp_eq_u16_e32 vcc_lo, 0x80, v0
	s_cbranch_vccz .LBB142_1035
; %bb.1033:
	s_mov_b32 s9, 0
	s_mov_b32 s1, 0x7f800001
	s_branch .LBB142_1036
.LBB142_1034:
	s_mov_b32 s10, -1
	s_mov_b32 s9, 0
                                        ; implicit-def: $sgpr1
	s_branch .LBB142_1037
.LBB142_1035:
	s_mov_b32 s9, -1
                                        ; implicit-def: $sgpr1
.LBB142_1036:
	s_mov_b32 s10, 0
.LBB142_1037:
	s_delay_alu instid0(SALU_CYCLE_1)
	s_and_b32 vcc_lo, exec_lo, s10
	s_cbranch_vccz .LBB142_1042
; %bb.1038:
	v_cmp_ne_u16_e64 s9, 0, v0
	s_mov_b32 s1, 0
	s_delay_alu instid0(VALU_DEP_1)
	s_and_not1_b32 vcc_lo, exec_lo, s9
	s_cbranch_vccz .LBB142_1043
.LBB142_1039:
	s_and_b32 s9, s1, 0x7fffffff
	s_delay_alu instid0(SALU_CYCLE_1)
	s_cmp_lt_u32 s9, 0x47800000
	s_cbranch_scc0 .LBB142_1044
.LBB142_1040:
	s_cmp_gt_u32 s9, 0x387fffff
	s_cbranch_scc0 .LBB142_1045
; %bb.1041:
	s_bfe_u32 s10, s1, 0x10015
	s_delay_alu instid0(SALU_CYCLE_1) | instskip(NEXT) | instid1(SALU_CYCLE_1)
	s_add_i32 s10, s1, s10
	s_add_i32 s10, s10, 0x80fffff
	s_delay_alu instid0(SALU_CYCLE_1)
	s_lshr_b32 s11, s10, 21
	s_mov_b32 s10, 0
	s_branch .LBB142_1046
.LBB142_1042:
	s_and_not1_b32 vcc_lo, exec_lo, s9
	s_cbranch_vccnz .LBB142_1039
.LBB142_1043:
	v_lshrrev_b16 v0, 3, s7
	s_and_b32 s1, s7, 7
	s_lshl_b32 s12, s7, 24
	s_clz_i32_u32 s9, s1
	s_delay_alu instid0(SALU_CYCLE_1) | instskip(SKIP_4) | instid1(VALU_DEP_1)
	s_min_u32 s9, s9, 32
	v_readfirstlane_b32 s10, v0
	s_sub_i32 s11, s9, 28
	s_sub_i32 s9, 29, s9
	s_lshl_b32 s11, s7, s11
	s_and_b32 s10, s10, 15
	s_and_b32 s11, s11, 7
	s_cmp_eq_u32 s10, 0
	s_cselect_b32 s9, s9, s10
	s_cselect_b32 s1, s11, s1
	s_lshl_b32 s9, s9, 23
	s_and_b32 s10, s12, 0x80000000
	s_add_i32 s9, s9, 0x3b800000
	s_lshl_b32 s1, s1, 20
	s_or_b32 s9, s10, s9
	s_delay_alu instid0(SALU_CYCLE_1) | instskip(NEXT) | instid1(SALU_CYCLE_1)
	s_or_b32 s1, s9, s1
	s_and_b32 s9, s1, 0x7fffffff
	s_delay_alu instid0(SALU_CYCLE_1)
	s_cmp_lt_u32 s9, 0x47800000
	s_cbranch_scc1 .LBB142_1040
.LBB142_1044:
	s_mov_b32 s10, -1
                                        ; implicit-def: $vgpr0
	s_branch .LBB142_1049
.LBB142_1045:
	s_mov_b32 s10, -1
                                        ; implicit-def: $sgpr11
.LBB142_1046:
	v_mov_b32_e32 v0, s11
	s_and_not1_b32 vcc_lo, exec_lo, s10
	s_cbranch_vccnz .LBB142_1048
; %bb.1047:
	v_add_f32_e64 v0, 0x43000000, |s1|
.LBB142_1048:
	s_mov_b32 s10, 0
.LBB142_1049:
	s_delay_alu instid0(SALU_CYCLE_1)
	s_and_not1_b32 vcc_lo, exec_lo, s10
	s_cbranch_vccnz .LBB142_1051
; %bb.1050:
	s_cmp_gt_u32 s9, 0x7f800000
	s_movk_i32 s9, 0x7f
	s_delay_alu instid0(SALU_CYCLE_1) | instskip(NEXT) | instid1(SALU_CYCLE_1)
	s_cselect_b32 s9, s9, 0x7c
	v_mov_b32_e32 v0, s9
.LBB142_1051:
	s_lshr_b32 s1, s1, 24
	s_delay_alu instid0(SALU_CYCLE_1)
	s_and_b32 s1, s1, 0x80
	s_delay_alu instid0(VALU_DEP_1) | instid1(SALU_CYCLE_1)
	v_or_b32_e32 v0, s1, v0
	global_store_b8 v[4:5], v0, off
.LBB142_1052:
	s_mov_b32 s9, 0
	s_mov_b32 s1, -1
.LBB142_1053:
	s_and_not1_b32 vcc_lo, exec_lo, s9
	s_mov_b32 s9, 0
	s_cbranch_vccnz .LBB142_1070
; %bb.1054:
	v_cmp_lt_i16_e32 vcc_lo, 14, v12
	s_mov_b32 s9, -1
	s_cbranch_vccz .LBB142_1068
; %bb.1055:
	v_cmp_eq_u16_e32 vcc_lo, 15, v12
	s_mov_b32 s0, -1
	s_cbranch_vccz .LBB142_1067
; %bb.1056:
	v_and_b32_e64 v0, 0xff, s7
	s_delay_alu instid0(VALU_DEP_1)
	v_cmp_gt_i16_e32 vcc_lo, 0x80, v0
	s_cbranch_vccnz .LBB142_1059
; %bb.1057:
	v_cmp_eq_u16_e32 vcc_lo, 0x80, v0
	s_cbranch_vccz .LBB142_1060
; %bb.1058:
	s_mov_b32 s1, 0
	s_mov_b32 s0, 0x7f800001
	s_branch .LBB142_1061
.LBB142_1059:
	s_mov_b32 s1, 0
                                        ; implicit-def: $sgpr0
	s_branch .LBB142_1062
.LBB142_1060:
	s_mov_b32 s1, -1
                                        ; implicit-def: $sgpr0
.LBB142_1061:
	s_mov_b32 s9, 0
.LBB142_1062:
	s_delay_alu instid0(SALU_CYCLE_1)
	s_and_b32 vcc_lo, exec_lo, s9
	s_cbranch_vccz .LBB142_1064
; %bb.1063:
	v_cmp_ne_u16_e64 s1, 0, v0
	s_mov_b32 s0, 0
.LBB142_1064:
	s_delay_alu instid0(VALU_DEP_1)
	s_and_not1_b32 vcc_lo, exec_lo, s1
	s_cbranch_vccnz .LBB142_1066
; %bb.1065:
	v_lshrrev_b16 v0, 3, s7
	s_and_b32 s0, s7, 7
	s_lshl_b32 s11, s7, 24
	s_clz_i32_u32 s1, s0
	s_delay_alu instid0(SALU_CYCLE_1) | instskip(SKIP_4) | instid1(VALU_DEP_1)
	s_min_u32 s1, s1, 32
	v_readfirstlane_b32 s9, v0
	s_sub_i32 s10, s1, 28
	s_sub_i32 s1, 29, s1
	s_lshl_b32 s10, s7, s10
	s_and_b32 s9, s9, 15
	s_and_b32 s10, s10, 7
	s_cmp_eq_u32 s9, 0
	s_cselect_b32 s1, s1, s9
	s_cselect_b32 s0, s10, s0
	s_lshl_b32 s1, s1, 23
	s_and_b32 s9, s11, 0x80000000
	s_add_i32 s1, s1, 0x3b800000
	s_lshl_b32 s0, s0, 20
	s_or_b32 s1, s9, s1
	s_delay_alu instid0(SALU_CYCLE_1)
	s_or_b32 s0, s1, s0
.LBB142_1066:
	s_delay_alu instid0(SALU_CYCLE_1) | instskip(NEXT) | instid1(SALU_CYCLE_1)
	s_bfe_u32 s1, s0, 0x10010
	s_add_i32 s1, s0, s1
	v_cmp_o_f32_e64 s0, s0, s0
	s_addk_i32 s1, 0x7fff
	s_delay_alu instid0(SALU_CYCLE_1) | instskip(NEXT) | instid1(VALU_DEP_1)
	s_lshr_b32 s1, s1, 16
	s_and_b32 s0, s0, exec_lo
	s_cselect_b32 s0, s1, 0x7fc0
	s_mov_b32 s1, -1
	v_mov_b32_e32 v0, s0
	s_mov_b32 s0, 0
	global_store_b16 v[4:5], v0, off
.LBB142_1067:
	s_mov_b32 s9, 0
.LBB142_1068:
	s_delay_alu instid0(SALU_CYCLE_1)
	s_and_b32 vcc_lo, exec_lo, s9
	s_mov_b32 s9, 0
	s_cbranch_vccz .LBB142_1070
; %bb.1069:
	v_cmp_ne_u16_e64 s0, 11, v12
	s_mov_b32 s9, -1
.LBB142_1070:
	s_delay_alu instid0(VALU_DEP_1)
	s_and_b32 vcc_lo, exec_lo, s0
	s_cbranch_vccnz .LBB142_1083
; %bb.1071:
	s_and_not1_b32 vcc_lo, exec_lo, s9
	s_cbranch_vccnz .LBB142_1085
.LBB142_1072:
	v_and_b32_e64 v0, 0xff, s7
	s_delay_alu instid0(VALU_DEP_1)
	v_cmp_gt_i16_e32 vcc_lo, 0x80, v0
	s_cbranch_vccnz .LBB142_1075
; %bb.1073:
	v_cmp_eq_u16_e32 vcc_lo, 0x80, v0
	s_cbranch_vccz .LBB142_1076
; %bb.1074:
	s_mov_b32 s1, 0
	s_mov_b32 s0, -1
	s_branch .LBB142_1077
.LBB142_1075:
	s_mov_b32 s9, -1
	s_mov_b32 s1, 0
                                        ; implicit-def: $sgpr0
	s_branch .LBB142_1078
.LBB142_1076:
	s_mov_b32 s1, -1
                                        ; implicit-def: $sgpr0
.LBB142_1077:
	s_mov_b32 s9, 0
.LBB142_1078:
	s_delay_alu instid0(SALU_CYCLE_1)
	s_and_b32 vcc_lo, exec_lo, s9
	s_cbranch_vccz .LBB142_1080
; %bb.1079:
	v_cmp_ne_u16_e64 s1, 0, v0
	s_mov_b32 s0, 0
.LBB142_1080:
	s_delay_alu instid0(VALU_DEP_1)
	s_and_not1_b32 vcc_lo, exec_lo, s1
	s_cbranch_vccnz .LBB142_1082
; %bb.1081:
	v_lshrrev_b16 v0, 3, s7
	s_and_b32 s0, s7, 7
	s_delay_alu instid0(SALU_CYCLE_1) | instskip(NEXT) | instid1(SALU_CYCLE_1)
	s_clz_i32_u32 s1, s0
	s_min_u32 s1, s1, 32
	s_delay_alu instid0(VALU_DEP_1) | instskip(SKIP_3) | instid1(VALU_DEP_1)
	v_readfirstlane_b32 s9, v0
	s_sub_i32 s10, s1, 28
	s_sub_i32 s1, 29, s1
	s_lshl_b32 s10, s7, s10
	s_and_b32 s9, s9, 15
	s_and_b32 s10, s10, 7
	s_cmp_eq_u32 s9, 0
	s_cselect_b32 s1, s1, s9
	s_cselect_b32 s0, s10, s0
	s_lshl_b32 s1, s1, 23
	s_lshl_b32 s0, s0, 20
	s_add_i32 s1, s1, 0x3b800000
	s_delay_alu instid0(SALU_CYCLE_1) | instskip(NEXT) | instid1(SALU_CYCLE_1)
	s_and_b32 s1, s1, 0x7f800000
	s_or_b32 s0, s1, s0
	s_delay_alu instid0(SALU_CYCLE_1)
	s_cmp_lg_u32 s0, 0
	s_cselect_b32 s0, -1, 0
.LBB142_1082:
	s_delay_alu instid0(SALU_CYCLE_1)
	v_cndmask_b32_e64 v0, 0, 1, s0
	s_mov_b32 s1, -1
	global_store_b8 v[4:5], v0, off
	s_branch .LBB142_1086
.LBB142_1083:
	s_cbranch_execnz .LBB142_1097
; %bb.1084:
	s_or_b32 s8, s8, exec_lo
	s_cbranch_execz .LBB142_1072
.LBB142_1085:
.LBB142_1086:
	s_and_not1_b32 vcc_lo, exec_lo, s1
	s_cbranch_vccnz .LBB142_1716
.LBB142_1087:
	v_add_nc_u32_e32 v6, s6, v6
	v_cmp_gt_i16_e32 vcc_lo, 11, v12
	s_delay_alu instid0(VALU_DEP_2) | instskip(SKIP_1) | instid1(VALU_DEP_1)
	v_ashrrev_i32_e32 v0, 31, v6
	v_add_co_u32 v4, s0, s4, v6
	v_add_co_ci_u32_e64 v5, s0, s5, v0, s0
	s_cbranch_vccnz .LBB142_1096
; %bb.1088:
	v_cmp_lt_i16_e32 vcc_lo, 25, v12
	s_mov_b32 s10, -1
	s_mov_b32 s9, 0
	s_mov_b32 s1, 0
	;; [unrolled: 1-line block ×3, first 2 shown]
	s_cbranch_vccz .LBB142_1468
; %bb.1089:
	v_cmp_lt_i16_e32 vcc_lo, 28, v12
	s_cbranch_vccz .LBB142_1443
; %bb.1090:
	v_cmp_lt_i16_e32 vcc_lo, 43, v12
	;; [unrolled: 3-line block ×3, first 2 shown]
	s_cbranch_vccz .LBB142_1416
; %bb.1092:
	v_cmp_eq_u16_e32 vcc_lo, 46, v12
	s_mov_b32 s0, -1
	s_mov_b32 s10, 0
	s_cbranch_vccz .LBB142_1416
; %bb.1093:
	v_and_b32_e64 v0, 0xff, s7
	s_delay_alu instid0(VALU_DEP_1)
	v_cmp_gt_i16_e32 vcc_lo, 0x80, v0
	s_cbranch_vccnz .LBB142_1099
; %bb.1094:
	v_cmp_eq_u16_e32 vcc_lo, 0x80, v0
	s_cbranch_vccz .LBB142_1409
; %bb.1095:
	s_mov_b32 s0, 0x7f800001
	s_branch .LBB142_1410
.LBB142_1096:
	s_mov_b32 s0, -1
	s_mov_b32 s1, 0
	s_branch .LBB142_1570
.LBB142_1097:
	s_trap 2
	s_sendmsg_rtn_b32 s0, sendmsg(MSG_RTN_GET_DOORBELL)
	s_mov_b32 ttmp2, m0
	s_waitcnt lgkmcnt(0)
	s_and_b32 s0, s0, 0x3ff
	s_delay_alu instid0(SALU_CYCLE_1) | instskip(NEXT) | instid1(SALU_CYCLE_1)
	s_bitset1_b32 s0, 10
	s_mov_b32 m0, s0
	s_sendmsg sendmsg(MSG_INTERRUPT)
	s_mov_b32 m0, ttmp2
.LBB142_1098:                           ; =>This Inner Loop Header: Depth=1
	s_sethalt 5
	s_branch .LBB142_1098
.LBB142_1099:
	s_mov_b32 s11, -1
                                        ; implicit-def: $sgpr0
	s_branch .LBB142_1411
.LBB142_1100:
                                        ; implicit-def: $sgpr0
.LBB142_1101:
	s_mov_b32 s16, 0
.LBB142_1102:
	s_delay_alu instid0(SALU_CYCLE_1)
	s_and_b32 vcc_lo, exec_lo, s16
	s_cbranch_vccz .LBB142_1104
; %bb.1103:
	v_cmp_ne_u16_e64 s14, 0, v0
	s_mov_b32 s0, 0
.LBB142_1104:
	s_delay_alu instid0(VALU_DEP_1)
	s_and_not1_b32 vcc_lo, exec_lo, s14
	s_cbranch_vccnz .LBB142_1106
; %bb.1105:
	s_mov_b32 s0, s2
.LBB142_1106:
	s_delay_alu instid0(SALU_CYCLE_1) | instskip(NEXT) | instid1(SALU_CYCLE_1)
	s_bfe_u32 s14, s0, 0x10010
	s_add_i32 s14, s0, s14
	v_cmp_o_f32_e64 s0, s0, s0
	s_addk_i32 s14, 0x7fff
	s_delay_alu instid0(SALU_CYCLE_1) | instskip(NEXT) | instid1(VALU_DEP_1)
	s_lshr_b32 s14, s14, 16
	s_and_b32 s0, s0, exec_lo
	s_cselect_b32 s0, s14, 0x7fc0
	s_mov_b32 s14, 0
	v_mov_b32_e32 v0, s0
	s_mov_b32 s0, -1
	global_store_b32 v[10:11], v0, off
.LBB142_1107:
	s_and_b32 vcc_lo, exec_lo, s1
	s_cbranch_vccz .LBB142_1120
; %bb.1108:
	v_cmp_eq_u16_e32 vcc_lo, 44, v12
	s_mov_b32 s14, -1
	s_cbranch_vccz .LBB142_1120
; %bb.1109:
	v_and_b32_e64 v0, 0xff, s7
	s_delay_alu instid0(VALU_DEP_1)
	v_cmp_gt_i16_e32 vcc_lo, 0x80, v0
	v_readfirstlane_b32 s1, v0
	s_cbranch_vccnz .LBB142_1112
; %bb.1110:
	s_delay_alu instid0(VALU_DEP_1) | instskip(NEXT) | instid1(VALU_DEP_1)
	v_cmp_eq_u16_e64 s0, 0x80, s1
	s_and_b32 vcc_lo, exec_lo, s0
	s_cbranch_vccz .LBB142_1113
; %bb.1111:
	s_mov_b32 s14, 0
	s_mov_b32 s0, 0x7f800001
	s_branch .LBB142_1114
.LBB142_1112:
	s_mov_b32 s16, -1
	s_mov_b32 s14, 0
                                        ; implicit-def: $sgpr0
	s_branch .LBB142_1115
.LBB142_1113:
                                        ; implicit-def: $sgpr0
.LBB142_1114:
	s_mov_b32 s16, 0
.LBB142_1115:
	s_delay_alu instid0(SALU_CYCLE_1)
	s_and_b32 vcc_lo, exec_lo, s16
	s_cbranch_vccz .LBB142_1125
; %bb.1116:
	v_cmp_ne_u16_e64 s14, s1, 0
	s_and_b32 s0, 0xffff, s1
	s_delay_alu instid0(VALU_DEP_1)
	s_and_not1_b32 vcc_lo, exec_lo, s14
	s_cbranch_vccz .LBB142_1126
.LBB142_1117:
	v_mov_b32_e32 v0, 0xff
	s_bfe_u32 s1, s0, 0x80017
	s_delay_alu instid0(SALU_CYCLE_1)
	s_cmpk_eq_i32 s1, 0xff
	s_cbranch_scc1 .LBB142_1119
.LBB142_1118:
	s_lshr_b32 s14, s0, 23
	s_bitcmp1_b32 s0, 22
	s_cselect_b32 s16, -1, 0
	s_and_b32 s0, s0, 0x3fffff
	s_delay_alu instid0(SALU_CYCLE_1) | instskip(NEXT) | instid1(SALU_CYCLE_1)
	s_or_b32 s0, s1, s0
	s_cmp_lg_u32 s0, 0
	s_cselect_b32 s0, -1, 0
	s_delay_alu instid0(SALU_CYCLE_1) | instskip(NEXT) | instid1(SALU_CYCLE_1)
	s_and_b32 s0, s16, s0
	v_cndmask_b32_e64 v0, 0, 1, s0
	s_delay_alu instid0(VALU_DEP_1)
	v_add_nc_u32_e32 v0, s14, v0
.LBB142_1119:
	s_mov_b32 s0, -1
	s_mov_b32 s14, 0
	global_store_b8 v[10:11], v0, off
.LBB142_1120:
	s_mov_b32 s1, 0
.LBB142_1121:
	s_delay_alu instid0(SALU_CYCLE_1)
	s_and_b32 vcc_lo, exec_lo, s1
	s_cbranch_vccz .LBB142_1133
; %bb.1122:
	v_cmp_eq_u16_e32 vcc_lo, 29, v12
	s_mov_b32 s14, -1
	s_cbranch_vccz .LBB142_1133
; %bb.1123:
	v_and_b32_e64 v0, 0xff, s7
	s_delay_alu instid0(VALU_DEP_1)
	v_cmp_gt_i16_e32 vcc_lo, 0x80, v0
	s_cbranch_vccnz .LBB142_1127
; %bb.1124:
	v_cmp_ne_u16_e64 s14, 0x80, v0
	s_mov_b32 s16, 0
	s_mov_b64 s[0:1], 0
	s_branch .LBB142_1128
.LBB142_1125:
	s_and_not1_b32 vcc_lo, exec_lo, s14
	s_cbranch_vccnz .LBB142_1117
.LBB142_1126:
	s_mov_b32 s0, s10
	v_mov_b32_e32 v0, 0xff
	s_bfe_u32 s1, s0, 0x80017
	s_delay_alu instid0(SALU_CYCLE_1)
	s_cmpk_eq_i32 s1, 0xff
	s_cbranch_scc0 .LBB142_1118
	s_branch .LBB142_1119
.LBB142_1127:
	s_mov_b32 s16, -1
	s_mov_b32 s14, 0
                                        ; implicit-def: $sgpr0_sgpr1
.LBB142_1128:
	s_and_not1_b32 vcc_lo, exec_lo, s16
	s_cbranch_vccnz .LBB142_1130
; %bb.1129:
	v_cmp_ne_u16_e64 s14, 0, v0
	s_mov_b64 s[0:1], 0
.LBB142_1130:
	s_delay_alu instid0(SALU_CYCLE_1) | instskip(NEXT) | instid1(VALU_DEP_2)
	v_dual_mov_b32 v0, s0 :: v_dual_mov_b32 v1, s1
	s_and_not1_b32 vcc_lo, exec_lo, s14
	s_cbranch_vccnz .LBB142_1132
; %bb.1131:
	v_dual_mov_b32 v0, v8 :: v_dual_mov_b32 v1, v9
.LBB142_1132:
	s_mov_b32 s0, -1
	s_mov_b32 s14, 0
	global_store_b64 v[10:11], v[0:1], off
.LBB142_1133:
	s_mov_b32 s1, 0
.LBB142_1134:
	s_delay_alu instid0(SALU_CYCLE_1)
	s_and_b32 vcc_lo, exec_lo, s1
	s_cbranch_vccz .LBB142_1158
; %bb.1135:
	v_cmp_gt_i16_e32 vcc_lo, 27, v12
	s_mov_b32 s0, -1
	s_cbranch_vccnz .LBB142_1155
; %bb.1136:
	v_cmp_lt_i16_e32 vcc_lo, 27, v12
	s_cbranch_vccz .LBB142_1145
; %bb.1137:
	v_and_b32_e64 v0, 0xff, s7
	s_delay_alu instid0(VALU_DEP_1)
	v_cmp_gt_i16_e32 vcc_lo, 0x80, v0
	s_cbranch_vccnz .LBB142_1139
; %bb.1138:
	v_cmp_ne_u16_e64 s0, 0x80, v0
	s_mov_b32 s16, 0
	s_mov_b32 s1, 0
	s_branch .LBB142_1140
.LBB142_1139:
	s_mov_b32 s16, -1
	s_mov_b32 s0, 0
                                        ; implicit-def: $sgpr1
.LBB142_1140:
	s_and_not1_b32 vcc_lo, exec_lo, s16
	s_cbranch_vccnz .LBB142_1142
; %bb.1141:
	v_cmp_ne_u16_e64 s0, 0, v0
	s_mov_b32 s1, 0
.LBB142_1142:
	s_delay_alu instid0(SALU_CYCLE_1) | instskip(NEXT) | instid1(VALU_DEP_2)
	v_mov_b32_e32 v0, s1
	s_and_not1_b32 vcc_lo, exec_lo, s0
	s_cbranch_vccnz .LBB142_1144
; %bb.1143:
	v_mov_b32_e32 v0, v16
.LBB142_1144:
	s_mov_b32 s0, 0
	global_store_b32 v[10:11], v0, off
.LBB142_1145:
	s_and_b32 vcc_lo, exec_lo, s0
	s_cbranch_vccz .LBB142_1154
; %bb.1146:
	v_and_b32_e64 v0, 0xff, s7
	s_delay_alu instid0(VALU_DEP_1)
	v_cmp_gt_i16_e32 vcc_lo, 0x80, v0
	s_cbranch_vccnz .LBB142_1148
; %bb.1147:
	v_cmp_ne_u16_e64 s0, 0x80, v0
	s_mov_b32 s16, 0
	s_mov_b32 s1, 0
	s_branch .LBB142_1149
.LBB142_1148:
	s_mov_b32 s16, -1
	s_mov_b32 s0, 0
                                        ; implicit-def: $sgpr1
.LBB142_1149:
	s_and_not1_b32 vcc_lo, exec_lo, s16
	s_cbranch_vccnz .LBB142_1151
; %bb.1150:
	v_cmp_ne_u16_e64 s0, 0, v0
	s_mov_b32 s1, 0
.LBB142_1151:
	s_delay_alu instid0(SALU_CYCLE_1) | instskip(NEXT) | instid1(VALU_DEP_2)
	v_mov_b32_e32 v0, s1
	s_and_not1_b32 vcc_lo, exec_lo, s0
	s_cbranch_vccnz .LBB142_1153
; %bb.1152:
	v_mov_b32_e32 v0, v16
.LBB142_1153:
	global_store_b16 v[10:11], v0, off
.LBB142_1154:
	s_mov_b32 s0, 0
.LBB142_1155:
	s_delay_alu instid0(SALU_CYCLE_1)
	s_and_not1_b32 vcc_lo, exec_lo, s0
	s_cbranch_vccnz .LBB142_1157
; %bb.1156:
	v_mov_b32_e32 v0, s7
	global_store_b8 v[10:11], v0, off
.LBB142_1157:
	s_mov_b32 s0, -1
.LBB142_1158:
	s_mov_b32 s1, 0
.LBB142_1159:
	s_delay_alu instid0(SALU_CYCLE_1)
	s_and_b32 vcc_lo, exec_lo, s1
	s_cbranch_vccz .LBB142_1256
; %bb.1160:
	v_cmp_lt_i16_e32 vcc_lo, 22, v12
	s_mov_b32 s1, -1
	s_cbranch_vccz .LBB142_1228
; %bb.1161:
	v_cmp_gt_i16_e32 vcc_lo, 24, v12
	s_mov_b32 s0, -1
	s_cbranch_vccnz .LBB142_1205
; %bb.1162:
	v_cmp_lt_i16_e32 vcc_lo, 24, v12
	s_cbranch_vccz .LBB142_1182
; %bb.1163:
	v_and_b32_e64 v0, 0xff, s7
	s_delay_alu instid0(VALU_DEP_1)
	v_cmp_gt_i16_e32 vcc_lo, 0x80, v0
	s_cbranch_vccnz .LBB142_1166
; %bb.1164:
	v_cmp_eq_u16_e32 vcc_lo, 0x80, v0
	s_cbranch_vccz .LBB142_1167
; %bb.1165:
	s_mov_b32 s1, 0
	s_mov_b32 s0, 0x7f800001
	s_branch .LBB142_1168
.LBB142_1166:
	s_mov_b32 s16, -1
	s_mov_b32 s1, 0
                                        ; implicit-def: $sgpr0
	s_branch .LBB142_1169
.LBB142_1167:
                                        ; implicit-def: $sgpr0
.LBB142_1168:
	s_mov_b32 s16, 0
.LBB142_1169:
	s_delay_alu instid0(SALU_CYCLE_1)
	s_and_b32 vcc_lo, exec_lo, s16
	s_cbranch_vccz .LBB142_1172
; %bb.1170:
	v_cmp_ne_u16_e64 s1, 0, v0
	s_mov_b32 s0, 0
	s_delay_alu instid0(VALU_DEP_1)
	s_and_not1_b32 vcc_lo, exec_lo, s1
	s_cbranch_vccz .LBB142_1173
.LBB142_1171:
	v_mov_b32_e32 v1, 0x80
	s_and_b32 s1, s0, 0x7fffffff
	s_delay_alu instid0(SALU_CYCLE_1)
	s_cmp_gt_u32 s1, 0x477fffff
	s_cbranch_scc0 .LBB142_1174
	s_branch .LBB142_1181
.LBB142_1172:
	s_and_not1_b32 vcc_lo, exec_lo, s1
	s_cbranch_vccnz .LBB142_1171
.LBB142_1173:
	s_mov_b32 s0, s2
	v_mov_b32_e32 v1, 0x80
	s_and_b32 s1, s0, 0x7fffffff
	s_delay_alu instid0(SALU_CYCLE_1)
	s_cmp_gt_u32 s1, 0x477fffff
	s_cbranch_scc1 .LBB142_1181
.LBB142_1174:
	s_cmp_lt_u32 s1, 0x38000000
	s_cbranch_scc1 .LBB142_1176
; %bb.1175:
	s_bfe_u32 s1, s0, 0x10015
	s_mov_b32 s16, 0
	s_add_i32 s1, s0, s1
	s_delay_alu instid0(SALU_CYCLE_1) | instskip(NEXT) | instid1(SALU_CYCLE_1)
	s_add_i32 s1, s1, 0x88fffff
	s_lshr_b32 s17, s1, 21
	s_mov_b32 s1, -1
	s_branch .LBB142_1177
.LBB142_1176:
	s_mov_b32 s16, -1
	s_mov_b32 s1, 0
                                        ; implicit-def: $sgpr17
.LBB142_1177:
	v_mov_b32_e32 v0, s17
	s_and_not1_b32 vcc_lo, exec_lo, s16
                                        ; implicit-def: $sgpr16
	s_cbranch_vccnz .LBB142_1179
; %bb.1178:
	v_add_f32_e64 v0, 0x42800000, |s0|
	s_mov_b32 s16, 0
	s_delay_alu instid0(VALU_DEP_1) | instskip(NEXT) | instid1(VALU_DEP_1)
	v_and_b32_e32 v0, 0xff, v0
	v_cmp_ne_u32_e64 s1, 0, v0
.LBB142_1179:
	v_mov_b32_e32 v1, s16
	s_delay_alu instid0(VALU_DEP_2)
	s_and_not1_b32 vcc_lo, exec_lo, s1
	s_cbranch_vccnz .LBB142_1181
; %bb.1180:
	s_lshr_b32 s0, s0, 24
	s_delay_alu instid0(SALU_CYCLE_1) | instskip(NEXT) | instid1(SALU_CYCLE_1)
	s_and_b32 s0, s0, 0x80
	v_or_b32_e32 v1, s0, v0
.LBB142_1181:
	s_mov_b32 s0, 0
	global_store_b8 v[10:11], v1, off
.LBB142_1182:
	s_and_b32 vcc_lo, exec_lo, s0
	s_cbranch_vccz .LBB142_1204
; %bb.1183:
	v_and_b32_e64 v0, 0xff, s7
	s_delay_alu instid0(VALU_DEP_1)
	v_cmp_gt_i16_e32 vcc_lo, 0x80, v0
	s_cbranch_vccnz .LBB142_1186
; %bb.1184:
	v_cmp_eq_u16_e32 vcc_lo, 0x80, v0
	s_cbranch_vccz .LBB142_1187
; %bb.1185:
	s_mov_b32 s1, 0
	s_mov_b32 s0, 0x7f800001
	s_branch .LBB142_1188
.LBB142_1186:
	s_mov_b32 s16, -1
	s_mov_b32 s1, 0
                                        ; implicit-def: $sgpr0
	s_branch .LBB142_1189
.LBB142_1187:
	s_mov_b32 s1, -1
                                        ; implicit-def: $sgpr0
.LBB142_1188:
	s_mov_b32 s16, 0
.LBB142_1189:
	s_delay_alu instid0(SALU_CYCLE_1)
	s_and_b32 vcc_lo, exec_lo, s16
	s_cbranch_vccz .LBB142_1194
; %bb.1190:
	v_cmp_ne_u16_e64 s1, 0, v0
	s_mov_b32 s0, 0
	s_delay_alu instid0(VALU_DEP_1)
	s_and_not1_b32 vcc_lo, exec_lo, s1
	s_cbranch_vccz .LBB142_1195
.LBB142_1191:
	s_and_b32 s1, s0, 0x7fffffff
	s_delay_alu instid0(SALU_CYCLE_1)
	s_cmp_gt_u32 s1, 0x43efffff
	s_cbranch_scc1 .LBB142_1196
.LBB142_1192:
	s_cmp_lt_u32 s1, 0x3c800000
	s_cbranch_scc1 .LBB142_1197
; %bb.1193:
	s_bfe_u32 s16, s0, 0x10014
	s_delay_alu instid0(SALU_CYCLE_1) | instskip(NEXT) | instid1(SALU_CYCLE_1)
	s_add_i32 s16, s0, s16
	s_add_i32 s16, s16, 0x407ffff
	s_delay_alu instid0(SALU_CYCLE_1)
	s_and_b32 s17, s16, 0xff00000
	s_lshr_b32 s16, s16, 20
	s_cmp_lg_u32 s17, 0x7f00000
	s_cselect_b32 s17, s16, 0x7e
	s_mov_b32 s16, 0
	s_branch .LBB142_1198
.LBB142_1194:
	s_and_not1_b32 vcc_lo, exec_lo, s1
	s_cbranch_vccnz .LBB142_1191
.LBB142_1195:
	s_mov_b32 s0, s2
	s_delay_alu instid0(SALU_CYCLE_1) | instskip(NEXT) | instid1(SALU_CYCLE_1)
	s_and_b32 s1, s0, 0x7fffffff
	s_cmp_gt_u32 s1, 0x43efffff
	s_cbranch_scc0 .LBB142_1192
.LBB142_1196:
	s_mov_b32 s16, -1
                                        ; implicit-def: $vgpr0
	s_branch .LBB142_1201
.LBB142_1197:
	s_mov_b32 s16, -1
                                        ; implicit-def: $sgpr17
.LBB142_1198:
	v_mov_b32_e32 v0, s17
	s_and_not1_b32 vcc_lo, exec_lo, s16
	s_cbranch_vccnz .LBB142_1200
; %bb.1199:
	v_add_f32_e64 v0, 0x46800000, |s0|
.LBB142_1200:
	s_mov_b32 s16, 0
.LBB142_1201:
	s_delay_alu instid0(SALU_CYCLE_1)
	s_and_not1_b32 vcc_lo, exec_lo, s16
	s_cbranch_vccnz .LBB142_1203
; %bb.1202:
	s_cmp_gt_u32 s1, 0x7f800000
	s_movk_i32 s1, 0x7f
	s_delay_alu instid0(SALU_CYCLE_1) | instskip(NEXT) | instid1(SALU_CYCLE_1)
	s_cselect_b32 s1, s1, 0x7e
	v_mov_b32_e32 v0, s1
.LBB142_1203:
	s_lshr_b32 s0, s0, 24
	s_delay_alu instid0(SALU_CYCLE_1)
	s_and_b32 s0, s0, 0x80
	s_delay_alu instid0(VALU_DEP_1) | instid1(SALU_CYCLE_1)
	v_or_b32_e32 v0, s0, v0
	global_store_b8 v[10:11], v0, off
.LBB142_1204:
	s_mov_b32 s0, 0
.LBB142_1205:
	s_delay_alu instid0(SALU_CYCLE_1)
	s_and_not1_b32 vcc_lo, exec_lo, s0
	s_cbranch_vccnz .LBB142_1227
; %bb.1206:
	v_and_b32_e64 v0, 0xff, s7
	s_delay_alu instid0(VALU_DEP_1)
	v_cmp_gt_i16_e32 vcc_lo, 0x80, v0
	s_cbranch_vccnz .LBB142_1209
; %bb.1207:
	v_cmp_eq_u16_e32 vcc_lo, 0x80, v0
	s_cbranch_vccz .LBB142_1210
; %bb.1208:
	s_mov_b32 s1, 0
	s_mov_b32 s0, 0x7f800001
	s_branch .LBB142_1211
.LBB142_1209:
	s_mov_b32 s16, -1
	s_mov_b32 s1, 0
                                        ; implicit-def: $sgpr0
	s_branch .LBB142_1212
.LBB142_1210:
	s_mov_b32 s1, -1
                                        ; implicit-def: $sgpr0
.LBB142_1211:
	s_mov_b32 s16, 0
.LBB142_1212:
	s_delay_alu instid0(SALU_CYCLE_1)
	s_and_b32 vcc_lo, exec_lo, s16
	s_cbranch_vccz .LBB142_1217
; %bb.1213:
	v_cmp_ne_u16_e64 s1, 0, v0
	s_mov_b32 s0, 0
	s_delay_alu instid0(VALU_DEP_1)
	s_and_not1_b32 vcc_lo, exec_lo, s1
	s_cbranch_vccz .LBB142_1218
.LBB142_1214:
	s_and_b32 s1, s0, 0x7fffffff
	s_delay_alu instid0(SALU_CYCLE_1)
	s_cmp_gt_u32 s1, 0x477fffff
	s_cbranch_scc1 .LBB142_1219
.LBB142_1215:
	s_cmp_lt_u32 s1, 0x38800000
	s_cbranch_scc1 .LBB142_1220
; %bb.1216:
	s_bfe_u32 s16, s0, 0x10015
	s_delay_alu instid0(SALU_CYCLE_1) | instskip(NEXT) | instid1(SALU_CYCLE_1)
	s_add_i32 s16, s0, s16
	s_add_i32 s16, s16, 0x80fffff
	s_delay_alu instid0(SALU_CYCLE_1)
	s_lshr_b32 s17, s16, 21
	s_mov_b32 s16, 0
	s_branch .LBB142_1221
.LBB142_1217:
	s_and_not1_b32 vcc_lo, exec_lo, s1
	s_cbranch_vccnz .LBB142_1214
.LBB142_1218:
	s_mov_b32 s0, s2
	s_delay_alu instid0(SALU_CYCLE_1) | instskip(NEXT) | instid1(SALU_CYCLE_1)
	s_and_b32 s1, s0, 0x7fffffff
	s_cmp_gt_u32 s1, 0x477fffff
	s_cbranch_scc0 .LBB142_1215
.LBB142_1219:
	s_mov_b32 s16, -1
                                        ; implicit-def: $vgpr0
	s_branch .LBB142_1224
.LBB142_1220:
	s_mov_b32 s16, -1
                                        ; implicit-def: $sgpr17
.LBB142_1221:
	v_mov_b32_e32 v0, s17
	s_and_not1_b32 vcc_lo, exec_lo, s16
	s_cbranch_vccnz .LBB142_1223
; %bb.1222:
	v_add_f32_e64 v0, 0x43000000, |s0|
.LBB142_1223:
	s_mov_b32 s16, 0
.LBB142_1224:
	s_delay_alu instid0(SALU_CYCLE_1)
	s_and_not1_b32 vcc_lo, exec_lo, s16
	s_cbranch_vccnz .LBB142_1226
; %bb.1225:
	s_cmp_gt_u32 s1, 0x7f800000
	s_movk_i32 s1, 0x7f
	s_delay_alu instid0(SALU_CYCLE_1) | instskip(NEXT) | instid1(SALU_CYCLE_1)
	s_cselect_b32 s1, s1, 0x7c
	v_mov_b32_e32 v0, s1
.LBB142_1226:
	s_lshr_b32 s0, s0, 24
	s_delay_alu instid0(SALU_CYCLE_1)
	s_and_b32 s0, s0, 0x80
	s_delay_alu instid0(VALU_DEP_1) | instid1(SALU_CYCLE_1)
	v_or_b32_e32 v0, s0, v0
	global_store_b8 v[10:11], v0, off
.LBB142_1227:
	s_mov_b32 s1, 0
	s_mov_b32 s0, -1
.LBB142_1228:
	s_and_not1_b32 vcc_lo, exec_lo, s1
	s_cbranch_vccnz .LBB142_1256
; %bb.1229:
	v_cmp_lt_i16_e32 vcc_lo, 14, v12
	s_mov_b32 s1, -1
	s_cbranch_vccz .LBB142_1243
; %bb.1230:
	v_cmp_eq_u16_e32 vcc_lo, 15, v12
	s_mov_b32 s14, -1
	s_cbranch_vccz .LBB142_1242
; %bb.1231:
	v_and_b32_e64 v0, 0xff, s7
	s_delay_alu instid0(VALU_DEP_1)
	v_cmp_gt_i16_e32 vcc_lo, 0x80, v0
	s_cbranch_vccnz .LBB142_1234
; %bb.1232:
	v_cmp_eq_u16_e32 vcc_lo, 0x80, v0
	s_cbranch_vccz .LBB142_1235
; %bb.1233:
	s_mov_b32 s1, 0
	s_mov_b32 s0, 0x7f800001
	s_branch .LBB142_1236
.LBB142_1234:
	s_mov_b32 s1, 0
                                        ; implicit-def: $sgpr0
	s_branch .LBB142_1237
.LBB142_1235:
                                        ; implicit-def: $sgpr0
.LBB142_1236:
	s_mov_b32 s14, 0
.LBB142_1237:
	s_delay_alu instid0(SALU_CYCLE_1)
	s_and_b32 vcc_lo, exec_lo, s14
	s_cbranch_vccz .LBB142_1239
; %bb.1238:
	v_cmp_ne_u16_e64 s1, 0, v0
	s_mov_b32 s0, 0
.LBB142_1239:
	s_delay_alu instid0(VALU_DEP_1)
	s_and_not1_b32 vcc_lo, exec_lo, s1
	s_cbranch_vccnz .LBB142_1241
; %bb.1240:
	s_mov_b32 s0, s2
.LBB142_1241:
	s_delay_alu instid0(SALU_CYCLE_1) | instskip(SKIP_4) | instid1(SALU_CYCLE_1)
	s_bfe_u32 s1, s0, 0x10010
	s_mov_b32 s14, 0
	s_add_i32 s1, s0, s1
	v_cmp_o_f32_e64 s0, s0, s0
	s_addk_i32 s1, 0x7fff
	s_lshr_b32 s1, s1, 16
	s_delay_alu instid0(VALU_DEP_1) | instskip(SKIP_1) | instid1(SALU_CYCLE_1)
	s_and_b32 s0, s0, exec_lo
	s_cselect_b32 s0, s1, 0x7fc0
	v_mov_b32_e32 v0, s0
	s_mov_b32 s0, -1
	global_store_b16 v[10:11], v0, off
.LBB142_1242:
	s_mov_b32 s1, 0
.LBB142_1243:
	s_delay_alu instid0(SALU_CYCLE_1)
	s_and_b32 vcc_lo, exec_lo, s1
	s_cbranch_vccz .LBB142_1256
; %bb.1244:
	v_cmp_eq_u16_e32 vcc_lo, 11, v12
	s_mov_b32 s14, -1
	s_cbranch_vccz .LBB142_1256
; %bb.1245:
	v_and_b32_e64 v0, 0xff, s7
	s_delay_alu instid0(VALU_DEP_1)
	v_cmp_gt_i16_e32 vcc_lo, 0x80, v0
	s_cbranch_vccnz .LBB142_1248
; %bb.1246:
	v_cmp_eq_u16_e32 vcc_lo, 0x80, v0
	s_cbranch_vccz .LBB142_1249
; %bb.1247:
	s_mov_b32 s1, 0
	s_mov_b32 s0, -1
	s_branch .LBB142_1250
.LBB142_1248:
	s_mov_b32 s1, 0
                                        ; implicit-def: $sgpr0
	s_branch .LBB142_1251
.LBB142_1249:
	s_mov_b32 s1, -1
                                        ; implicit-def: $sgpr0
.LBB142_1250:
	s_mov_b32 s14, 0
.LBB142_1251:
	s_delay_alu instid0(SALU_CYCLE_1)
	s_and_b32 vcc_lo, exec_lo, s14
	s_cbranch_vccz .LBB142_1253
; %bb.1252:
	v_cmp_ne_u16_e64 s1, 0, v0
	s_mov_b32 s0, 0
.LBB142_1253:
	s_delay_alu instid0(VALU_DEP_1)
	s_and_not1_b32 vcc_lo, exec_lo, s1
	s_cbranch_vccnz .LBB142_1255
; %bb.1254:
	s_mov_b32 s0, s9
.LBB142_1255:
	s_delay_alu instid0(SALU_CYCLE_1)
	v_cndmask_b32_e64 v0, 0, 1, s0
	s_mov_b32 s0, -1
	s_mov_b32 s14, 0
	global_store_b8 v[10:11], v0, off
.LBB142_1256:
	s_branch .LBB142_340
.LBB142_1257:
	v_cmp_gt_i16_e32 vcc_lo, 5, v12
	s_mov_b32 s0, -1
	s_cbranch_vccnz .LBB142_1338
; %bb.1258:
	v_cmp_gt_i16_e32 vcc_lo, 8, v12
	s_cbranch_vccnz .LBB142_1298
; %bb.1259:
	v_cmp_gt_i16_e32 vcc_lo, 9, v12
	s_cbranch_vccnz .LBB142_1285
; %bb.1260:
	v_cmp_lt_i16_e32 vcc_lo, 9, v12
	s_cbranch_vccz .LBB142_1272
; %bb.1261:
	v_and_b32_e64 v0, 0xff, s7
	s_delay_alu instid0(VALU_DEP_1)
	v_cmp_gt_i16_e32 vcc_lo, 0x80, v0
	s_cbranch_vccnz .LBB142_1264
; %bb.1262:
	v_cmp_eq_u16_e32 vcc_lo, 0x80, v0
	s_cbranch_vccz .LBB142_1265
; %bb.1263:
	s_mov_b32 s16, 0
	s_mov_b32 s1, 0x7ff80000
	s_brev_b32 s0, 4
	s_branch .LBB142_1266
.LBB142_1264:
	s_mov_b32 s17, -1
	s_mov_b32 s16, 0
                                        ; implicit-def: $sgpr0_sgpr1
	s_branch .LBB142_1267
.LBB142_1265:
	s_mov_b32 s16, -1
                                        ; implicit-def: $sgpr0_sgpr1
.LBB142_1266:
	s_mov_b32 s17, 0
.LBB142_1267:
	s_delay_alu instid0(SALU_CYCLE_1)
	s_and_b32 vcc_lo, exec_lo, s17
	s_cbranch_vccz .LBB142_1269
; %bb.1268:
	v_cmp_ne_u16_e64 s16, 0, v0
	s_mov_b64 s[0:1], 0
.LBB142_1269:
	s_delay_alu instid0(SALU_CYCLE_1) | instskip(NEXT) | instid1(VALU_DEP_2)
	v_dual_mov_b32 v0, s0 :: v_dual_mov_b32 v1, s1
	s_and_not1_b32 vcc_lo, exec_lo, s16
	s_cbranch_vccnz .LBB142_1271
; %bb.1270:
	v_dual_mov_b32 v0, v6 :: v_dual_mov_b32 v1, v7
.LBB142_1271:
	v_mov_b32_e32 v2, 0
	s_mov_b32 s0, 0
	s_delay_alu instid0(VALU_DEP_1)
	v_mov_b32_e32 v3, v2
	global_store_b128 v[10:11], v[0:3], off
.LBB142_1272:
	s_and_b32 vcc_lo, exec_lo, s0
	s_cbranch_vccz .LBB142_1284
; %bb.1273:
	v_and_b32_e64 v1, 0xff, s7
	s_delay_alu instid0(VALU_DEP_1)
	v_cmp_gt_i16_e32 vcc_lo, 0x80, v1
	s_cbranch_vccnz .LBB142_1276
; %bb.1274:
	v_cmp_eq_u16_e32 vcc_lo, 0x80, v1
	s_cbranch_vccz .LBB142_1277
; %bb.1275:
	s_mov_b32 s0, 0
	s_mov_b32 s1, 0x7f800001
	s_branch .LBB142_1278
.LBB142_1276:
	s_mov_b32 s16, -1
	s_mov_b32 s0, 0
                                        ; implicit-def: $sgpr1
	s_branch .LBB142_1279
.LBB142_1277:
	s_mov_b32 s0, -1
                                        ; implicit-def: $sgpr1
.LBB142_1278:
	s_mov_b32 s16, 0
.LBB142_1279:
	v_mov_b32_e32 v0, s1
	s_and_b32 vcc_lo, exec_lo, s16
	s_cbranch_vccz .LBB142_1281
; %bb.1280:
	v_and_b32_e32 v0, 0xffff, v1
	v_cmp_ne_u16_e64 s0, 0, v1
.LBB142_1281:
	s_delay_alu instid0(VALU_DEP_1)
	s_and_not1_b32 vcc_lo, exec_lo, s0
	s_cbranch_vccnz .LBB142_1283
; %bb.1282:
	v_mov_b32_e32 v0, s2
.LBB142_1283:
	v_mov_b32_e32 v1, 0
	global_store_b64 v[10:11], v[0:1], off
.LBB142_1284:
	s_mov_b32 s0, 0
.LBB142_1285:
	s_delay_alu instid0(SALU_CYCLE_1)
	s_and_not1_b32 vcc_lo, exec_lo, s0
	s_cbranch_vccnz .LBB142_1297
; %bb.1286:
	v_and_b32_e64 v0, 0xff, s7
	s_delay_alu instid0(VALU_DEP_1)
	v_cmp_gt_i16_e32 vcc_lo, 0x80, v0
	s_cbranch_vccnz .LBB142_1289
; %bb.1287:
	v_cmp_eq_u16_e32 vcc_lo, 0x80, v0
	s_cbranch_vccz .LBB142_1290
; %bb.1288:
	s_mov_b32 s0, 0
	s_movk_i32 s1, 0x7e00
	s_branch .LBB142_1291
.LBB142_1289:
	s_mov_b32 s16, -1
	s_mov_b32 s0, 0
                                        ; implicit-def: $sgpr1
	s_branch .LBB142_1292
.LBB142_1290:
	s_mov_b32 s0, -1
                                        ; implicit-def: $sgpr1
.LBB142_1291:
	s_mov_b32 s16, 0
.LBB142_1292:
	v_mov_b32_e32 v1, s1
	s_and_b32 vcc_lo, exec_lo, s16
	s_cbranch_vccz .LBB142_1294
; %bb.1293:
	v_and_b32_e32 v1, 0xffff, v0
	v_cmp_ne_u16_e64 s0, 0, v0
.LBB142_1294:
	s_delay_alu instid0(VALU_DEP_1)
	s_and_not1_b32 vcc_lo, exec_lo, s0
	s_cbranch_vccnz .LBB142_1296
; %bb.1295:
	v_mov_b32_e32 v1, v15
.LBB142_1296:
	global_store_b32 v[10:11], v1, off
.LBB142_1297:
	s_mov_b32 s0, 0
.LBB142_1298:
	s_delay_alu instid0(SALU_CYCLE_1)
	s_and_not1_b32 vcc_lo, exec_lo, s0
	s_cbranch_vccnz .LBB142_1337
; %bb.1299:
	v_cmp_gt_i16_e32 vcc_lo, 6, v12
	s_mov_b32 s0, -1
	s_cbranch_vccnz .LBB142_1325
; %bb.1300:
	v_cmp_lt_i16_e32 vcc_lo, 6, v12
	s_cbranch_vccz .LBB142_1312
; %bb.1301:
	v_and_b32_e64 v0, 0xff, s7
	s_delay_alu instid0(VALU_DEP_1)
	v_cmp_gt_i16_e32 vcc_lo, 0x80, v0
	s_cbranch_vccnz .LBB142_1304
; %bb.1302:
	v_cmp_eq_u16_e32 vcc_lo, 0x80, v0
	s_cbranch_vccz .LBB142_1305
; %bb.1303:
	s_mov_b32 s16, 0
	s_mov_b32 s1, 0x7ff80000
	s_brev_b32 s0, 4
	s_branch .LBB142_1306
.LBB142_1304:
	s_mov_b32 s17, -1
	s_mov_b32 s16, 0
                                        ; implicit-def: $sgpr0_sgpr1
	s_branch .LBB142_1307
.LBB142_1305:
	s_mov_b32 s16, -1
                                        ; implicit-def: $sgpr0_sgpr1
.LBB142_1306:
	s_mov_b32 s17, 0
.LBB142_1307:
	s_delay_alu instid0(SALU_CYCLE_1)
	s_and_b32 vcc_lo, exec_lo, s17
	s_cbranch_vccz .LBB142_1309
; %bb.1308:
	v_cmp_ne_u16_e64 s16, 0, v0
	s_mov_b64 s[0:1], 0
.LBB142_1309:
	s_delay_alu instid0(SALU_CYCLE_1) | instskip(NEXT) | instid1(VALU_DEP_2)
	v_dual_mov_b32 v0, s0 :: v_dual_mov_b32 v1, s1
	s_and_not1_b32 vcc_lo, exec_lo, s16
	s_cbranch_vccnz .LBB142_1311
; %bb.1310:
	v_dual_mov_b32 v0, v6 :: v_dual_mov_b32 v1, v7
.LBB142_1311:
	s_mov_b32 s0, 0
	global_store_b64 v[10:11], v[0:1], off
.LBB142_1312:
	s_and_b32 vcc_lo, exec_lo, s0
	s_cbranch_vccz .LBB142_1324
; %bb.1313:
	v_and_b32_e64 v0, 0xff, s7
	s_delay_alu instid0(VALU_DEP_1)
	v_cmp_gt_i16_e32 vcc_lo, 0x80, v0
	s_cbranch_vccnz .LBB142_1316
; %bb.1314:
	v_cmp_eq_u16_e32 vcc_lo, 0x80, v0
	s_cbranch_vccz .LBB142_1317
; %bb.1315:
	s_mov_b32 s1, 0
	s_mov_b32 s0, 0x7f800001
	s_branch .LBB142_1318
.LBB142_1316:
	s_mov_b32 s16, -1
	s_mov_b32 s1, 0
                                        ; implicit-def: $sgpr0
	s_branch .LBB142_1319
.LBB142_1317:
	s_mov_b32 s1, -1
                                        ; implicit-def: $sgpr0
.LBB142_1318:
	s_mov_b32 s16, 0
.LBB142_1319:
	s_delay_alu instid0(SALU_CYCLE_1)
	s_and_b32 vcc_lo, exec_lo, s16
	s_cbranch_vccz .LBB142_1321
; %bb.1320:
	v_cmp_ne_u16_e64 s1, 0, v0
	s_mov_b32 s0, 0
.LBB142_1321:
	s_delay_alu instid0(VALU_DEP_1)
	s_and_not1_b32 vcc_lo, exec_lo, s1
	s_cbranch_vccnz .LBB142_1323
; %bb.1322:
	s_mov_b32 s0, s2
.LBB142_1323:
	s_delay_alu instid0(SALU_CYCLE_1)
	v_mov_b32_e32 v0, s0
	global_store_b32 v[10:11], v0, off
.LBB142_1324:
	s_mov_b32 s0, 0
.LBB142_1325:
	s_delay_alu instid0(SALU_CYCLE_1)
	s_and_not1_b32 vcc_lo, exec_lo, s0
	s_cbranch_vccnz .LBB142_1337
; %bb.1326:
	v_and_b32_e64 v0, 0xff, s7
	s_delay_alu instid0(VALU_DEP_1)
	v_cmp_gt_i16_e32 vcc_lo, 0x80, v0
	s_cbranch_vccnz .LBB142_1329
; %bb.1327:
	v_cmp_eq_u16_e32 vcc_lo, 0x80, v0
	s_cbranch_vccz .LBB142_1330
; %bb.1328:
	s_mov_b32 s0, 0
	s_movk_i32 s1, 0x7e00
	s_branch .LBB142_1331
.LBB142_1329:
	s_mov_b32 s16, -1
	s_mov_b32 s0, 0
                                        ; implicit-def: $sgpr1
	s_branch .LBB142_1332
.LBB142_1330:
	s_mov_b32 s0, -1
                                        ; implicit-def: $sgpr1
.LBB142_1331:
	s_mov_b32 s16, 0
.LBB142_1332:
	v_mov_b32_e32 v1, s1
	s_and_b32 vcc_lo, exec_lo, s16
	s_cbranch_vccz .LBB142_1334
; %bb.1333:
	v_cmp_ne_u16_e64 s0, 0, v0
	v_mov_b32_e32 v1, v0
.LBB142_1334:
	s_delay_alu instid0(VALU_DEP_2)
	s_and_not1_b32 vcc_lo, exec_lo, s0
	s_cbranch_vccnz .LBB142_1336
; %bb.1335:
	v_mov_b32_e32 v1, v14
.LBB142_1336:
	global_store_b16 v[10:11], v1, off
.LBB142_1337:
	s_mov_b32 s0, 0
.LBB142_1338:
	s_delay_alu instid0(SALU_CYCLE_1)
	s_and_not1_b32 vcc_lo, exec_lo, s0
	s_cbranch_vccnz .LBB142_1389
; %bb.1339:
	v_cmp_gt_i16_e32 vcc_lo, 2, v12
	s_mov_b32 s0, -1
	s_cbranch_vccnz .LBB142_1370
; %bb.1340:
	v_cmp_gt_i16_e32 vcc_lo, 3, v12
	s_cbranch_vccnz .LBB142_1360
; %bb.1341:
	v_cmp_lt_i16_e32 vcc_lo, 3, v12
	s_cbranch_vccz .LBB142_1350
; %bb.1342:
	v_and_b32_e64 v0, 0xff, s7
	s_delay_alu instid0(VALU_DEP_1)
	v_cmp_gt_i16_e32 vcc_lo, 0x80, v0
	s_cbranch_vccnz .LBB142_1344
; %bb.1343:
	v_cmp_ne_u16_e64 s16, 0x80, v0
	s_mov_b32 s17, 0
	s_mov_b64 s[0:1], 0
	s_branch .LBB142_1345
.LBB142_1344:
	s_mov_b32 s17, -1
	s_mov_b32 s16, 0
                                        ; implicit-def: $sgpr0_sgpr1
.LBB142_1345:
	s_and_not1_b32 vcc_lo, exec_lo, s17
	s_cbranch_vccnz .LBB142_1347
; %bb.1346:
	v_cmp_ne_u16_e64 s16, 0, v0
	s_mov_b64 s[0:1], 0
.LBB142_1347:
	s_delay_alu instid0(SALU_CYCLE_1) | instskip(NEXT) | instid1(VALU_DEP_2)
	v_dual_mov_b32 v0, s0 :: v_dual_mov_b32 v1, s1
	s_and_not1_b32 vcc_lo, exec_lo, s16
	s_cbranch_vccnz .LBB142_1349
; %bb.1348:
	v_dual_mov_b32 v0, v4 :: v_dual_mov_b32 v1, v5
.LBB142_1349:
	s_mov_b32 s0, 0
	global_store_b64 v[10:11], v[0:1], off
.LBB142_1350:
	s_and_b32 vcc_lo, exec_lo, s0
	s_cbranch_vccz .LBB142_1359
; %bb.1351:
	v_and_b32_e64 v0, 0xff, s7
	s_delay_alu instid0(VALU_DEP_1)
	v_cmp_gt_i16_e32 vcc_lo, 0x80, v0
	s_cbranch_vccnz .LBB142_1353
; %bb.1352:
	v_cmp_ne_u16_e64 s0, 0x80, v0
	s_mov_b32 s16, 0
	s_mov_b32 s1, 0
	s_branch .LBB142_1354
.LBB142_1353:
	s_mov_b32 s16, -1
	s_mov_b32 s0, 0
                                        ; implicit-def: $sgpr1
.LBB142_1354:
	s_and_not1_b32 vcc_lo, exec_lo, s16
	s_cbranch_vccnz .LBB142_1356
; %bb.1355:
	v_cmp_ne_u16_e64 s0, 0, v0
	s_mov_b32 s1, 0
.LBB142_1356:
	s_delay_alu instid0(SALU_CYCLE_1) | instskip(NEXT) | instid1(VALU_DEP_2)
	v_mov_b32_e32 v0, s1
	s_and_not1_b32 vcc_lo, exec_lo, s0
	s_cbranch_vccnz .LBB142_1358
; %bb.1357:
	v_mov_b32_e32 v0, v13
.LBB142_1358:
	global_store_b32 v[10:11], v0, off
.LBB142_1359:
	s_mov_b32 s0, 0
.LBB142_1360:
	s_delay_alu instid0(SALU_CYCLE_1)
	s_and_not1_b32 vcc_lo, exec_lo, s0
	s_cbranch_vccnz .LBB142_1369
; %bb.1361:
	v_and_b32_e64 v0, 0xff, s7
	s_delay_alu instid0(VALU_DEP_1)
	v_cmp_gt_i16_e32 vcc_lo, 0x80, v0
	s_cbranch_vccnz .LBB142_1363
; %bb.1362:
	v_cmp_ne_u16_e64 s0, 0x80, v0
	s_mov_b32 s16, 0
	s_mov_b32 s1, 0
	s_branch .LBB142_1364
.LBB142_1363:
	s_mov_b32 s16, -1
	s_mov_b32 s0, 0
                                        ; implicit-def: $sgpr1
.LBB142_1364:
	s_and_not1_b32 vcc_lo, exec_lo, s16
	s_cbranch_vccnz .LBB142_1366
; %bb.1365:
	v_cmp_ne_u16_e64 s0, 0, v0
	s_mov_b32 s1, 0
.LBB142_1366:
	s_delay_alu instid0(SALU_CYCLE_1) | instskip(NEXT) | instid1(VALU_DEP_2)
	v_mov_b32_e32 v0, s1
	s_and_not1_b32 vcc_lo, exec_lo, s0
	s_cbranch_vccnz .LBB142_1368
; %bb.1367:
	v_mov_b32_e32 v0, v13
.LBB142_1368:
	global_store_b16 v[10:11], v0, off
.LBB142_1369:
	s_mov_b32 s0, 0
.LBB142_1370:
	s_delay_alu instid0(SALU_CYCLE_1)
	s_and_not1_b32 vcc_lo, exec_lo, s0
	s_cbranch_vccnz .LBB142_1389
; %bb.1371:
	v_cmp_lt_i16_e32 vcc_lo, 0, v12
	s_mov_b32 s0, 0
	s_mov_b32 s1, -1
	s_cbranch_vccz .LBB142_1380
; %bb.1372:
	v_and_b32_e64 v0, 0xff, s7
	s_delay_alu instid0(VALU_DEP_1)
	v_cmp_gt_i16_e32 vcc_lo, 0x80, v0
	s_cbranch_vccnz .LBB142_1374
; %bb.1373:
	v_cmp_ne_u16_e64 s0, 0x80, v0
	s_mov_b32 s16, 0
	s_mov_b32 s1, 0
	s_branch .LBB142_1375
.LBB142_1374:
	s_mov_b32 s16, -1
                                        ; implicit-def: $sgpr1
.LBB142_1375:
	s_delay_alu instid0(SALU_CYCLE_1)
	s_and_not1_b32 vcc_lo, exec_lo, s16
	s_cbranch_vccnz .LBB142_1377
; %bb.1376:
	v_cmp_ne_u16_e64 s0, 0, v0
	s_mov_b32 s1, 0
.LBB142_1377:
	s_delay_alu instid0(SALU_CYCLE_1) | instskip(NEXT) | instid1(VALU_DEP_2)
	v_mov_b32_e32 v0, s1
	s_and_not1_b32 vcc_lo, exec_lo, s0
	s_cbranch_vccnz .LBB142_1379
; %bb.1378:
	v_mov_b32_e32 v0, v13
.LBB142_1379:
	s_mov_b32 s1, 0
	global_store_b8 v[10:11], v0, off
.LBB142_1380:
	s_and_b32 vcc_lo, exec_lo, s1
	s_cbranch_vccz .LBB142_1389
; %bb.1381:
	v_and_b32_e64 v0, 0xff, s7
	s_delay_alu instid0(VALU_DEP_1)
	v_cmp_gt_i16_e32 vcc_lo, 0x80, v0
	s_cbranch_vccnz .LBB142_1383
; %bb.1382:
	v_cmp_ne_u16_e64 s0, 0x80, v0
	s_mov_b32 s16, 0
	s_mov_b32 s1, 0
	s_branch .LBB142_1384
.LBB142_1383:
	s_mov_b32 s16, -1
	s_mov_b32 s0, 0
                                        ; implicit-def: $sgpr1
.LBB142_1384:
	s_and_not1_b32 vcc_lo, exec_lo, s16
	s_cbranch_vccnz .LBB142_1386
; %bb.1385:
	v_cmp_ne_u16_e64 s0, 0, v0
	s_mov_b32 s1, 0
.LBB142_1386:
	s_delay_alu instid0(SALU_CYCLE_1) | instskip(NEXT) | instid1(VALU_DEP_2)
	v_mov_b32_e32 v0, s1
	s_and_not1_b32 vcc_lo, exec_lo, s0
	s_cbranch_vccnz .LBB142_1388
; %bb.1387:
	v_mov_b32_e32 v0, v4
.LBB142_1388:
	global_store_b8 v[10:11], v0, off
.LBB142_1389:
	s_branch .LBB142_341
.LBB142_1390:
	s_mov_b32 s0, 0
                                        ; implicit-def: $vgpr17
.LBB142_1391:
	s_and_not1_b32 s1, s12, exec_lo
	s_and_b32 s14, s14, exec_lo
	s_or_not1_b32 s0, s0, exec_lo
	s_or_b32 s14, s1, s14
.LBB142_1392:
	s_or_b32 exec_lo, exec_lo, s15
	s_mov_b32 s1, 0
	s_mov_b32 s16, 0
                                        ; implicit-def: $vgpr10_vgpr11
	s_and_saveexec_b32 s15, s0
	s_cbranch_execz .LBB142_2472
; %bb.1393:
	s_mov_b32 s18, -1
	s_mov_b32 s17, s14
	s_mov_b32 s16, exec_lo
	v_cmpx_gt_i32_e64 s11, v17
	s_cbranch_execz .LBB142_2160
; %bb.1394:
	v_mul_lo_u32 v0, v17, s6
	v_cmp_gt_i16_e32 vcc_lo, 11, v12
	s_delay_alu instid0(VALU_DEP_2) | instskip(SKIP_1) | instid1(VALU_DEP_1)
	v_ashrrev_i32_e32 v1, 31, v0
	v_add_co_u32 v10, s0, s4, v0
	v_add_co_ci_u32_e64 v11, s0, s5, v1, s0
	s_cbranch_vccnz .LBB142_1403
; %bb.1395:
	v_cmp_lt_i16_e32 vcc_lo, 25, v12
	s_cbranch_vccz .LBB142_1404
; %bb.1396:
	v_cmp_lt_i16_e32 vcc_lo, 28, v12
	s_cbranch_vccz .LBB142_1405
	;; [unrolled: 3-line block ×4, first 2 shown]
; %bb.1399:
	v_cmp_eq_u16_e32 vcc_lo, 46, v12
	s_mov_b32 s17, -1
	s_mov_b32 s0, 0
	s_cbranch_vccz .LBB142_1872
; %bb.1400:
	v_and_b32_e64 v0, 0xff, s7
	s_delay_alu instid0(VALU_DEP_1)
	v_cmp_gt_i16_e32 vcc_lo, 0x80, v0
	s_cbranch_vccnz .LBB142_1408
; %bb.1401:
	v_cmp_eq_u16_e32 vcc_lo, 0x80, v0
	s_cbranch_vccz .LBB142_1865
; %bb.1402:
	s_mov_b32 s17, 0
	s_mov_b32 s0, 0x7f800001
	s_branch .LBB142_1866
.LBB142_1403:
	s_mov_b32 s1, -1
	s_mov_b32 s0, 0
	s_mov_b32 s17, s14
	s_branch .LBB142_2022
.LBB142_1404:
	s_mov_b32 s1, -1
	s_mov_b32 s0, 0
	s_mov_b32 s17, s14
	s_branch .LBB142_1924
.LBB142_1405:
	s_mov_b32 s1, -1
	s_mov_b32 s0, 0
	s_mov_b32 s17, s14
	s_branch .LBB142_1899
.LBB142_1406:
	s_mov_b32 s1, -1
	s_mov_b32 s0, 0
	s_mov_b32 s17, s14
	s_branch .LBB142_1886
.LBB142_1407:
	s_mov_b32 s1, -1
	s_mov_b32 s0, 0
	s_mov_b32 s17, s14
	s_branch .LBB142_1872
.LBB142_1408:
	s_mov_b32 s17, 0
                                        ; implicit-def: $sgpr0
	s_branch .LBB142_1867
.LBB142_1409:
	s_mov_b32 s1, -1
                                        ; implicit-def: $sgpr0
.LBB142_1410:
	s_mov_b32 s11, 0
.LBB142_1411:
	s_delay_alu instid0(SALU_CYCLE_1)
	s_and_b32 vcc_lo, exec_lo, s11
	s_cbranch_vccz .LBB142_1413
; %bb.1412:
	v_cmp_ne_u16_e64 s1, 0, v0
	s_mov_b32 s0, 0
.LBB142_1413:
	s_delay_alu instid0(VALU_DEP_1)
	s_and_not1_b32 vcc_lo, exec_lo, s1
	s_cbranch_vccnz .LBB142_1415
; %bb.1414:
	v_lshrrev_b16 v0, 3, s7
	s_and_b32 s0, s7, 7
	s_lshl_b32 s13, s7, 24
	s_clz_i32_u32 s1, s0
	s_delay_alu instid0(SALU_CYCLE_1) | instskip(SKIP_4) | instid1(VALU_DEP_1)
	s_min_u32 s1, s1, 32
	v_readfirstlane_b32 s11, v0
	s_sub_i32 s12, s1, 28
	s_sub_i32 s1, 29, s1
	s_lshl_b32 s12, s7, s12
	s_and_b32 s11, s11, 15
	s_and_b32 s12, s12, 7
	s_cmp_eq_u32 s11, 0
	s_cselect_b32 s1, s1, s11
	s_cselect_b32 s0, s12, s0
	s_lshl_b32 s1, s1, 23
	s_and_b32 s11, s13, 0x80000000
	s_add_i32 s1, s1, 0x3b800000
	s_lshl_b32 s0, s0, 20
	s_or_b32 s1, s11, s1
	s_delay_alu instid0(SALU_CYCLE_1)
	s_or_b32 s0, s1, s0
.LBB142_1415:
	s_delay_alu instid0(SALU_CYCLE_1) | instskip(NEXT) | instid1(SALU_CYCLE_1)
	s_bfe_u32 s1, s0, 0x10010
	s_add_i32 s1, s0, s1
	v_cmp_o_f32_e64 s0, s0, s0
	s_addk_i32 s1, 0x7fff
	s_delay_alu instid0(SALU_CYCLE_1) | instskip(NEXT) | instid1(VALU_DEP_1)
	s_lshr_b32 s1, s1, 16
	s_and_b32 s0, s0, exec_lo
	s_cselect_b32 s0, s1, 0x7fc0
	s_mov_b32 s1, -1
	v_mov_b32_e32 v0, s0
	s_mov_b32 s0, 0
	global_store_b32 v[4:5], v0, off
.LBB142_1416:
	s_and_b32 vcc_lo, exec_lo, s10
	s_cbranch_vccz .LBB142_1429
; %bb.1417:
	v_cmp_eq_u16_e32 vcc_lo, 44, v12
	s_mov_b32 s0, -1
	s_cbranch_vccz .LBB142_1429
; %bb.1418:
	v_and_b32_e64 v0, 0xff, s7
	s_delay_alu instid0(VALU_DEP_1)
	v_cmp_gt_i16_e32 vcc_lo, 0x80, v0
	v_readfirstlane_b32 s1, v0
	s_cbranch_vccnz .LBB142_1421
; %bb.1419:
	s_delay_alu instid0(VALU_DEP_1) | instskip(NEXT) | instid1(VALU_DEP_1)
	v_cmp_eq_u16_e64 s0, 0x80, s1
	s_and_b32 vcc_lo, exec_lo, s0
	s_cbranch_vccz .LBB142_1422
; %bb.1420:
	s_mov_b32 s10, 0
	s_mov_b32 s0, 0x7f800001
	s_branch .LBB142_1423
.LBB142_1421:
	s_mov_b32 s11, -1
	s_mov_b32 s10, 0
                                        ; implicit-def: $sgpr0
	s_branch .LBB142_1424
.LBB142_1422:
	s_mov_b32 s10, -1
                                        ; implicit-def: $sgpr0
.LBB142_1423:
	s_mov_b32 s11, 0
.LBB142_1424:
	s_delay_alu instid0(SALU_CYCLE_1)
	s_and_b32 vcc_lo, exec_lo, s11
	s_cbranch_vccz .LBB142_1434
; %bb.1425:
	v_cmp_ne_u16_e64 s10, s1, 0
	s_and_b32 s0, 0xffff, s1
	s_delay_alu instid0(VALU_DEP_1)
	s_and_not1_b32 vcc_lo, exec_lo, s10
	s_cbranch_vccz .LBB142_1435
.LBB142_1426:
	v_mov_b32_e32 v0, 0xff
	s_bfe_u32 s1, s0, 0x80017
	s_delay_alu instid0(SALU_CYCLE_1)
	s_cmpk_eq_i32 s1, 0xff
	s_cbranch_scc1 .LBB142_1428
.LBB142_1427:
	s_lshr_b32 s10, s0, 23
	s_bitcmp1_b32 s0, 22
	s_cselect_b32 s11, -1, 0
	s_and_b32 s0, s0, 0x3fffff
	s_delay_alu instid0(SALU_CYCLE_1) | instskip(NEXT) | instid1(SALU_CYCLE_1)
	s_or_b32 s0, s1, s0
	s_cmp_lg_u32 s0, 0
	s_cselect_b32 s0, -1, 0
	s_delay_alu instid0(SALU_CYCLE_1) | instskip(NEXT) | instid1(SALU_CYCLE_1)
	s_and_b32 s0, s11, s0
	v_cndmask_b32_e64 v0, 0, 1, s0
	s_delay_alu instid0(VALU_DEP_1)
	v_add_nc_u32_e32 v0, s10, v0
.LBB142_1428:
	s_mov_b32 s0, 0
	s_mov_b32 s1, -1
	global_store_b8 v[4:5], v0, off
.LBB142_1429:
	s_mov_b32 s10, 0
.LBB142_1430:
	s_delay_alu instid0(SALU_CYCLE_1)
	s_and_b32 vcc_lo, exec_lo, s10
	s_cbranch_vccz .LBB142_1442
; %bb.1431:
	v_cmp_eq_u16_e32 vcc_lo, 29, v12
	s_mov_b32 s0, -1
	s_cbranch_vccz .LBB142_1442
; %bb.1432:
	v_and_b32_e64 v0, 0xff, s7
	s_delay_alu instid0(VALU_DEP_1)
	v_cmp_gt_i16_e32 vcc_lo, 0x80, v0
	s_cbranch_vccnz .LBB142_1436
; %bb.1433:
	v_cmp_ne_u16_e64 s10, 0x80, v0
	s_mov_b32 s11, 0
	s_mov_b64 s[0:1], 0
	s_branch .LBB142_1437
.LBB142_1434:
	s_and_not1_b32 vcc_lo, exec_lo, s10
	s_cbranch_vccnz .LBB142_1426
.LBB142_1435:
	v_lshrrev_b16 v0, 3, s7
	s_and_b32 s0, s7, 7
	s_delay_alu instid0(SALU_CYCLE_1) | instskip(NEXT) | instid1(SALU_CYCLE_1)
	s_clz_i32_u32 s1, s0
	s_min_u32 s1, s1, 32
	s_delay_alu instid0(VALU_DEP_1) | instskip(SKIP_3) | instid1(VALU_DEP_1)
	v_readfirstlane_b32 s10, v0
	s_sub_i32 s11, s1, 28
	s_sub_i32 s1, 29, s1
	s_lshl_b32 s11, s7, s11
	s_and_b32 s10, s10, 15
	s_and_b32 s11, s11, 7
	s_cmp_eq_u32 s10, 0
	s_cselect_b32 s0, s11, s0
	s_cselect_b32 s1, s1, s10
	s_lshl_b32 s0, s0, 20
	s_lshl_b32 s1, s1, 23
	s_delay_alu instid0(SALU_CYCLE_1) | instskip(NEXT) | instid1(SALU_CYCLE_1)
	s_or_b32 s0, s1, s0
	s_add_i32 s0, s0, 0x3b800000
	v_mov_b32_e32 v0, 0xff
	s_bfe_u32 s1, s0, 0x80017
	s_delay_alu instid0(SALU_CYCLE_1)
	s_cmpk_eq_i32 s1, 0xff
	s_cbranch_scc0 .LBB142_1427
	s_branch .LBB142_1428
.LBB142_1436:
	s_mov_b32 s11, -1
	s_mov_b32 s10, 0
                                        ; implicit-def: $sgpr0_sgpr1
.LBB142_1437:
	s_and_not1_b32 vcc_lo, exec_lo, s11
	s_cbranch_vccnz .LBB142_1439
; %bb.1438:
	v_cmp_ne_u16_e64 s10, 0, v0
	s_mov_b64 s[0:1], 0
.LBB142_1439:
	s_delay_alu instid0(SALU_CYCLE_1) | instskip(NEXT) | instid1(VALU_DEP_2)
	v_dual_mov_b32 v0, s0 :: v_dual_mov_b32 v1, s1
	s_and_not1_b32 vcc_lo, exec_lo, s10
	s_cbranch_vccnz .LBB142_1441
; %bb.1440:
	v_lshrrev_b16 v0, 3, s7
	s_and_b32 s0, s7, 7
	s_lshl_b32 s11, s7, 24
	s_clz_i32_u32 s1, s0
	s_delay_alu instid0(SALU_CYCLE_1) | instskip(SKIP_4) | instid1(VALU_DEP_1)
	s_min_u32 s1, s1, 32
	v_readfirstlane_b32 s10, v0
	s_sub_i32 s12, s1, 28
	s_sub_i32 s1, 29, s1
	s_lshl_b32 s12, s7, s12
	s_and_b32 s10, s10, 15
	s_and_b32 s12, s12, 7
	s_cmp_eq_u32 s10, 0
	s_cselect_b32 s1, s1, s10
	s_cselect_b32 s0, s12, s0
	s_lshl_b32 s1, s1, 23
	s_and_b32 s10, s11, 0x80000000
	s_add_i32 s1, s1, 0x3b800000
	s_lshl_b32 s0, s0, 20
	s_or_b32 s1, s10, s1
	s_delay_alu instid0(SALU_CYCLE_1) | instskip(NEXT) | instid1(SALU_CYCLE_1)
	s_or_b32 s0, s1, s0
	v_trunc_f32_e32 v0, s0
	s_delay_alu instid0(VALU_DEP_1) | instskip(NEXT) | instid1(VALU_DEP_1)
	v_mul_f32_e32 v1, 0x2f800000, v0
	v_floor_f32_e32 v1, v1
	s_delay_alu instid0(VALU_DEP_1) | instskip(SKIP_1) | instid1(VALU_DEP_2)
	v_fmamk_f32 v0, v1, 0xcf800000, v0
	v_cvt_u32_f32_e32 v1, v1
	v_cvt_u32_f32_e32 v0, v0
.LBB142_1441:
	s_mov_b32 s0, 0
	s_mov_b32 s1, -1
	global_store_b64 v[4:5], v[0:1], off
.LBB142_1442:
	s_mov_b32 s10, 0
.LBB142_1443:
	s_delay_alu instid0(SALU_CYCLE_1)
	s_and_b32 vcc_lo, exec_lo, s10
	s_cbranch_vccz .LBB142_1467
; %bb.1444:
	v_cmp_gt_i16_e32 vcc_lo, 27, v12
	s_mov_b32 s1, -1
	s_cbranch_vccnz .LBB142_1464
; %bb.1445:
	v_cmp_lt_i16_e32 vcc_lo, 27, v12
	s_cbranch_vccz .LBB142_1454
; %bb.1446:
	v_and_b32_e64 v0, 0xff, s7
	s_delay_alu instid0(VALU_DEP_1)
	v_cmp_gt_i16_e32 vcc_lo, 0x80, v0
	s_cbranch_vccnz .LBB142_1448
; %bb.1447:
	v_cmp_ne_u16_e64 s1, 0x80, v0
	s_mov_b32 s11, 0
	s_mov_b32 s10, 0
	s_branch .LBB142_1449
.LBB142_1448:
	s_mov_b32 s11, -1
	s_mov_b32 s1, 0
                                        ; implicit-def: $sgpr10
.LBB142_1449:
	s_and_not1_b32 vcc_lo, exec_lo, s11
	s_cbranch_vccnz .LBB142_1451
; %bb.1450:
	v_cmp_ne_u16_e64 s1, 0, v0
	s_mov_b32 s10, 0
.LBB142_1451:
	s_delay_alu instid0(SALU_CYCLE_1) | instskip(NEXT) | instid1(VALU_DEP_2)
	v_mov_b32_e32 v0, s10
	s_and_not1_b32 vcc_lo, exec_lo, s1
	s_cbranch_vccnz .LBB142_1453
; %bb.1452:
	v_lshrrev_b16 v0, 3, s7
	s_and_b32 s1, s7, 7
	s_lshl_b32 s13, s7, 24
	s_clz_i32_u32 s10, s1
	s_delay_alu instid0(SALU_CYCLE_1) | instskip(SKIP_4) | instid1(VALU_DEP_1)
	s_min_u32 s10, s10, 32
	v_readfirstlane_b32 s11, v0
	s_sub_i32 s12, s10, 28
	s_sub_i32 s10, 29, s10
	s_lshl_b32 s12, s7, s12
	s_and_b32 s11, s11, 15
	s_and_b32 s12, s12, 7
	s_cmp_eq_u32 s11, 0
	s_cselect_b32 s10, s10, s11
	s_cselect_b32 s1, s12, s1
	s_lshl_b32 s10, s10, 23
	s_and_b32 s11, s13, 0x80000000
	s_add_i32 s10, s10, 0x3b800000
	s_lshl_b32 s1, s1, 20
	s_or_b32 s10, s11, s10
	s_delay_alu instid0(SALU_CYCLE_1) | instskip(NEXT) | instid1(SALU_CYCLE_1)
	s_or_b32 s1, s10, s1
	v_cvt_u32_f32_e32 v0, s1
.LBB142_1453:
	s_mov_b32 s1, 0
	global_store_b32 v[4:5], v0, off
.LBB142_1454:
	s_and_b32 vcc_lo, exec_lo, s1
	s_cbranch_vccz .LBB142_1463
; %bb.1455:
	v_and_b32_e64 v0, 0xff, s7
	s_delay_alu instid0(VALU_DEP_1)
	v_cmp_gt_i16_e32 vcc_lo, 0x80, v0
	s_cbranch_vccnz .LBB142_1457
; %bb.1456:
	v_cmp_ne_u16_e64 s1, 0x80, v0
	s_mov_b32 s11, 0
	s_mov_b32 s10, 0
	s_branch .LBB142_1458
.LBB142_1457:
	s_mov_b32 s11, -1
	s_mov_b32 s1, 0
                                        ; implicit-def: $sgpr10
.LBB142_1458:
	s_and_not1_b32 vcc_lo, exec_lo, s11
	s_cbranch_vccnz .LBB142_1460
; %bb.1459:
	v_cmp_ne_u16_e64 s1, 0, v0
	s_mov_b32 s10, 0
.LBB142_1460:
	s_delay_alu instid0(SALU_CYCLE_1) | instskip(NEXT) | instid1(VALU_DEP_2)
	v_mov_b32_e32 v0, s10
	s_and_not1_b32 vcc_lo, exec_lo, s1
	s_cbranch_vccnz .LBB142_1462
; %bb.1461:
	v_lshrrev_b16 v0, 3, s7
	s_and_b32 s1, s7, 7
	s_lshl_b32 s13, s7, 24
	s_clz_i32_u32 s10, s1
	s_delay_alu instid0(SALU_CYCLE_1) | instskip(SKIP_4) | instid1(VALU_DEP_1)
	s_min_u32 s10, s10, 32
	v_readfirstlane_b32 s11, v0
	s_sub_i32 s12, s10, 28
	s_sub_i32 s10, 29, s10
	s_lshl_b32 s12, s7, s12
	s_and_b32 s11, s11, 15
	s_and_b32 s12, s12, 7
	s_cmp_eq_u32 s11, 0
	s_cselect_b32 s10, s10, s11
	s_cselect_b32 s1, s12, s1
	s_lshl_b32 s10, s10, 23
	s_and_b32 s11, s13, 0x80000000
	s_add_i32 s10, s10, 0x3b800000
	s_lshl_b32 s1, s1, 20
	s_or_b32 s10, s11, s10
	s_delay_alu instid0(SALU_CYCLE_1) | instskip(NEXT) | instid1(SALU_CYCLE_1)
	s_or_b32 s1, s10, s1
	v_cvt_u32_f32_e32 v0, s1
.LBB142_1462:
	global_store_b16 v[4:5], v0, off
.LBB142_1463:
	s_mov_b32 s1, 0
.LBB142_1464:
	s_delay_alu instid0(SALU_CYCLE_1)
	s_and_not1_b32 vcc_lo, exec_lo, s1
	s_cbranch_vccnz .LBB142_1466
; %bb.1465:
	v_mov_b32_e32 v0, s7
	global_store_b8 v[4:5], v0, off
.LBB142_1466:
	s_mov_b32 s1, -1
.LBB142_1467:
	s_mov_b32 s10, 0
.LBB142_1468:
	s_delay_alu instid0(SALU_CYCLE_1)
	s_and_b32 vcc_lo, exec_lo, s10
	s_cbranch_vccz .LBB142_1554
; %bb.1469:
	v_cmp_lt_i16_e32 vcc_lo, 22, v12
	s_mov_b32 s9, -1
	s_cbranch_vccz .LBB142_1537
; %bb.1470:
	v_cmp_gt_i16_e32 vcc_lo, 24, v12
	s_mov_b32 s1, -1
	s_cbranch_vccnz .LBB142_1514
; %bb.1471:
	v_cmp_lt_i16_e32 vcc_lo, 24, v12
	s_cbranch_vccz .LBB142_1491
; %bb.1472:
	v_and_b32_e64 v0, 0xff, s7
	s_delay_alu instid0(VALU_DEP_1)
	v_cmp_gt_i16_e32 vcc_lo, 0x80, v0
	s_cbranch_vccnz .LBB142_1475
; %bb.1473:
	v_cmp_eq_u16_e32 vcc_lo, 0x80, v0
	s_cbranch_vccz .LBB142_1476
; %bb.1474:
	s_mov_b32 s9, 0
	s_mov_b32 s1, 0x7f800001
	s_branch .LBB142_1477
.LBB142_1475:
	s_mov_b32 s10, -1
	s_mov_b32 s9, 0
                                        ; implicit-def: $sgpr1
	s_branch .LBB142_1478
.LBB142_1476:
                                        ; implicit-def: $sgpr1
.LBB142_1477:
	s_mov_b32 s10, 0
.LBB142_1478:
	s_delay_alu instid0(SALU_CYCLE_1)
	s_and_b32 vcc_lo, exec_lo, s10
	s_cbranch_vccz .LBB142_1481
; %bb.1479:
	v_cmp_ne_u16_e64 s9, 0, v0
	s_mov_b32 s1, 0
	s_delay_alu instid0(VALU_DEP_1)
	s_and_not1_b32 vcc_lo, exec_lo, s9
	s_cbranch_vccz .LBB142_1482
.LBB142_1480:
	v_mov_b32_e32 v1, 0x80
	s_and_b32 s9, s1, 0x7fffffff
	s_delay_alu instid0(SALU_CYCLE_1)
	s_cmp_gt_u32 s9, 0x477fffff
	s_cbranch_scc0 .LBB142_1483
	s_branch .LBB142_1490
.LBB142_1481:
	s_and_not1_b32 vcc_lo, exec_lo, s9
	s_cbranch_vccnz .LBB142_1480
.LBB142_1482:
	v_lshrrev_b16 v0, 3, s7
	s_and_b32 s1, s7, 7
	s_lshl_b32 s12, s7, 24
	s_clz_i32_u32 s9, s1
	s_delay_alu instid0(SALU_CYCLE_1) | instskip(SKIP_4) | instid1(VALU_DEP_1)
	s_min_u32 s9, s9, 32
	v_readfirstlane_b32 s10, v0
	s_sub_i32 s11, s9, 28
	s_sub_i32 s9, 29, s9
	s_lshl_b32 s11, s7, s11
	s_and_b32 s10, s10, 15
	s_and_b32 s11, s11, 7
	s_cmp_eq_u32 s10, 0
	s_cselect_b32 s9, s9, s10
	s_cselect_b32 s1, s11, s1
	s_lshl_b32 s9, s9, 23
	s_and_b32 s10, s12, 0x80000000
	s_add_i32 s9, s9, 0x3b800000
	s_lshl_b32 s1, s1, 20
	s_or_b32 s9, s10, s9
	s_delay_alu instid0(SALU_CYCLE_1) | instskip(SKIP_2) | instid1(SALU_CYCLE_1)
	s_or_b32 s1, s9, s1
	v_mov_b32_e32 v1, 0x80
	s_and_b32 s9, s1, 0x7fffffff
	s_cmp_gt_u32 s9, 0x477fffff
	s_cbranch_scc1 .LBB142_1490
.LBB142_1483:
	s_cmp_gt_u32 s9, 0x37ffffff
	s_cbranch_scc0 .LBB142_1485
; %bb.1484:
	s_bfe_u32 s9, s1, 0x10015
	s_mov_b32 s10, 0
	s_add_i32 s9, s1, s9
	s_delay_alu instid0(SALU_CYCLE_1) | instskip(NEXT) | instid1(SALU_CYCLE_1)
	s_add_i32 s9, s9, 0x88fffff
	s_lshr_b32 s11, s9, 21
	s_mov_b32 s9, -1
	s_branch .LBB142_1486
.LBB142_1485:
	s_mov_b32 s10, -1
	s_mov_b32 s9, 0
                                        ; implicit-def: $sgpr11
.LBB142_1486:
	v_mov_b32_e32 v0, s11
	s_and_not1_b32 vcc_lo, exec_lo, s10
                                        ; implicit-def: $sgpr10
	s_cbranch_vccnz .LBB142_1488
; %bb.1487:
	v_add_f32_e64 v0, 0x42800000, |s1|
	s_mov_b32 s10, 0
	s_delay_alu instid0(VALU_DEP_1) | instskip(NEXT) | instid1(VALU_DEP_1)
	v_and_b32_e32 v0, 0xff, v0
	v_cmp_ne_u32_e64 s9, 0, v0
.LBB142_1488:
	v_mov_b32_e32 v1, s10
	s_delay_alu instid0(VALU_DEP_2)
	s_and_not1_b32 vcc_lo, exec_lo, s9
	s_cbranch_vccnz .LBB142_1490
; %bb.1489:
	s_lshr_b32 s1, s1, 24
	s_delay_alu instid0(SALU_CYCLE_1) | instskip(NEXT) | instid1(SALU_CYCLE_1)
	s_and_b32 s1, s1, 0x80
	v_or_b32_e32 v1, s1, v0
.LBB142_1490:
	s_mov_b32 s1, 0
	global_store_b8 v[4:5], v1, off
.LBB142_1491:
	s_and_b32 vcc_lo, exec_lo, s1
	s_cbranch_vccz .LBB142_1513
; %bb.1492:
	v_and_b32_e64 v0, 0xff, s7
	s_delay_alu instid0(VALU_DEP_1)
	v_cmp_gt_i16_e32 vcc_lo, 0x80, v0
	s_cbranch_vccnz .LBB142_1495
; %bb.1493:
	v_cmp_eq_u16_e32 vcc_lo, 0x80, v0
	s_cbranch_vccz .LBB142_1496
; %bb.1494:
	s_mov_b32 s9, 0
	s_mov_b32 s1, 0x7f800001
	s_branch .LBB142_1497
.LBB142_1495:
	s_mov_b32 s10, -1
	s_mov_b32 s9, 0
                                        ; implicit-def: $sgpr1
	s_branch .LBB142_1498
.LBB142_1496:
	s_mov_b32 s9, -1
                                        ; implicit-def: $sgpr1
.LBB142_1497:
	s_mov_b32 s10, 0
.LBB142_1498:
	s_delay_alu instid0(SALU_CYCLE_1)
	s_and_b32 vcc_lo, exec_lo, s10
	s_cbranch_vccz .LBB142_1503
; %bb.1499:
	v_cmp_ne_u16_e64 s9, 0, v0
	s_mov_b32 s1, 0
	s_delay_alu instid0(VALU_DEP_1)
	s_and_not1_b32 vcc_lo, exec_lo, s9
	s_cbranch_vccz .LBB142_1504
.LBB142_1500:
	s_and_b32 s9, s1, 0x7fffffff
	s_delay_alu instid0(SALU_CYCLE_1)
	s_cmp_lt_u32 s9, 0x43f00000
	s_cbranch_scc0 .LBB142_1505
.LBB142_1501:
	s_cmp_gt_u32 s9, 0x3c7fffff
	s_cbranch_scc0 .LBB142_1506
; %bb.1502:
	s_bfe_u32 s10, s1, 0x10014
	s_delay_alu instid0(SALU_CYCLE_1) | instskip(NEXT) | instid1(SALU_CYCLE_1)
	s_add_i32 s10, s1, s10
	s_add_i32 s10, s10, 0x407ffff
	s_delay_alu instid0(SALU_CYCLE_1)
	s_and_b32 s11, s10, 0xff00000
	s_lshr_b32 s10, s10, 20
	s_cmp_lg_u32 s11, 0x7f00000
	s_cselect_b32 s11, s10, 0x7e
	s_mov_b32 s10, 0
	s_branch .LBB142_1507
.LBB142_1503:
	s_and_not1_b32 vcc_lo, exec_lo, s9
	s_cbranch_vccnz .LBB142_1500
.LBB142_1504:
	v_lshrrev_b16 v0, 3, s7
	s_and_b32 s1, s7, 7
	s_lshl_b32 s12, s7, 24
	s_clz_i32_u32 s9, s1
	s_delay_alu instid0(SALU_CYCLE_1) | instskip(SKIP_4) | instid1(VALU_DEP_1)
	s_min_u32 s9, s9, 32
	v_readfirstlane_b32 s10, v0
	s_sub_i32 s11, s9, 28
	s_sub_i32 s9, 29, s9
	s_lshl_b32 s11, s7, s11
	s_and_b32 s10, s10, 15
	s_and_b32 s11, s11, 7
	s_cmp_eq_u32 s10, 0
	s_cselect_b32 s9, s9, s10
	s_cselect_b32 s1, s11, s1
	s_lshl_b32 s9, s9, 23
	s_and_b32 s10, s12, 0x80000000
	s_add_i32 s9, s9, 0x3b800000
	s_lshl_b32 s1, s1, 20
	s_or_b32 s9, s10, s9
	s_delay_alu instid0(SALU_CYCLE_1) | instskip(NEXT) | instid1(SALU_CYCLE_1)
	s_or_b32 s1, s9, s1
	s_and_b32 s9, s1, 0x7fffffff
	s_delay_alu instid0(SALU_CYCLE_1)
	s_cmp_lt_u32 s9, 0x43f00000
	s_cbranch_scc1 .LBB142_1501
.LBB142_1505:
	s_mov_b32 s10, -1
                                        ; implicit-def: $vgpr0
	s_branch .LBB142_1510
.LBB142_1506:
	s_mov_b32 s10, -1
                                        ; implicit-def: $sgpr11
.LBB142_1507:
	v_mov_b32_e32 v0, s11
	s_and_not1_b32 vcc_lo, exec_lo, s10
	s_cbranch_vccnz .LBB142_1509
; %bb.1508:
	v_add_f32_e64 v0, 0x46800000, |s1|
.LBB142_1509:
	s_mov_b32 s10, 0
.LBB142_1510:
	s_delay_alu instid0(SALU_CYCLE_1)
	s_and_not1_b32 vcc_lo, exec_lo, s10
	s_cbranch_vccnz .LBB142_1512
; %bb.1511:
	s_cmp_gt_u32 s9, 0x7f800000
	s_movk_i32 s9, 0x7f
	s_delay_alu instid0(SALU_CYCLE_1) | instskip(NEXT) | instid1(SALU_CYCLE_1)
	s_cselect_b32 s9, s9, 0x7e
	v_mov_b32_e32 v0, s9
.LBB142_1512:
	s_lshr_b32 s1, s1, 24
	s_delay_alu instid0(SALU_CYCLE_1)
	s_and_b32 s1, s1, 0x80
	s_delay_alu instid0(VALU_DEP_1) | instid1(SALU_CYCLE_1)
	v_or_b32_e32 v0, s1, v0
	global_store_b8 v[4:5], v0, off
.LBB142_1513:
	s_mov_b32 s1, 0
.LBB142_1514:
	s_delay_alu instid0(SALU_CYCLE_1)
	s_and_not1_b32 vcc_lo, exec_lo, s1
	s_cbranch_vccnz .LBB142_1536
; %bb.1515:
	v_and_b32_e64 v0, 0xff, s7
	s_delay_alu instid0(VALU_DEP_1)
	v_cmp_gt_i16_e32 vcc_lo, 0x80, v0
	s_cbranch_vccnz .LBB142_1518
; %bb.1516:
	v_cmp_eq_u16_e32 vcc_lo, 0x80, v0
	s_cbranch_vccz .LBB142_1519
; %bb.1517:
	s_mov_b32 s9, 0
	s_mov_b32 s1, 0x7f800001
	s_branch .LBB142_1520
.LBB142_1518:
	s_mov_b32 s10, -1
	s_mov_b32 s9, 0
                                        ; implicit-def: $sgpr1
	s_branch .LBB142_1521
.LBB142_1519:
	s_mov_b32 s9, -1
                                        ; implicit-def: $sgpr1
.LBB142_1520:
	s_mov_b32 s10, 0
.LBB142_1521:
	s_delay_alu instid0(SALU_CYCLE_1)
	s_and_b32 vcc_lo, exec_lo, s10
	s_cbranch_vccz .LBB142_1526
; %bb.1522:
	v_cmp_ne_u16_e64 s9, 0, v0
	s_mov_b32 s1, 0
	s_delay_alu instid0(VALU_DEP_1)
	s_and_not1_b32 vcc_lo, exec_lo, s9
	s_cbranch_vccz .LBB142_1527
.LBB142_1523:
	s_and_b32 s9, s1, 0x7fffffff
	s_delay_alu instid0(SALU_CYCLE_1)
	s_cmp_lt_u32 s9, 0x47800000
	s_cbranch_scc0 .LBB142_1528
.LBB142_1524:
	s_cmp_gt_u32 s9, 0x387fffff
	s_cbranch_scc0 .LBB142_1529
; %bb.1525:
	s_bfe_u32 s10, s1, 0x10015
	s_delay_alu instid0(SALU_CYCLE_1) | instskip(NEXT) | instid1(SALU_CYCLE_1)
	s_add_i32 s10, s1, s10
	s_add_i32 s10, s10, 0x80fffff
	s_delay_alu instid0(SALU_CYCLE_1)
	s_lshr_b32 s11, s10, 21
	s_mov_b32 s10, 0
	s_branch .LBB142_1530
.LBB142_1526:
	s_and_not1_b32 vcc_lo, exec_lo, s9
	s_cbranch_vccnz .LBB142_1523
.LBB142_1527:
	v_lshrrev_b16 v0, 3, s7
	s_and_b32 s1, s7, 7
	s_lshl_b32 s12, s7, 24
	s_clz_i32_u32 s9, s1
	s_delay_alu instid0(SALU_CYCLE_1) | instskip(SKIP_4) | instid1(VALU_DEP_1)
	s_min_u32 s9, s9, 32
	v_readfirstlane_b32 s10, v0
	s_sub_i32 s11, s9, 28
	s_sub_i32 s9, 29, s9
	s_lshl_b32 s11, s7, s11
	s_and_b32 s10, s10, 15
	s_and_b32 s11, s11, 7
	s_cmp_eq_u32 s10, 0
	s_cselect_b32 s9, s9, s10
	s_cselect_b32 s1, s11, s1
	s_lshl_b32 s9, s9, 23
	s_and_b32 s10, s12, 0x80000000
	s_add_i32 s9, s9, 0x3b800000
	s_lshl_b32 s1, s1, 20
	s_or_b32 s9, s10, s9
	s_delay_alu instid0(SALU_CYCLE_1) | instskip(NEXT) | instid1(SALU_CYCLE_1)
	s_or_b32 s1, s9, s1
	s_and_b32 s9, s1, 0x7fffffff
	s_delay_alu instid0(SALU_CYCLE_1)
	s_cmp_lt_u32 s9, 0x47800000
	s_cbranch_scc1 .LBB142_1524
.LBB142_1528:
	s_mov_b32 s10, -1
                                        ; implicit-def: $vgpr0
	s_branch .LBB142_1533
.LBB142_1529:
	s_mov_b32 s10, -1
                                        ; implicit-def: $sgpr11
.LBB142_1530:
	v_mov_b32_e32 v0, s11
	s_and_not1_b32 vcc_lo, exec_lo, s10
	s_cbranch_vccnz .LBB142_1532
; %bb.1531:
	v_add_f32_e64 v0, 0x43000000, |s1|
.LBB142_1532:
	s_mov_b32 s10, 0
.LBB142_1533:
	s_delay_alu instid0(SALU_CYCLE_1)
	s_and_not1_b32 vcc_lo, exec_lo, s10
	s_cbranch_vccnz .LBB142_1535
; %bb.1534:
	s_cmp_gt_u32 s9, 0x7f800000
	s_movk_i32 s9, 0x7f
	s_delay_alu instid0(SALU_CYCLE_1) | instskip(NEXT) | instid1(SALU_CYCLE_1)
	s_cselect_b32 s9, s9, 0x7c
	v_mov_b32_e32 v0, s9
.LBB142_1535:
	s_lshr_b32 s1, s1, 24
	s_delay_alu instid0(SALU_CYCLE_1)
	s_and_b32 s1, s1, 0x80
	s_delay_alu instid0(VALU_DEP_1) | instid1(SALU_CYCLE_1)
	v_or_b32_e32 v0, s1, v0
	global_store_b8 v[4:5], v0, off
.LBB142_1536:
	s_mov_b32 s9, 0
	s_mov_b32 s1, -1
.LBB142_1537:
	s_and_not1_b32 vcc_lo, exec_lo, s9
	s_mov_b32 s9, 0
	s_cbranch_vccnz .LBB142_1554
; %bb.1538:
	v_cmp_lt_i16_e32 vcc_lo, 14, v12
	s_mov_b32 s9, -1
	s_cbranch_vccz .LBB142_1552
; %bb.1539:
	v_cmp_eq_u16_e32 vcc_lo, 15, v12
	s_mov_b32 s0, -1
	s_cbranch_vccz .LBB142_1551
; %bb.1540:
	v_and_b32_e64 v0, 0xff, s7
	s_delay_alu instid0(VALU_DEP_1)
	v_cmp_gt_i16_e32 vcc_lo, 0x80, v0
	s_cbranch_vccnz .LBB142_1543
; %bb.1541:
	v_cmp_eq_u16_e32 vcc_lo, 0x80, v0
	s_cbranch_vccz .LBB142_1544
; %bb.1542:
	s_mov_b32 s1, 0
	s_mov_b32 s0, 0x7f800001
	s_branch .LBB142_1545
.LBB142_1543:
	s_mov_b32 s1, 0
                                        ; implicit-def: $sgpr0
	s_branch .LBB142_1546
.LBB142_1544:
	s_mov_b32 s1, -1
                                        ; implicit-def: $sgpr0
.LBB142_1545:
	s_mov_b32 s9, 0
.LBB142_1546:
	s_delay_alu instid0(SALU_CYCLE_1)
	s_and_b32 vcc_lo, exec_lo, s9
	s_cbranch_vccz .LBB142_1548
; %bb.1547:
	v_cmp_ne_u16_e64 s1, 0, v0
	s_mov_b32 s0, 0
.LBB142_1548:
	s_delay_alu instid0(VALU_DEP_1)
	s_and_not1_b32 vcc_lo, exec_lo, s1
	s_cbranch_vccnz .LBB142_1550
; %bb.1549:
	v_lshrrev_b16 v0, 3, s7
	s_and_b32 s0, s7, 7
	s_lshl_b32 s11, s7, 24
	s_clz_i32_u32 s1, s0
	s_delay_alu instid0(SALU_CYCLE_1) | instskip(SKIP_4) | instid1(VALU_DEP_1)
	s_min_u32 s1, s1, 32
	v_readfirstlane_b32 s9, v0
	s_sub_i32 s10, s1, 28
	s_sub_i32 s1, 29, s1
	s_lshl_b32 s10, s7, s10
	s_and_b32 s9, s9, 15
	s_and_b32 s10, s10, 7
	s_cmp_eq_u32 s9, 0
	s_cselect_b32 s1, s1, s9
	s_cselect_b32 s0, s10, s0
	s_lshl_b32 s1, s1, 23
	s_and_b32 s9, s11, 0x80000000
	s_add_i32 s1, s1, 0x3b800000
	s_lshl_b32 s0, s0, 20
	s_or_b32 s1, s9, s1
	s_delay_alu instid0(SALU_CYCLE_1)
	s_or_b32 s0, s1, s0
.LBB142_1550:
	s_delay_alu instid0(SALU_CYCLE_1) | instskip(NEXT) | instid1(SALU_CYCLE_1)
	s_bfe_u32 s1, s0, 0x10010
	s_add_i32 s1, s0, s1
	v_cmp_o_f32_e64 s0, s0, s0
	s_addk_i32 s1, 0x7fff
	s_delay_alu instid0(SALU_CYCLE_1) | instskip(NEXT) | instid1(VALU_DEP_1)
	s_lshr_b32 s1, s1, 16
	s_and_b32 s0, s0, exec_lo
	s_cselect_b32 s0, s1, 0x7fc0
	s_mov_b32 s1, -1
	v_mov_b32_e32 v0, s0
	s_mov_b32 s0, 0
	global_store_b16 v[4:5], v0, off
.LBB142_1551:
	s_mov_b32 s9, 0
.LBB142_1552:
	s_delay_alu instid0(SALU_CYCLE_1)
	s_and_b32 vcc_lo, exec_lo, s9
	s_mov_b32 s9, 0
	s_cbranch_vccz .LBB142_1554
; %bb.1553:
	v_cmp_ne_u16_e64 s0, 11, v12
	s_mov_b32 s9, -1
.LBB142_1554:
	s_delay_alu instid0(VALU_DEP_1)
	s_and_b32 vcc_lo, exec_lo, s0
	s_cbranch_vccnz .LBB142_1567
; %bb.1555:
	s_and_not1_b32 vcc_lo, exec_lo, s9
	s_cbranch_vccnz .LBB142_1569
.LBB142_1556:
	v_and_b32_e64 v0, 0xff, s7
	s_delay_alu instid0(VALU_DEP_1)
	v_cmp_gt_i16_e32 vcc_lo, 0x80, v0
	s_cbranch_vccnz .LBB142_1559
; %bb.1557:
	v_cmp_eq_u16_e32 vcc_lo, 0x80, v0
	s_cbranch_vccz .LBB142_1560
; %bb.1558:
	s_mov_b32 s1, 0
	s_mov_b32 s0, -1
	s_branch .LBB142_1561
.LBB142_1559:
	s_mov_b32 s9, -1
	s_mov_b32 s1, 0
                                        ; implicit-def: $sgpr0
	s_branch .LBB142_1562
.LBB142_1560:
	s_mov_b32 s1, -1
                                        ; implicit-def: $sgpr0
.LBB142_1561:
	s_mov_b32 s9, 0
.LBB142_1562:
	s_delay_alu instid0(SALU_CYCLE_1)
	s_and_b32 vcc_lo, exec_lo, s9
	s_cbranch_vccz .LBB142_1564
; %bb.1563:
	v_cmp_ne_u16_e64 s1, 0, v0
	s_mov_b32 s0, 0
.LBB142_1564:
	s_delay_alu instid0(VALU_DEP_1)
	s_and_not1_b32 vcc_lo, exec_lo, s1
	s_cbranch_vccnz .LBB142_1566
; %bb.1565:
	v_lshrrev_b16 v0, 3, s7
	s_and_b32 s0, s7, 7
	s_delay_alu instid0(SALU_CYCLE_1) | instskip(NEXT) | instid1(SALU_CYCLE_1)
	s_clz_i32_u32 s1, s0
	s_min_u32 s1, s1, 32
	s_delay_alu instid0(VALU_DEP_1) | instskip(SKIP_3) | instid1(VALU_DEP_1)
	v_readfirstlane_b32 s9, v0
	s_sub_i32 s10, s1, 28
	s_sub_i32 s1, 29, s1
	s_lshl_b32 s10, s7, s10
	s_and_b32 s9, s9, 15
	s_and_b32 s10, s10, 7
	s_cmp_eq_u32 s9, 0
	s_cselect_b32 s1, s1, s9
	s_cselect_b32 s0, s10, s0
	s_lshl_b32 s1, s1, 23
	s_lshl_b32 s0, s0, 20
	s_add_i32 s1, s1, 0x3b800000
	s_delay_alu instid0(SALU_CYCLE_1) | instskip(NEXT) | instid1(SALU_CYCLE_1)
	s_and_b32 s1, s1, 0x7f800000
	s_or_b32 s0, s1, s0
	s_delay_alu instid0(SALU_CYCLE_1)
	s_cmp_lg_u32 s0, 0
	s_cselect_b32 s0, -1, 0
.LBB142_1566:
	s_delay_alu instid0(SALU_CYCLE_1)
	v_cndmask_b32_e64 v0, 0, 1, s0
	s_mov_b32 s1, -1
	s_mov_b32 s0, 0
	global_store_b8 v[4:5], v0, off
	s_branch .LBB142_1570
.LBB142_1567:
	s_cbranch_execnz .LBB142_1579
; %bb.1568:
	s_or_b32 s8, s8, exec_lo
	s_cbranch_execz .LBB142_1556
.LBB142_1569:
	s_mov_b32 s0, 0
.LBB142_1570:
	s_delay_alu instid0(SALU_CYCLE_1)
	s_and_b32 vcc_lo, exec_lo, s0
	s_cbranch_vccz .LBB142_1706
; %bb.1571:
	v_cmp_gt_i16_e32 vcc_lo, 5, v12
	s_mov_b32 s0, -1
	s_cbranch_vccnz .LBB142_1654
; %bb.1572:
	v_cmp_gt_i16_e32 vcc_lo, 8, v12
	s_cbranch_vccnz .LBB142_1614
; %bb.1573:
	v_cmp_gt_i16_e32 vcc_lo, 9, v12
	s_cbranch_vccnz .LBB142_1601
; %bb.1574:
	v_cmp_lt_i16_e32 vcc_lo, 9, v12
	s_cbranch_vccz .LBB142_1588
; %bb.1575:
	v_and_b32_e64 v0, 0xff, s7
	s_delay_alu instid0(VALU_DEP_1)
	v_cmp_gt_i16_e32 vcc_lo, 0x80, v0
	s_cbranch_vccnz .LBB142_1578
; %bb.1576:
	v_cmp_eq_u16_e32 vcc_lo, 0x80, v0
	s_cbranch_vccz .LBB142_1581
; %bb.1577:
	s_mov_b32 s9, 0
	s_mov_b32 s1, 0x7ff80000
	s_brev_b32 s0, 4
	s_branch .LBB142_1582
.LBB142_1578:
	s_mov_b32 s10, -1
	s_mov_b32 s9, 0
                                        ; implicit-def: $sgpr0_sgpr1
	s_branch .LBB142_1583
.LBB142_1579:
	s_trap 2
	s_sendmsg_rtn_b32 s0, sendmsg(MSG_RTN_GET_DOORBELL)
	s_mov_b32 ttmp2, m0
	s_waitcnt lgkmcnt(0)
	s_and_b32 s0, s0, 0x3ff
	s_delay_alu instid0(SALU_CYCLE_1) | instskip(NEXT) | instid1(SALU_CYCLE_1)
	s_bitset1_b32 s0, 10
	s_mov_b32 m0, s0
	s_sendmsg sendmsg(MSG_INTERRUPT)
	s_mov_b32 m0, ttmp2
.LBB142_1580:                           ; =>This Inner Loop Header: Depth=1
	s_sethalt 5
	s_branch .LBB142_1580
.LBB142_1581:
	s_mov_b32 s9, -1
                                        ; implicit-def: $sgpr0_sgpr1
.LBB142_1582:
	s_mov_b32 s10, 0
.LBB142_1583:
	s_delay_alu instid0(SALU_CYCLE_1)
	s_and_b32 vcc_lo, exec_lo, s10
	s_cbranch_vccz .LBB142_1585
; %bb.1584:
	v_cmp_ne_u16_e64 s9, 0, v0
	s_mov_b64 s[0:1], 0
.LBB142_1585:
	s_delay_alu instid0(SALU_CYCLE_1) | instskip(NEXT) | instid1(VALU_DEP_2)
	v_dual_mov_b32 v0, s0 :: v_dual_mov_b32 v1, s1
	s_and_not1_b32 vcc_lo, exec_lo, s9
	s_cbranch_vccnz .LBB142_1587
; %bb.1586:
	v_lshrrev_b16 v0, 3, s7
	s_and_b32 s0, s7, 7
	s_lshl_b32 s11, s7, 24
	s_clz_i32_u32 s1, s0
	s_delay_alu instid0(SALU_CYCLE_1) | instskip(SKIP_4) | instid1(VALU_DEP_1)
	s_min_u32 s1, s1, 32
	v_readfirstlane_b32 s9, v0
	s_sub_i32 s10, s1, 28
	s_sub_i32 s1, 29, s1
	s_lshl_b32 s10, s7, s10
	s_and_b32 s9, s9, 15
	s_and_b32 s10, s10, 7
	s_cmp_eq_u32 s9, 0
	s_cselect_b32 s1, s1, s9
	s_cselect_b32 s0, s10, s0
	s_lshl_b32 s1, s1, 23
	s_and_b32 s9, s11, 0x80000000
	s_add_i32 s1, s1, 0x3b800000
	s_lshl_b32 s0, s0, 20
	s_or_b32 s1, s9, s1
	s_delay_alu instid0(SALU_CYCLE_1) | instskip(NEXT) | instid1(SALU_CYCLE_1)
	s_or_b32 s0, s1, s0
	v_cvt_f64_f32_e32 v[0:1], s0
.LBB142_1587:
	v_mov_b32_e32 v2, 0
	s_mov_b32 s0, 0
	s_delay_alu instid0(VALU_DEP_1)
	v_mov_b32_e32 v3, v2
	global_store_b128 v[4:5], v[0:3], off
.LBB142_1588:
	s_and_b32 vcc_lo, exec_lo, s0
	s_cbranch_vccz .LBB142_1600
; %bb.1589:
	v_and_b32_e64 v1, 0xff, s7
	s_delay_alu instid0(VALU_DEP_1)
	v_cmp_gt_i16_e32 vcc_lo, 0x80, v1
	s_cbranch_vccnz .LBB142_1592
; %bb.1590:
	v_cmp_eq_u16_e32 vcc_lo, 0x80, v1
	s_cbranch_vccz .LBB142_1593
; %bb.1591:
	s_mov_b32 s0, 0
	s_mov_b32 s1, 0x7f800001
	s_branch .LBB142_1594
.LBB142_1592:
	s_mov_b32 s9, -1
	s_mov_b32 s0, 0
                                        ; implicit-def: $sgpr1
	s_branch .LBB142_1595
.LBB142_1593:
	s_mov_b32 s0, -1
                                        ; implicit-def: $sgpr1
.LBB142_1594:
	s_mov_b32 s9, 0
.LBB142_1595:
	v_mov_b32_e32 v0, s1
	s_and_b32 vcc_lo, exec_lo, s9
	s_cbranch_vccz .LBB142_1597
; %bb.1596:
	v_and_b32_e32 v0, 0xffff, v1
	v_cmp_ne_u16_e64 s0, 0, v1
.LBB142_1597:
	s_delay_alu instid0(VALU_DEP_1)
	s_and_not1_b32 vcc_lo, exec_lo, s0
	s_cbranch_vccnz .LBB142_1599
; %bb.1598:
	v_lshrrev_b16 v0, 3, s7
	s_and_b32 s0, s7, 7
	s_lshl_b32 s11, s7, 24
	s_clz_i32_u32 s1, s0
	s_delay_alu instid0(SALU_CYCLE_1) | instskip(SKIP_4) | instid1(VALU_DEP_1)
	s_min_u32 s1, s1, 32
	v_readfirstlane_b32 s9, v0
	s_sub_i32 s10, s1, 28
	s_sub_i32 s1, 29, s1
	s_lshl_b32 s10, s7, s10
	s_and_b32 s9, s9, 15
	s_and_b32 s10, s10, 7
	s_cmp_eq_u32 s9, 0
	s_cselect_b32 s1, s1, s9
	s_cselect_b32 s0, s10, s0
	s_lshl_b32 s1, s1, 23
	s_and_b32 s9, s11, 0x80000000
	s_add_i32 s1, s1, 0x3b800000
	s_lshl_b32 s0, s0, 20
	s_or_b32 s1, s9, s1
	s_delay_alu instid0(SALU_CYCLE_1) | instskip(NEXT) | instid1(SALU_CYCLE_1)
	s_or_b32 s0, s1, s0
	v_mov_b32_e32 v0, s0
.LBB142_1599:
	v_mov_b32_e32 v1, 0
	global_store_b64 v[4:5], v[0:1], off
.LBB142_1600:
	s_mov_b32 s0, 0
.LBB142_1601:
	s_delay_alu instid0(SALU_CYCLE_1)
	s_and_not1_b32 vcc_lo, exec_lo, s0
	s_cbranch_vccnz .LBB142_1613
; %bb.1602:
	v_and_b32_e64 v0, 0xff, s7
	s_delay_alu instid0(VALU_DEP_1)
	v_cmp_gt_i16_e32 vcc_lo, 0x80, v0
	s_cbranch_vccnz .LBB142_1605
; %bb.1603:
	v_cmp_eq_u16_e32 vcc_lo, 0x80, v0
	s_cbranch_vccz .LBB142_1606
; %bb.1604:
	s_mov_b32 s0, 0
	s_movk_i32 s1, 0x7e00
	s_branch .LBB142_1607
.LBB142_1605:
	s_mov_b32 s9, -1
	s_mov_b32 s0, 0
                                        ; implicit-def: $sgpr1
	s_branch .LBB142_1608
.LBB142_1606:
	s_mov_b32 s0, -1
                                        ; implicit-def: $sgpr1
.LBB142_1607:
	s_mov_b32 s9, 0
.LBB142_1608:
	v_mov_b32_e32 v1, s1
	s_and_b32 vcc_lo, exec_lo, s9
	s_cbranch_vccz .LBB142_1610
; %bb.1609:
	v_and_b32_e32 v1, 0xffff, v0
	v_cmp_ne_u16_e64 s0, 0, v0
.LBB142_1610:
	s_delay_alu instid0(VALU_DEP_1)
	s_and_not1_b32 vcc_lo, exec_lo, s0
	s_cbranch_vccnz .LBB142_1612
; %bb.1611:
	v_lshrrev_b16 v0, 3, s7
	s_and_b32 s0, s7, 7
	s_lshl_b32 s11, s7, 24
	s_clz_i32_u32 s1, s0
	s_delay_alu instid0(SALU_CYCLE_1) | instskip(SKIP_4) | instid1(VALU_DEP_1)
	s_min_u32 s1, s1, 32
	v_readfirstlane_b32 s9, v0
	s_sub_i32 s10, s1, 28
	s_sub_i32 s1, 29, s1
	s_lshl_b32 s10, s7, s10
	s_and_b32 s9, s9, 15
	s_and_b32 s10, s10, 7
	s_cmp_eq_u32 s9, 0
	s_cselect_b32 s1, s1, s9
	s_cselect_b32 s0, s10, s0
	s_lshl_b32 s1, s1, 23
	s_and_b32 s9, s11, 0x80000000
	s_add_i32 s1, s1, 0x3b800000
	s_lshl_b32 s0, s0, 20
	s_or_b32 s1, s9, s1
	s_delay_alu instid0(SALU_CYCLE_1) | instskip(NEXT) | instid1(SALU_CYCLE_1)
	s_or_b32 s0, s1, s0
	v_cvt_f16_f32_e32 v0, s0
	s_delay_alu instid0(VALU_DEP_1)
	v_and_b32_e32 v1, 0xffff, v0
.LBB142_1612:
	global_store_b32 v[4:5], v1, off
.LBB142_1613:
	s_mov_b32 s0, 0
.LBB142_1614:
	s_delay_alu instid0(SALU_CYCLE_1)
	s_and_not1_b32 vcc_lo, exec_lo, s0
	s_cbranch_vccnz .LBB142_1653
; %bb.1615:
	v_cmp_gt_i16_e32 vcc_lo, 6, v12
	s_mov_b32 s0, -1
	s_cbranch_vccnz .LBB142_1641
; %bb.1616:
	v_cmp_lt_i16_e32 vcc_lo, 6, v12
	s_cbranch_vccz .LBB142_1628
; %bb.1617:
	v_and_b32_e64 v0, 0xff, s7
	s_delay_alu instid0(VALU_DEP_1)
	v_cmp_gt_i16_e32 vcc_lo, 0x80, v0
	s_cbranch_vccnz .LBB142_1620
; %bb.1618:
	v_cmp_eq_u16_e32 vcc_lo, 0x80, v0
	s_cbranch_vccz .LBB142_1621
; %bb.1619:
	s_mov_b32 s9, 0
	s_mov_b32 s1, 0x7ff80000
	s_brev_b32 s0, 4
	s_branch .LBB142_1622
.LBB142_1620:
	s_mov_b32 s10, -1
	s_mov_b32 s9, 0
                                        ; implicit-def: $sgpr0_sgpr1
	s_branch .LBB142_1623
.LBB142_1621:
	s_mov_b32 s9, -1
                                        ; implicit-def: $sgpr0_sgpr1
.LBB142_1622:
	s_mov_b32 s10, 0
.LBB142_1623:
	s_delay_alu instid0(SALU_CYCLE_1)
	s_and_b32 vcc_lo, exec_lo, s10
	s_cbranch_vccz .LBB142_1625
; %bb.1624:
	v_cmp_ne_u16_e64 s9, 0, v0
	s_mov_b64 s[0:1], 0
.LBB142_1625:
	s_delay_alu instid0(SALU_CYCLE_1) | instskip(NEXT) | instid1(VALU_DEP_2)
	v_dual_mov_b32 v0, s0 :: v_dual_mov_b32 v1, s1
	s_and_not1_b32 vcc_lo, exec_lo, s9
	s_cbranch_vccnz .LBB142_1627
; %bb.1626:
	v_lshrrev_b16 v0, 3, s7
	s_and_b32 s0, s7, 7
	s_lshl_b32 s11, s7, 24
	s_clz_i32_u32 s1, s0
	s_delay_alu instid0(SALU_CYCLE_1) | instskip(SKIP_4) | instid1(VALU_DEP_1)
	s_min_u32 s1, s1, 32
	v_readfirstlane_b32 s9, v0
	s_sub_i32 s10, s1, 28
	s_sub_i32 s1, 29, s1
	s_lshl_b32 s10, s7, s10
	s_and_b32 s9, s9, 15
	s_and_b32 s10, s10, 7
	s_cmp_eq_u32 s9, 0
	s_cselect_b32 s1, s1, s9
	s_cselect_b32 s0, s10, s0
	s_lshl_b32 s1, s1, 23
	s_and_b32 s9, s11, 0x80000000
	s_add_i32 s1, s1, 0x3b800000
	s_lshl_b32 s0, s0, 20
	s_or_b32 s1, s9, s1
	s_delay_alu instid0(SALU_CYCLE_1) | instskip(NEXT) | instid1(SALU_CYCLE_1)
	s_or_b32 s0, s1, s0
	v_cvt_f64_f32_e32 v[0:1], s0
.LBB142_1627:
	s_mov_b32 s0, 0
	global_store_b64 v[4:5], v[0:1], off
.LBB142_1628:
	s_and_b32 vcc_lo, exec_lo, s0
	s_cbranch_vccz .LBB142_1640
; %bb.1629:
	v_and_b32_e64 v0, 0xff, s7
	s_delay_alu instid0(VALU_DEP_1)
	v_cmp_gt_i16_e32 vcc_lo, 0x80, v0
	s_cbranch_vccnz .LBB142_1632
; %bb.1630:
	v_cmp_eq_u16_e32 vcc_lo, 0x80, v0
	s_cbranch_vccz .LBB142_1633
; %bb.1631:
	s_mov_b32 s0, 0
	s_mov_b32 s1, 0x7f800001
	s_branch .LBB142_1634
.LBB142_1632:
	s_mov_b32 s9, -1
	s_mov_b32 s0, 0
                                        ; implicit-def: $sgpr1
	s_branch .LBB142_1635
.LBB142_1633:
	s_mov_b32 s0, -1
                                        ; implicit-def: $sgpr1
.LBB142_1634:
	s_mov_b32 s9, 0
.LBB142_1635:
	v_mov_b32_e32 v1, s1
	s_and_b32 vcc_lo, exec_lo, s9
	s_cbranch_vccz .LBB142_1637
; %bb.1636:
	v_and_b32_e32 v1, 0xffff, v0
	v_cmp_ne_u16_e64 s0, 0, v0
.LBB142_1637:
	s_delay_alu instid0(VALU_DEP_1)
	s_and_not1_b32 vcc_lo, exec_lo, s0
	s_cbranch_vccnz .LBB142_1639
; %bb.1638:
	v_lshrrev_b16 v0, 3, s7
	s_and_b32 s0, s7, 7
	s_lshl_b32 s11, s7, 24
	s_clz_i32_u32 s1, s0
	s_delay_alu instid0(SALU_CYCLE_1) | instskip(SKIP_4) | instid1(VALU_DEP_1)
	s_min_u32 s1, s1, 32
	v_readfirstlane_b32 s9, v0
	s_sub_i32 s10, s1, 28
	s_sub_i32 s1, 29, s1
	s_lshl_b32 s10, s7, s10
	s_and_b32 s9, s9, 15
	s_and_b32 s10, s10, 7
	s_cmp_eq_u32 s9, 0
	s_cselect_b32 s1, s1, s9
	s_cselect_b32 s0, s10, s0
	s_lshl_b32 s1, s1, 23
	s_and_b32 s9, s11, 0x80000000
	s_add_i32 s1, s1, 0x3b800000
	s_lshl_b32 s0, s0, 20
	s_or_b32 s1, s9, s1
	s_delay_alu instid0(SALU_CYCLE_1) | instskip(NEXT) | instid1(SALU_CYCLE_1)
	s_or_b32 s0, s1, s0
	v_mov_b32_e32 v1, s0
.LBB142_1639:
	global_store_b32 v[4:5], v1, off
.LBB142_1640:
	s_mov_b32 s0, 0
.LBB142_1641:
	s_delay_alu instid0(SALU_CYCLE_1)
	s_and_not1_b32 vcc_lo, exec_lo, s0
	s_cbranch_vccnz .LBB142_1653
; %bb.1642:
	v_and_b32_e64 v0, 0xff, s7
	s_delay_alu instid0(VALU_DEP_1)
	v_cmp_gt_i16_e32 vcc_lo, 0x80, v0
	s_cbranch_vccnz .LBB142_1645
; %bb.1643:
	v_cmp_eq_u16_e32 vcc_lo, 0x80, v0
	s_cbranch_vccz .LBB142_1646
; %bb.1644:
	s_mov_b32 s0, 0
	s_movk_i32 s1, 0x7e00
	s_branch .LBB142_1647
.LBB142_1645:
	s_mov_b32 s9, -1
	s_mov_b32 s0, 0
                                        ; implicit-def: $sgpr1
	s_branch .LBB142_1648
.LBB142_1646:
	s_mov_b32 s0, -1
                                        ; implicit-def: $sgpr1
.LBB142_1647:
	s_mov_b32 s9, 0
.LBB142_1648:
	v_mov_b32_e32 v1, s1
	s_and_b32 vcc_lo, exec_lo, s9
	s_cbranch_vccz .LBB142_1650
; %bb.1649:
	v_cmp_ne_u16_e64 s0, 0, v0
	v_mov_b32_e32 v1, v0
.LBB142_1650:
	s_delay_alu instid0(VALU_DEP_2)
	s_and_not1_b32 vcc_lo, exec_lo, s0
	s_cbranch_vccnz .LBB142_1652
; %bb.1651:
	v_lshrrev_b16 v0, 3, s7
	s_and_b32 s0, s7, 7
	s_lshl_b32 s11, s7, 24
	s_clz_i32_u32 s1, s0
	s_delay_alu instid0(SALU_CYCLE_1) | instskip(SKIP_4) | instid1(VALU_DEP_1)
	s_min_u32 s1, s1, 32
	v_readfirstlane_b32 s9, v0
	s_sub_i32 s10, s1, 28
	s_sub_i32 s1, 29, s1
	s_lshl_b32 s10, s7, s10
	s_and_b32 s9, s9, 15
	s_and_b32 s10, s10, 7
	s_cmp_eq_u32 s9, 0
	s_cselect_b32 s1, s1, s9
	s_cselect_b32 s0, s10, s0
	s_lshl_b32 s1, s1, 23
	s_and_b32 s9, s11, 0x80000000
	s_add_i32 s1, s1, 0x3b800000
	s_lshl_b32 s0, s0, 20
	s_or_b32 s1, s9, s1
	s_delay_alu instid0(SALU_CYCLE_1) | instskip(NEXT) | instid1(SALU_CYCLE_1)
	s_or_b32 s0, s1, s0
	v_cvt_f16_f32_e32 v1, s0
.LBB142_1652:
	global_store_b16 v[4:5], v1, off
.LBB142_1653:
	s_mov_b32 s0, 0
.LBB142_1654:
	s_delay_alu instid0(SALU_CYCLE_1)
	s_and_not1_b32 vcc_lo, exec_lo, s0
	s_cbranch_vccnz .LBB142_1705
; %bb.1655:
	v_cmp_gt_i16_e32 vcc_lo, 2, v12
	s_mov_b32 s0, -1
	s_cbranch_vccnz .LBB142_1686
; %bb.1656:
	v_cmp_gt_i16_e32 vcc_lo, 3, v12
	s_cbranch_vccnz .LBB142_1676
; %bb.1657:
	v_cmp_lt_i16_e32 vcc_lo, 3, v12
	s_cbranch_vccz .LBB142_1666
; %bb.1658:
	v_and_b32_e64 v0, 0xff, s7
	s_delay_alu instid0(VALU_DEP_1)
	v_cmp_gt_i16_e32 vcc_lo, 0x80, v0
	s_cbranch_vccnz .LBB142_1660
; %bb.1659:
	v_cmp_ne_u16_e64 s9, 0x80, v0
	s_mov_b32 s10, 0
	s_mov_b64 s[0:1], 0
	s_branch .LBB142_1661
.LBB142_1660:
	s_mov_b32 s10, -1
	s_mov_b32 s9, 0
                                        ; implicit-def: $sgpr0_sgpr1
.LBB142_1661:
	s_and_not1_b32 vcc_lo, exec_lo, s10
	s_cbranch_vccnz .LBB142_1663
; %bb.1662:
	v_cmp_ne_u16_e64 s9, 0, v0
	s_mov_b64 s[0:1], 0
.LBB142_1663:
	s_delay_alu instid0(SALU_CYCLE_1) | instskip(NEXT) | instid1(VALU_DEP_2)
	v_dual_mov_b32 v0, s0 :: v_dual_mov_b32 v1, s1
	s_and_not1_b32 vcc_lo, exec_lo, s9
	s_cbranch_vccnz .LBB142_1665
; %bb.1664:
	v_lshrrev_b16 v0, 3, s7
	s_and_b32 s0, s7, 7
	s_lshl_b32 s10, s7, 24
	s_clz_i32_u32 s1, s0
	s_delay_alu instid0(SALU_CYCLE_1) | instskip(SKIP_4) | instid1(VALU_DEP_1)
	s_min_u32 s1, s1, 32
	v_readfirstlane_b32 s9, v0
	s_sub_i32 s11, s1, 28
	s_sub_i32 s1, 29, s1
	s_lshl_b32 s11, s7, s11
	s_and_b32 s9, s9, 15
	s_and_b32 s11, s11, 7
	s_cmp_eq_u32 s9, 0
	s_cselect_b32 s1, s1, s9
	s_cselect_b32 s0, s11, s0
	s_lshl_b32 s1, s1, 23
	s_and_b32 s9, s10, 0x80000000
	s_add_i32 s1, s1, 0x3b800000
	s_lshl_b32 s0, s0, 20
	s_or_b32 s1, s9, s1
	s_delay_alu instid0(SALU_CYCLE_1) | instskip(NEXT) | instid1(SALU_CYCLE_1)
	s_or_b32 s0, s1, s0
	v_trunc_f32_e32 v0, s0
	s_delay_alu instid0(VALU_DEP_1) | instskip(SKIP_1) | instid1(VALU_DEP_2)
	v_mul_f32_e64 v1, 0x2f800000, |v0|
	v_ashrrev_i32_e32 v3, 31, v0
	v_floor_f32_e32 v1, v1
	s_delay_alu instid0(VALU_DEP_1) | instskip(SKIP_1) | instid1(VALU_DEP_2)
	v_fma_f32 v2, 0xcf800000, v1, |v0|
	v_cvt_u32_f32_e32 v1, v1
	v_cvt_u32_f32_e32 v0, v2
	s_delay_alu instid0(VALU_DEP_2) | instskip(NEXT) | instid1(VALU_DEP_2)
	v_xor_b32_e32 v1, v1, v3
	v_xor_b32_e32 v0, v0, v3
	s_delay_alu instid0(VALU_DEP_1) | instskip(NEXT) | instid1(VALU_DEP_3)
	v_sub_co_u32 v0, vcc_lo, v0, v3
	v_sub_co_ci_u32_e32 v1, vcc_lo, v1, v3, vcc_lo
.LBB142_1665:
	s_mov_b32 s0, 0
	global_store_b64 v[4:5], v[0:1], off
.LBB142_1666:
	s_and_b32 vcc_lo, exec_lo, s0
	s_cbranch_vccz .LBB142_1675
; %bb.1667:
	v_and_b32_e64 v0, 0xff, s7
	s_delay_alu instid0(VALU_DEP_1)
	v_cmp_gt_i16_e32 vcc_lo, 0x80, v0
	s_cbranch_vccnz .LBB142_1669
; %bb.1668:
	v_cmp_ne_u16_e64 s0, 0x80, v0
	s_mov_b32 s9, 0
	s_mov_b32 s1, 0
	s_branch .LBB142_1670
.LBB142_1669:
	s_mov_b32 s9, -1
	s_mov_b32 s0, 0
                                        ; implicit-def: $sgpr1
.LBB142_1670:
	s_and_not1_b32 vcc_lo, exec_lo, s9
	s_cbranch_vccnz .LBB142_1672
; %bb.1671:
	v_cmp_ne_u16_e64 s0, 0, v0
	s_mov_b32 s1, 0
.LBB142_1672:
	s_delay_alu instid0(SALU_CYCLE_1) | instskip(NEXT) | instid1(VALU_DEP_2)
	v_mov_b32_e32 v0, s1
	s_and_not1_b32 vcc_lo, exec_lo, s0
	s_cbranch_vccnz .LBB142_1674
; %bb.1673:
	v_lshrrev_b16 v0, 3, s7
	s_and_b32 s0, s7, 7
	s_lshl_b32 s11, s7, 24
	s_clz_i32_u32 s1, s0
	s_delay_alu instid0(SALU_CYCLE_1) | instskip(SKIP_4) | instid1(VALU_DEP_1)
	s_min_u32 s1, s1, 32
	v_readfirstlane_b32 s9, v0
	s_sub_i32 s10, s1, 28
	s_sub_i32 s1, 29, s1
	s_lshl_b32 s10, s7, s10
	s_and_b32 s9, s9, 15
	s_and_b32 s10, s10, 7
	s_cmp_eq_u32 s9, 0
	s_cselect_b32 s1, s1, s9
	s_cselect_b32 s0, s10, s0
	s_lshl_b32 s1, s1, 23
	s_and_b32 s9, s11, 0x80000000
	s_add_i32 s1, s1, 0x3b800000
	s_lshl_b32 s0, s0, 20
	s_or_b32 s1, s9, s1
	s_delay_alu instid0(SALU_CYCLE_1) | instskip(NEXT) | instid1(SALU_CYCLE_1)
	s_or_b32 s0, s1, s0
	v_cvt_i32_f32_e32 v0, s0
.LBB142_1674:
	global_store_b32 v[4:5], v0, off
.LBB142_1675:
	s_mov_b32 s0, 0
.LBB142_1676:
	s_delay_alu instid0(SALU_CYCLE_1)
	s_and_not1_b32 vcc_lo, exec_lo, s0
	s_cbranch_vccnz .LBB142_1685
; %bb.1677:
	v_and_b32_e64 v0, 0xff, s7
	s_delay_alu instid0(VALU_DEP_1)
	v_cmp_gt_i16_e32 vcc_lo, 0x80, v0
	s_cbranch_vccnz .LBB142_1679
; %bb.1678:
	v_cmp_ne_u16_e64 s0, 0x80, v0
	s_mov_b32 s9, 0
	s_mov_b32 s1, 0
	s_branch .LBB142_1680
.LBB142_1679:
	s_mov_b32 s9, -1
	s_mov_b32 s0, 0
                                        ; implicit-def: $sgpr1
.LBB142_1680:
	s_and_not1_b32 vcc_lo, exec_lo, s9
	s_cbranch_vccnz .LBB142_1682
; %bb.1681:
	v_cmp_ne_u16_e64 s0, 0, v0
	s_mov_b32 s1, 0
.LBB142_1682:
	s_delay_alu instid0(SALU_CYCLE_1) | instskip(NEXT) | instid1(VALU_DEP_2)
	v_mov_b32_e32 v0, s1
	s_and_not1_b32 vcc_lo, exec_lo, s0
	s_cbranch_vccnz .LBB142_1684
; %bb.1683:
	v_lshrrev_b16 v0, 3, s7
	s_and_b32 s0, s7, 7
	s_lshl_b32 s11, s7, 24
	s_clz_i32_u32 s1, s0
	s_delay_alu instid0(SALU_CYCLE_1) | instskip(SKIP_4) | instid1(VALU_DEP_1)
	s_min_u32 s1, s1, 32
	v_readfirstlane_b32 s9, v0
	s_sub_i32 s10, s1, 28
	s_sub_i32 s1, 29, s1
	s_lshl_b32 s10, s7, s10
	s_and_b32 s9, s9, 15
	s_and_b32 s10, s10, 7
	s_cmp_eq_u32 s9, 0
	s_cselect_b32 s1, s1, s9
	s_cselect_b32 s0, s10, s0
	s_lshl_b32 s1, s1, 23
	s_and_b32 s9, s11, 0x80000000
	s_add_i32 s1, s1, 0x3b800000
	s_lshl_b32 s0, s0, 20
	s_or_b32 s1, s9, s1
	s_delay_alu instid0(SALU_CYCLE_1) | instskip(NEXT) | instid1(SALU_CYCLE_1)
	s_or_b32 s0, s1, s0
	v_cvt_i32_f32_e32 v0, s0
.LBB142_1684:
	global_store_b16 v[4:5], v0, off
.LBB142_1685:
	s_mov_b32 s0, 0
.LBB142_1686:
	s_delay_alu instid0(SALU_CYCLE_1)
	s_and_not1_b32 vcc_lo, exec_lo, s0
	s_cbranch_vccnz .LBB142_1705
; %bb.1687:
	v_cmp_lt_i16_e32 vcc_lo, 0, v12
	s_mov_b32 s0, 0
	s_mov_b32 s1, -1
	s_cbranch_vccz .LBB142_1696
; %bb.1688:
	v_and_b32_e64 v0, 0xff, s7
	s_delay_alu instid0(VALU_DEP_1)
	v_cmp_gt_i16_e32 vcc_lo, 0x80, v0
	s_cbranch_vccnz .LBB142_1690
; %bb.1689:
	v_cmp_ne_u16_e64 s0, 0x80, v0
	s_mov_b32 s9, 0
	s_mov_b32 s1, 0
	s_branch .LBB142_1691
.LBB142_1690:
	s_mov_b32 s9, -1
                                        ; implicit-def: $sgpr1
.LBB142_1691:
	s_delay_alu instid0(SALU_CYCLE_1)
	s_and_not1_b32 vcc_lo, exec_lo, s9
	s_cbranch_vccnz .LBB142_1693
; %bb.1692:
	v_cmp_ne_u16_e64 s0, 0, v0
	s_mov_b32 s1, 0
.LBB142_1693:
	s_delay_alu instid0(SALU_CYCLE_1) | instskip(NEXT) | instid1(VALU_DEP_2)
	v_mov_b32_e32 v0, s1
	s_and_not1_b32 vcc_lo, exec_lo, s0
	s_cbranch_vccnz .LBB142_1695
; %bb.1694:
	v_lshrrev_b16 v0, 3, s7
	s_and_b32 s0, s7, 7
	s_lshl_b32 s11, s7, 24
	s_clz_i32_u32 s1, s0
	s_delay_alu instid0(SALU_CYCLE_1) | instskip(SKIP_4) | instid1(VALU_DEP_1)
	s_min_u32 s1, s1, 32
	v_readfirstlane_b32 s9, v0
	s_sub_i32 s10, s1, 28
	s_sub_i32 s1, 29, s1
	s_lshl_b32 s10, s7, s10
	s_and_b32 s9, s9, 15
	s_and_b32 s10, s10, 7
	s_cmp_eq_u32 s9, 0
	s_cselect_b32 s1, s1, s9
	s_cselect_b32 s0, s10, s0
	s_lshl_b32 s1, s1, 23
	s_and_b32 s9, s11, 0x80000000
	s_add_i32 s1, s1, 0x3b800000
	s_lshl_b32 s0, s0, 20
	s_or_b32 s1, s9, s1
	s_delay_alu instid0(SALU_CYCLE_1) | instskip(NEXT) | instid1(SALU_CYCLE_1)
	s_or_b32 s0, s1, s0
	v_cvt_i32_f32_e32 v0, s0
.LBB142_1695:
	s_mov_b32 s1, 0
	global_store_b8 v[4:5], v0, off
.LBB142_1696:
	s_and_b32 vcc_lo, exec_lo, s1
	s_cbranch_vccz .LBB142_1705
; %bb.1697:
	v_and_b32_e64 v0, 0xff, s7
	s_delay_alu instid0(VALU_DEP_1)
	v_cmp_gt_i16_e32 vcc_lo, 0x80, v0
	s_cbranch_vccnz .LBB142_1699
; %bb.1698:
	v_cmp_ne_u16_e64 s0, 0x80, v0
	s_mov_b32 s9, 0
	s_mov_b32 s1, 0
	s_branch .LBB142_1700
.LBB142_1699:
	s_mov_b32 s9, -1
	s_mov_b32 s0, 0
                                        ; implicit-def: $sgpr1
.LBB142_1700:
	s_and_not1_b32 vcc_lo, exec_lo, s9
	s_cbranch_vccnz .LBB142_1702
; %bb.1701:
	v_cmp_ne_u16_e64 s0, 0, v0
	s_mov_b32 s1, 0
.LBB142_1702:
	s_delay_alu instid0(SALU_CYCLE_1) | instskip(NEXT) | instid1(VALU_DEP_2)
	v_mov_b32_e32 v0, s1
	s_and_not1_b32 vcc_lo, exec_lo, s0
	s_cbranch_vccnz .LBB142_1704
; %bb.1703:
	v_lshrrev_b16 v0, 3, s7
	s_and_b32 s0, s7, 7
	s_lshl_b32 s10, s7, 24
	s_clz_i32_u32 s1, s0
	s_delay_alu instid0(SALU_CYCLE_1) | instskip(SKIP_4) | instid1(VALU_DEP_1)
	s_min_u32 s1, s1, 32
	v_readfirstlane_b32 s9, v0
	s_sub_i32 s11, s1, 28
	s_sub_i32 s1, 29, s1
	s_lshl_b32 s11, s7, s11
	s_and_b32 s9, s9, 15
	s_and_b32 s11, s11, 7
	s_cmp_eq_u32 s9, 0
	s_cselect_b32 s1, s1, s9
	s_cselect_b32 s0, s11, s0
	s_lshl_b32 s1, s1, 23
	s_and_b32 s9, s10, 0x80000000
	s_add_i32 s1, s1, 0x3b800000
	s_lshl_b32 s0, s0, 20
	s_or_b32 s1, s9, s1
	s_delay_alu instid0(SALU_CYCLE_1) | instskip(NEXT) | instid1(SALU_CYCLE_1)
	s_or_b32 s0, s1, s0
	v_trunc_f32_e32 v0, s0
	s_delay_alu instid0(VALU_DEP_1) | instskip(NEXT) | instid1(VALU_DEP_1)
	v_mul_f32_e64 v1, 0x2f800000, |v0|
	v_floor_f32_e32 v1, v1
	s_delay_alu instid0(VALU_DEP_1) | instskip(SKIP_1) | instid1(VALU_DEP_2)
	v_fma_f32 v1, 0xcf800000, v1, |v0|
	v_ashrrev_i32_e32 v0, 31, v0
	v_cvt_u32_f32_e32 v1, v1
	s_delay_alu instid0(VALU_DEP_1) | instskip(NEXT) | instid1(VALU_DEP_1)
	v_xor_b32_e32 v1, v1, v0
	v_sub_nc_u32_e32 v0, v1, v0
.LBB142_1704:
	global_store_b8 v[4:5], v0, off
.LBB142_1705:
	s_mov_b32 s1, -1
.LBB142_1706:
	s_delay_alu instid0(SALU_CYCLE_1)
	s_and_not1_b32 vcc_lo, exec_lo, s1
	s_cbranch_vccnz .LBB142_1716
; %bb.1707:
	v_add_nc_u32_e32 v0, s6, v6
	v_cmp_gt_i16_e32 vcc_lo, 11, v12
	s_delay_alu instid0(VALU_DEP_2) | instskip(SKIP_1) | instid1(VALU_DEP_1)
	v_ashrrev_i32_e32 v1, 31, v0
	v_add_co_u32 v4, s0, s4, v0
	v_add_co_ci_u32_e64 v5, s0, s5, v1, s0
	s_cbranch_vccnz .LBB142_1738
; %bb.1708:
	v_cmp_lt_i16_e32 vcc_lo, 25, v12
	s_mov_b32 s1, -1
	s_mov_b32 s4, 0
	s_mov_b32 s0, 0
	s_cbranch_vccz .LBB142_2233
; %bb.1709:
	v_cmp_lt_i16_e32 vcc_lo, 28, v12
	s_cbranch_vccz .LBB142_2209
; %bb.1710:
	v_cmp_lt_i16_e32 vcc_lo, 43, v12
	;; [unrolled: 3-line block ×3, first 2 shown]
	s_cbranch_vccz .LBB142_2182
; %bb.1712:
	v_cmp_eq_u16_e32 vcc_lo, 46, v12
	s_mov_b32 s0, -1
	s_cbranch_vccz .LBB142_2181
; %bb.1713:
	v_and_b32_e64 v0, 0xff, s7
	s_delay_alu instid0(VALU_DEP_1)
	v_cmp_gt_i16_e32 vcc_lo, 0x80, v0
	s_cbranch_vccnz .LBB142_1864
; %bb.1714:
	v_cmp_eq_u16_e32 vcc_lo, 0x80, v0
	s_cbranch_vccz .LBB142_2174
; %bb.1715:
	s_mov_b32 s1, 0
	s_mov_b32 s0, 0x7f800001
	s_branch .LBB142_2175
.LBB142_1716:
	s_mov_b32 s0, 0
	s_mov_b32 s4, 0
                                        ; implicit-def: $vgpr12
                                        ; implicit-def: $vgpr4_vgpr5
.LBB142_1717:
	s_and_not1_b32 s1, s2, exec_lo
	s_and_b32 s2, s8, exec_lo
	s_and_b32 s0, s0, exec_lo
	;; [unrolled: 1-line block ×3, first 2 shown]
	s_or_b32 s2, s1, s2
.LBB142_1718:
	s_or_b32 exec_lo, exec_lo, s3
	s_and_saveexec_b32 s1, s2
	s_cbranch_execz .LBB142_1721
; %bb.1719:
	; divergent unreachable
	s_or_b32 exec_lo, exec_lo, s1
	s_and_saveexec_b32 s1, s8
	s_cbranch_execnz .LBB142_1722
.LBB142_1720:
	s_or_b32 exec_lo, exec_lo, s1
	s_and_saveexec_b32 s1, s0
	s_cbranch_execnz .LBB142_1730
	s_branch .LBB142_1860
.LBB142_1721:
	s_or_b32 exec_lo, exec_lo, s1
	s_and_saveexec_b32 s1, s8
	s_cbranch_execz .LBB142_1720
.LBB142_1722:
	v_and_b32_e64 v0, 0xff, s7
	s_delay_alu instid0(VALU_DEP_1)
	v_cmp_gt_i16_e32 vcc_lo, 0x80, v0
	s_cbranch_vccnz .LBB142_1725
; %bb.1723:
	v_cmp_eq_u16_e32 vcc_lo, 0x80, v0
	s_cbranch_vccz .LBB142_1737
; %bb.1724:
	s_mov_b32 s3, 0
	s_mov_b32 s2, -1
	s_branch .LBB142_1727
.LBB142_1725:
	s_mov_b32 s3, 0
                                        ; implicit-def: $sgpr2
	s_cbranch_execz .LBB142_1727
; %bb.1726:
	v_cmp_ne_u16_e64 s3, 0, v0
	s_mov_b32 s2, 0
.LBB142_1727:
	s_delay_alu instid0(VALU_DEP_1)
	s_and_not1_b32 vcc_lo, exec_lo, s3
	s_cbranch_vccnz .LBB142_1729
; %bb.1728:
	v_lshrrev_b16 v0, 3, s7
	s_and_b32 s2, s7, 7
	s_delay_alu instid0(SALU_CYCLE_1) | instskip(NEXT) | instid1(SALU_CYCLE_1)
	s_clz_i32_u32 s3, s2
	s_min_u32 s3, s3, 32
	s_delay_alu instid0(VALU_DEP_1) | instskip(SKIP_3) | instid1(VALU_DEP_1)
	v_readfirstlane_b32 s4, v0
	s_sub_i32 s5, s3, 28
	s_sub_i32 s3, 29, s3
	s_lshl_b32 s5, s7, s5
	s_and_b32 s4, s4, 15
	s_and_b32 s5, s5, 7
	s_cmp_eq_u32 s4, 0
	s_cselect_b32 s3, s3, s4
	s_cselect_b32 s2, s5, s2
	s_lshl_b32 s3, s3, 23
	s_lshl_b32 s2, s2, 20
	s_add_i32 s3, s3, 0x3b800000
	s_delay_alu instid0(SALU_CYCLE_1) | instskip(NEXT) | instid1(SALU_CYCLE_1)
	s_and_b32 s3, s3, 0x7f800000
	s_or_b32 s2, s3, s2
	s_delay_alu instid0(SALU_CYCLE_1)
	s_cmp_lg_u32 s2, 0
	s_cselect_b32 s2, -1, 0
.LBB142_1729:
	s_delay_alu instid0(SALU_CYCLE_1)
	v_cndmask_b32_e64 v0, 0, 1, s2
	global_store_b8 v[4:5], v0, off
	s_or_b32 exec_lo, exec_lo, s1
	s_and_saveexec_b32 s1, s0
	s_cbranch_execz .LBB142_1860
.LBB142_1730:
	v_cmp_gt_i16_e32 vcc_lo, 5, v12
	s_mov_b32 s0, -1
	s_cbranch_vccnz .LBB142_1813
; %bb.1731:
	v_cmp_gt_i16_e32 vcc_lo, 8, v12
	s_cbranch_vccnz .LBB142_1765
; %bb.1732:
	v_cmp_gt_i16_e32 vcc_lo, 9, v12
	s_cbranch_vccnz .LBB142_1760
; %bb.1733:
	v_cmp_lt_i16_e32 vcc_lo, 9, v12
	s_cbranch_vccz .LBB142_1747
; %bb.1734:
	v_and_b32_e64 v0, 0xff, s7
	s_delay_alu instid0(VALU_DEP_1)
	v_cmp_gt_i16_e32 vcc_lo, 0x80, v0
	s_cbranch_vccnz .LBB142_1739
; %bb.1735:
	v_cmp_eq_u16_e32 vcc_lo, 0x80, v0
	s_cbranch_vccz .LBB142_1740
; %bb.1736:
	s_mov_b32 s2, 0
	s_mov_b32 s1, 0x7ff80000
	s_brev_b32 s0, 4
	s_branch .LBB142_1741
.LBB142_1737:
	s_mov_b32 s3, -1
                                        ; implicit-def: $sgpr2
	s_branch .LBB142_1727
.LBB142_1738:
	s_mov_b32 s4, 0
	s_mov_b32 s0, -1
	s_branch .LBB142_1717
.LBB142_1739:
	s_mov_b32 s3, -1
	s_mov_b32 s2, 0
                                        ; implicit-def: $sgpr0_sgpr1
	s_branch .LBB142_1742
.LBB142_1740:
	s_mov_b32 s2, -1
                                        ; implicit-def: $sgpr0_sgpr1
.LBB142_1741:
	s_mov_b32 s3, 0
.LBB142_1742:
	s_delay_alu instid0(SALU_CYCLE_1)
	s_and_b32 vcc_lo, exec_lo, s3
	s_cbranch_vccz .LBB142_1744
; %bb.1743:
	v_cmp_ne_u16_e64 s2, 0, v0
	s_mov_b64 s[0:1], 0
.LBB142_1744:
	s_delay_alu instid0(SALU_CYCLE_1) | instskip(NEXT) | instid1(VALU_DEP_2)
	v_dual_mov_b32 v0, s0 :: v_dual_mov_b32 v1, s1
	s_and_not1_b32 vcc_lo, exec_lo, s2
	s_cbranch_vccnz .LBB142_1746
; %bb.1745:
	v_lshrrev_b16 v0, 3, s7
	s_and_b32 s0, s7, 7
	s_lshl_b32 s4, s7, 24
	s_clz_i32_u32 s1, s0
	s_delay_alu instid0(SALU_CYCLE_1) | instskip(SKIP_4) | instid1(VALU_DEP_1)
	s_min_u32 s1, s1, 32
	v_readfirstlane_b32 s2, v0
	s_sub_i32 s3, s1, 28
	s_sub_i32 s1, 29, s1
	s_lshl_b32 s3, s7, s3
	s_and_b32 s2, s2, 15
	s_and_b32 s3, s3, 7
	s_cmp_eq_u32 s2, 0
	s_cselect_b32 s1, s1, s2
	s_cselect_b32 s0, s3, s0
	s_lshl_b32 s1, s1, 23
	s_and_b32 s2, s4, 0x80000000
	s_add_i32 s1, s1, 0x3b800000
	s_lshl_b32 s0, s0, 20
	s_or_b32 s1, s2, s1
	s_delay_alu instid0(SALU_CYCLE_1) | instskip(NEXT) | instid1(SALU_CYCLE_1)
	s_or_b32 s0, s1, s0
	v_cvt_f64_f32_e32 v[0:1], s0
.LBB142_1746:
	v_mov_b32_e32 v2, 0
	s_mov_b32 s0, 0
	s_delay_alu instid0(VALU_DEP_1)
	v_mov_b32_e32 v3, v2
	global_store_b128 v[4:5], v[0:3], off
.LBB142_1747:
	s_and_b32 vcc_lo, exec_lo, s0
	s_cbranch_vccz .LBB142_1759
; %bb.1748:
	v_and_b32_e64 v1, 0xff, s7
	s_delay_alu instid0(VALU_DEP_1)
	v_cmp_gt_i16_e32 vcc_lo, 0x80, v1
	s_cbranch_vccnz .LBB142_1751
; %bb.1749:
	v_cmp_eq_u16_e32 vcc_lo, 0x80, v1
	s_cbranch_vccz .LBB142_1752
; %bb.1750:
	s_mov_b32 s0, 0
	s_mov_b32 s1, 0x7f800001
	s_branch .LBB142_1753
.LBB142_1751:
	s_mov_b32 s2, -1
	s_mov_b32 s0, 0
                                        ; implicit-def: $sgpr1
	s_branch .LBB142_1754
.LBB142_1752:
	s_mov_b32 s0, -1
                                        ; implicit-def: $sgpr1
.LBB142_1753:
	s_mov_b32 s2, 0
.LBB142_1754:
	v_mov_b32_e32 v0, s1
	s_and_b32 vcc_lo, exec_lo, s2
	s_cbranch_vccz .LBB142_1756
; %bb.1755:
	v_and_b32_e32 v0, 0xffff, v1
	v_cmp_ne_u16_e64 s0, 0, v1
.LBB142_1756:
	s_delay_alu instid0(VALU_DEP_1)
	s_and_not1_b32 vcc_lo, exec_lo, s0
	s_cbranch_vccnz .LBB142_1758
; %bb.1757:
	v_lshrrev_b16 v0, 3, s7
	s_and_b32 s0, s7, 7
	s_lshl_b32 s4, s7, 24
	s_clz_i32_u32 s1, s0
	s_delay_alu instid0(SALU_CYCLE_1) | instskip(SKIP_4) | instid1(VALU_DEP_1)
	s_min_u32 s1, s1, 32
	v_readfirstlane_b32 s2, v0
	s_sub_i32 s3, s1, 28
	s_sub_i32 s1, 29, s1
	s_lshl_b32 s3, s7, s3
	s_and_b32 s2, s2, 15
	s_and_b32 s3, s3, 7
	s_cmp_eq_u32 s2, 0
	s_cselect_b32 s1, s1, s2
	s_cselect_b32 s0, s3, s0
	s_lshl_b32 s1, s1, 23
	s_and_b32 s2, s4, 0x80000000
	s_add_i32 s1, s1, 0x3b800000
	s_lshl_b32 s0, s0, 20
	s_or_b32 s1, s2, s1
	s_delay_alu instid0(SALU_CYCLE_1) | instskip(NEXT) | instid1(SALU_CYCLE_1)
	s_or_b32 s0, s1, s0
	v_mov_b32_e32 v0, s0
.LBB142_1758:
	v_mov_b32_e32 v1, 0
	global_store_b64 v[4:5], v[0:1], off
.LBB142_1759:
	s_mov_b32 s0, 0
.LBB142_1760:
	s_delay_alu instid0(SALU_CYCLE_1)
	s_and_not1_b32 vcc_lo, exec_lo, s0
	s_cbranch_vccnz .LBB142_1764
; %bb.1761:
	v_and_b32_e64 v0, 0xff, s7
	s_delay_alu instid0(VALU_DEP_1)
	v_cmp_gt_i16_e32 vcc_lo, 0x80, v0
	s_cbranch_vccnz .LBB142_1771
; %bb.1762:
	v_cmp_eq_u16_e32 vcc_lo, 0x80, v0
	s_cbranch_vccz .LBB142_1772
; %bb.1763:
	s_mov_b32 s0, 0
	s_movk_i32 s1, 0x7e00
	s_branch .LBB142_1773
.LBB142_1764:
	s_mov_b32 s0, 0
.LBB142_1765:
	s_delay_alu instid0(SALU_CYCLE_1)
	s_and_not1_b32 vcc_lo, exec_lo, s0
	s_cbranch_vccnz .LBB142_1812
.LBB142_1766:
	v_cmp_gt_i16_e32 vcc_lo, 6, v12
	s_mov_b32 s0, -1
	s_cbranch_vccnz .LBB142_1800
; %bb.1767:
	v_cmp_lt_i16_e32 vcc_lo, 6, v12
	s_cbranch_vccz .LBB142_1787
; %bb.1768:
	v_and_b32_e64 v0, 0xff, s7
	s_delay_alu instid0(VALU_DEP_1)
	v_cmp_gt_i16_e32 vcc_lo, 0x80, v0
	s_cbranch_vccnz .LBB142_1779
; %bb.1769:
	v_cmp_eq_u16_e32 vcc_lo, 0x80, v0
	s_cbranch_vccz .LBB142_1780
; %bb.1770:
	s_mov_b32 s2, 0
	s_mov_b32 s1, 0x7ff80000
	s_brev_b32 s0, 4
	s_branch .LBB142_1781
.LBB142_1771:
	s_mov_b32 s2, -1
	s_mov_b32 s0, 0
                                        ; implicit-def: $sgpr1
	s_branch .LBB142_1774
.LBB142_1772:
	s_mov_b32 s0, -1
                                        ; implicit-def: $sgpr1
.LBB142_1773:
	s_mov_b32 s2, 0
.LBB142_1774:
	v_mov_b32_e32 v1, s1
	s_and_b32 vcc_lo, exec_lo, s2
	s_cbranch_vccz .LBB142_1776
; %bb.1775:
	v_and_b32_e32 v1, 0xffff, v0
	v_cmp_ne_u16_e64 s0, 0, v0
.LBB142_1776:
	s_delay_alu instid0(VALU_DEP_1)
	s_and_not1_b32 vcc_lo, exec_lo, s0
	s_cbranch_vccnz .LBB142_1778
; %bb.1777:
	v_lshrrev_b16 v0, 3, s7
	s_and_b32 s0, s7, 7
	s_lshl_b32 s4, s7, 24
	s_clz_i32_u32 s1, s0
	s_delay_alu instid0(SALU_CYCLE_1) | instskip(SKIP_4) | instid1(VALU_DEP_1)
	s_min_u32 s1, s1, 32
	v_readfirstlane_b32 s2, v0
	s_sub_i32 s3, s1, 28
	s_sub_i32 s1, 29, s1
	s_lshl_b32 s3, s7, s3
	s_and_b32 s2, s2, 15
	s_and_b32 s3, s3, 7
	s_cmp_eq_u32 s2, 0
	s_cselect_b32 s1, s1, s2
	s_cselect_b32 s0, s3, s0
	s_lshl_b32 s1, s1, 23
	s_and_b32 s2, s4, 0x80000000
	s_add_i32 s1, s1, 0x3b800000
	s_lshl_b32 s0, s0, 20
	s_or_b32 s1, s2, s1
	s_delay_alu instid0(SALU_CYCLE_1) | instskip(NEXT) | instid1(SALU_CYCLE_1)
	s_or_b32 s0, s1, s0
	v_cvt_f16_f32_e32 v0, s0
	s_delay_alu instid0(VALU_DEP_1)
	v_and_b32_e32 v1, 0xffff, v0
.LBB142_1778:
	global_store_b32 v[4:5], v1, off
	s_cbranch_execz .LBB142_1766
	s_branch .LBB142_1812
.LBB142_1779:
	s_mov_b32 s3, -1
	s_mov_b32 s2, 0
                                        ; implicit-def: $sgpr0_sgpr1
	s_branch .LBB142_1782
.LBB142_1780:
	s_mov_b32 s2, -1
                                        ; implicit-def: $sgpr0_sgpr1
.LBB142_1781:
	s_mov_b32 s3, 0
.LBB142_1782:
	s_delay_alu instid0(SALU_CYCLE_1)
	s_and_b32 vcc_lo, exec_lo, s3
	s_cbranch_vccz .LBB142_1784
; %bb.1783:
	v_cmp_ne_u16_e64 s2, 0, v0
	s_mov_b64 s[0:1], 0
.LBB142_1784:
	s_delay_alu instid0(SALU_CYCLE_1) | instskip(NEXT) | instid1(VALU_DEP_2)
	v_dual_mov_b32 v0, s0 :: v_dual_mov_b32 v1, s1
	s_and_not1_b32 vcc_lo, exec_lo, s2
	s_cbranch_vccnz .LBB142_1786
; %bb.1785:
	v_lshrrev_b16 v0, 3, s7
	s_and_b32 s0, s7, 7
	s_lshl_b32 s4, s7, 24
	s_clz_i32_u32 s1, s0
	s_delay_alu instid0(SALU_CYCLE_1) | instskip(SKIP_4) | instid1(VALU_DEP_1)
	s_min_u32 s1, s1, 32
	v_readfirstlane_b32 s2, v0
	s_sub_i32 s3, s1, 28
	s_sub_i32 s1, 29, s1
	s_lshl_b32 s3, s7, s3
	s_and_b32 s2, s2, 15
	s_and_b32 s3, s3, 7
	s_cmp_eq_u32 s2, 0
	s_cselect_b32 s1, s1, s2
	s_cselect_b32 s0, s3, s0
	s_lshl_b32 s1, s1, 23
	s_and_b32 s2, s4, 0x80000000
	s_add_i32 s1, s1, 0x3b800000
	s_lshl_b32 s0, s0, 20
	s_or_b32 s1, s2, s1
	s_delay_alu instid0(SALU_CYCLE_1) | instskip(NEXT) | instid1(SALU_CYCLE_1)
	s_or_b32 s0, s1, s0
	v_cvt_f64_f32_e32 v[0:1], s0
.LBB142_1786:
	s_mov_b32 s0, 0
	global_store_b64 v[4:5], v[0:1], off
.LBB142_1787:
	s_and_b32 vcc_lo, exec_lo, s0
	s_cbranch_vccz .LBB142_1799
; %bb.1788:
	v_and_b32_e64 v0, 0xff, s7
	s_delay_alu instid0(VALU_DEP_1)
	v_cmp_gt_i16_e32 vcc_lo, 0x80, v0
	s_cbranch_vccnz .LBB142_1791
; %bb.1789:
	v_cmp_eq_u16_e32 vcc_lo, 0x80, v0
	s_cbranch_vccz .LBB142_1792
; %bb.1790:
	s_mov_b32 s0, 0
	s_mov_b32 s1, 0x7f800001
	s_branch .LBB142_1793
.LBB142_1791:
	s_mov_b32 s2, -1
	s_mov_b32 s0, 0
                                        ; implicit-def: $sgpr1
	s_branch .LBB142_1794
.LBB142_1792:
	s_mov_b32 s0, -1
                                        ; implicit-def: $sgpr1
.LBB142_1793:
	s_mov_b32 s2, 0
.LBB142_1794:
	v_mov_b32_e32 v1, s1
	s_and_b32 vcc_lo, exec_lo, s2
	s_cbranch_vccz .LBB142_1796
; %bb.1795:
	v_and_b32_e32 v1, 0xffff, v0
	v_cmp_ne_u16_e64 s0, 0, v0
.LBB142_1796:
	s_delay_alu instid0(VALU_DEP_1)
	s_and_not1_b32 vcc_lo, exec_lo, s0
	s_cbranch_vccnz .LBB142_1798
; %bb.1797:
	v_lshrrev_b16 v0, 3, s7
	s_and_b32 s0, s7, 7
	s_lshl_b32 s4, s7, 24
	s_clz_i32_u32 s1, s0
	s_delay_alu instid0(SALU_CYCLE_1) | instskip(SKIP_4) | instid1(VALU_DEP_1)
	s_min_u32 s1, s1, 32
	v_readfirstlane_b32 s2, v0
	s_sub_i32 s3, s1, 28
	s_sub_i32 s1, 29, s1
	s_lshl_b32 s3, s7, s3
	s_and_b32 s2, s2, 15
	s_and_b32 s3, s3, 7
	s_cmp_eq_u32 s2, 0
	s_cselect_b32 s1, s1, s2
	s_cselect_b32 s0, s3, s0
	s_lshl_b32 s1, s1, 23
	s_and_b32 s2, s4, 0x80000000
	s_add_i32 s1, s1, 0x3b800000
	s_lshl_b32 s0, s0, 20
	s_or_b32 s1, s2, s1
	s_delay_alu instid0(SALU_CYCLE_1) | instskip(NEXT) | instid1(SALU_CYCLE_1)
	s_or_b32 s0, s1, s0
	v_mov_b32_e32 v1, s0
.LBB142_1798:
	global_store_b32 v[4:5], v1, off
.LBB142_1799:
	s_mov_b32 s0, 0
.LBB142_1800:
	s_delay_alu instid0(SALU_CYCLE_1)
	s_and_not1_b32 vcc_lo, exec_lo, s0
	s_cbranch_vccnz .LBB142_1812
; %bb.1801:
	v_and_b32_e64 v0, 0xff, s7
	s_delay_alu instid0(VALU_DEP_1)
	v_cmp_gt_i16_e32 vcc_lo, 0x80, v0
	s_cbranch_vccnz .LBB142_1804
; %bb.1802:
	v_cmp_eq_u16_e32 vcc_lo, 0x80, v0
	s_cbranch_vccz .LBB142_1805
; %bb.1803:
	s_mov_b32 s0, 0
	s_movk_i32 s1, 0x7e00
	s_branch .LBB142_1806
.LBB142_1804:
	s_mov_b32 s2, -1
	s_mov_b32 s0, 0
                                        ; implicit-def: $sgpr1
	s_branch .LBB142_1807
.LBB142_1805:
	s_mov_b32 s0, -1
                                        ; implicit-def: $sgpr1
.LBB142_1806:
	s_mov_b32 s2, 0
.LBB142_1807:
	v_mov_b32_e32 v1, s1
	s_and_b32 vcc_lo, exec_lo, s2
	s_cbranch_vccz .LBB142_1809
; %bb.1808:
	v_cmp_ne_u16_e64 s0, 0, v0
	v_mov_b32_e32 v1, v0
.LBB142_1809:
	s_delay_alu instid0(VALU_DEP_2)
	s_and_not1_b32 vcc_lo, exec_lo, s0
	s_cbranch_vccnz .LBB142_1811
; %bb.1810:
	v_lshrrev_b16 v0, 3, s7
	s_and_b32 s0, s7, 7
	s_lshl_b32 s4, s7, 24
	s_clz_i32_u32 s1, s0
	s_delay_alu instid0(SALU_CYCLE_1) | instskip(SKIP_4) | instid1(VALU_DEP_1)
	s_min_u32 s1, s1, 32
	v_readfirstlane_b32 s2, v0
	s_sub_i32 s3, s1, 28
	s_sub_i32 s1, 29, s1
	s_lshl_b32 s3, s7, s3
	s_and_b32 s2, s2, 15
	s_and_b32 s3, s3, 7
	s_cmp_eq_u32 s2, 0
	s_cselect_b32 s1, s1, s2
	s_cselect_b32 s0, s3, s0
	s_lshl_b32 s1, s1, 23
	s_and_b32 s2, s4, 0x80000000
	s_add_i32 s1, s1, 0x3b800000
	s_lshl_b32 s0, s0, 20
	s_or_b32 s1, s2, s1
	s_delay_alu instid0(SALU_CYCLE_1) | instskip(NEXT) | instid1(SALU_CYCLE_1)
	s_or_b32 s0, s1, s0
	v_cvt_f16_f32_e32 v1, s0
.LBB142_1811:
	global_store_b16 v[4:5], v1, off
.LBB142_1812:
	s_mov_b32 s0, 0
.LBB142_1813:
	s_delay_alu instid0(SALU_CYCLE_1)
	s_and_not1_b32 vcc_lo, exec_lo, s0
	s_cbranch_vccnz .LBB142_1860
; %bb.1814:
	v_cmp_gt_i16_e32 vcc_lo, 2, v12
	s_mov_b32 s0, -1
	s_cbranch_vccnz .LBB142_1839
; %bb.1815:
	v_cmp_gt_i16_e32 vcc_lo, 3, v12
	s_cbranch_vccnz .LBB142_1835
; %bb.1816:
	v_cmp_lt_i16_e32 vcc_lo, 3, v12
	s_cbranch_vccz .LBB142_1825
; %bb.1817:
	v_and_b32_e64 v0, 0xff, s7
	s_delay_alu instid0(VALU_DEP_1)
	v_cmp_gt_i16_e32 vcc_lo, 0x80, v0
	s_cbranch_vccnz .LBB142_1819
; %bb.1818:
	v_cmp_ne_u16_e64 s2, 0x80, v0
	s_mov_b32 s3, 0
	s_mov_b64 s[0:1], 0
	s_branch .LBB142_1820
.LBB142_1819:
	s_mov_b32 s3, -1
	s_mov_b32 s2, 0
                                        ; implicit-def: $sgpr0_sgpr1
.LBB142_1820:
	s_and_not1_b32 vcc_lo, exec_lo, s3
	s_cbranch_vccnz .LBB142_1822
; %bb.1821:
	v_cmp_ne_u16_e64 s2, 0, v0
	s_mov_b64 s[0:1], 0
.LBB142_1822:
	s_delay_alu instid0(SALU_CYCLE_1) | instskip(NEXT) | instid1(VALU_DEP_2)
	v_dual_mov_b32 v0, s0 :: v_dual_mov_b32 v1, s1
	s_and_not1_b32 vcc_lo, exec_lo, s2
	s_cbranch_vccnz .LBB142_1824
; %bb.1823:
	v_lshrrev_b16 v0, 3, s7
	s_and_b32 s0, s7, 7
	s_lshl_b32 s3, s7, 24
	s_clz_i32_u32 s1, s0
	s_delay_alu instid0(SALU_CYCLE_1) | instskip(SKIP_4) | instid1(VALU_DEP_1)
	s_min_u32 s1, s1, 32
	v_readfirstlane_b32 s2, v0
	s_sub_i32 s4, s1, 28
	s_sub_i32 s1, 29, s1
	s_lshl_b32 s4, s7, s4
	s_and_b32 s2, s2, 15
	s_and_b32 s4, s4, 7
	s_cmp_eq_u32 s2, 0
	s_cselect_b32 s1, s1, s2
	s_cselect_b32 s0, s4, s0
	s_lshl_b32 s1, s1, 23
	s_and_b32 s2, s3, 0x80000000
	s_add_i32 s1, s1, 0x3b800000
	s_lshl_b32 s0, s0, 20
	s_or_b32 s1, s2, s1
	s_delay_alu instid0(SALU_CYCLE_1) | instskip(NEXT) | instid1(SALU_CYCLE_1)
	s_or_b32 s0, s1, s0
	v_trunc_f32_e32 v0, s0
	s_delay_alu instid0(VALU_DEP_1) | instskip(SKIP_1) | instid1(VALU_DEP_2)
	v_mul_f32_e64 v1, 0x2f800000, |v0|
	v_ashrrev_i32_e32 v3, 31, v0
	v_floor_f32_e32 v1, v1
	s_delay_alu instid0(VALU_DEP_1) | instskip(SKIP_1) | instid1(VALU_DEP_2)
	v_fma_f32 v2, 0xcf800000, v1, |v0|
	v_cvt_u32_f32_e32 v1, v1
	v_cvt_u32_f32_e32 v0, v2
	s_delay_alu instid0(VALU_DEP_2) | instskip(NEXT) | instid1(VALU_DEP_2)
	v_xor_b32_e32 v1, v1, v3
	v_xor_b32_e32 v0, v0, v3
	s_delay_alu instid0(VALU_DEP_1) | instskip(NEXT) | instid1(VALU_DEP_3)
	v_sub_co_u32 v0, vcc_lo, v0, v3
	v_sub_co_ci_u32_e32 v1, vcc_lo, v1, v3, vcc_lo
.LBB142_1824:
	s_mov_b32 s0, 0
	global_store_b64 v[4:5], v[0:1], off
.LBB142_1825:
	s_and_b32 vcc_lo, exec_lo, s0
	s_cbranch_vccz .LBB142_1834
; %bb.1826:
	v_and_b32_e64 v0, 0xff, s7
	s_delay_alu instid0(VALU_DEP_1)
	v_cmp_gt_i16_e32 vcc_lo, 0x80, v0
	s_cbranch_vccnz .LBB142_1828
; %bb.1827:
	v_cmp_ne_u16_e64 s0, 0x80, v0
	s_mov_b32 s2, 0
	s_mov_b32 s1, 0
	s_branch .LBB142_1829
.LBB142_1828:
	s_mov_b32 s2, -1
	s_mov_b32 s0, 0
                                        ; implicit-def: $sgpr1
.LBB142_1829:
	s_and_not1_b32 vcc_lo, exec_lo, s2
	s_cbranch_vccnz .LBB142_1831
; %bb.1830:
	v_cmp_ne_u16_e64 s0, 0, v0
	s_mov_b32 s1, 0
.LBB142_1831:
	s_delay_alu instid0(SALU_CYCLE_1) | instskip(NEXT) | instid1(VALU_DEP_2)
	v_mov_b32_e32 v0, s1
	s_and_not1_b32 vcc_lo, exec_lo, s0
	s_cbranch_vccnz .LBB142_1833
; %bb.1832:
	v_lshrrev_b16 v0, 3, s7
	s_and_b32 s0, s7, 7
	s_lshl_b32 s4, s7, 24
	s_clz_i32_u32 s1, s0
	s_delay_alu instid0(SALU_CYCLE_1) | instskip(SKIP_4) | instid1(VALU_DEP_1)
	s_min_u32 s1, s1, 32
	v_readfirstlane_b32 s2, v0
	s_sub_i32 s3, s1, 28
	s_sub_i32 s1, 29, s1
	s_lshl_b32 s3, s7, s3
	s_and_b32 s2, s2, 15
	s_and_b32 s3, s3, 7
	s_cmp_eq_u32 s2, 0
	s_cselect_b32 s1, s1, s2
	s_cselect_b32 s0, s3, s0
	s_lshl_b32 s1, s1, 23
	s_and_b32 s2, s4, 0x80000000
	s_add_i32 s1, s1, 0x3b800000
	s_lshl_b32 s0, s0, 20
	s_or_b32 s1, s2, s1
	s_delay_alu instid0(SALU_CYCLE_1) | instskip(NEXT) | instid1(SALU_CYCLE_1)
	s_or_b32 s0, s1, s0
	v_cvt_i32_f32_e32 v0, s0
.LBB142_1833:
	global_store_b32 v[4:5], v0, off
.LBB142_1834:
	s_mov_b32 s0, 0
.LBB142_1835:
	s_delay_alu instid0(SALU_CYCLE_1)
	s_and_not1_b32 vcc_lo, exec_lo, s0
	s_cbranch_vccnz .LBB142_1838
; %bb.1836:
	v_and_b32_e64 v0, 0xff, s7
	s_delay_alu instid0(VALU_DEP_1)
	v_cmp_gt_i16_e32 vcc_lo, 0x80, v0
	s_cbranch_vccnz .LBB142_1843
; %bb.1837:
	v_cmp_ne_u16_e64 s0, 0x80, v0
	s_mov_b32 s2, 0
	s_mov_b32 s1, 0
	s_branch .LBB142_1844
.LBB142_1838:
	s_mov_b32 s0, 0
.LBB142_1839:
	s_delay_alu instid0(SALU_CYCLE_1)
	s_and_not1_b32 vcc_lo, exec_lo, s0
	s_cbranch_vccnz .LBB142_1860
.LBB142_1840:
	v_cmp_lt_i16_e32 vcc_lo, 0, v12
	s_mov_b32 s0, 0
	s_mov_b32 s1, -1
	s_cbranch_vccz .LBB142_1855
; %bb.1841:
	v_and_b32_e64 v0, 0xff, s7
	s_delay_alu instid0(VALU_DEP_1)
	v_cmp_gt_i16_e32 vcc_lo, 0x80, v0
	s_cbranch_vccnz .LBB142_1849
; %bb.1842:
	v_cmp_ne_u16_e64 s0, 0x80, v0
	s_mov_b32 s2, 0
	s_mov_b32 s1, 0
	s_branch .LBB142_1850
.LBB142_1843:
	s_mov_b32 s2, -1
	s_mov_b32 s0, 0
                                        ; implicit-def: $sgpr1
.LBB142_1844:
	s_and_not1_b32 vcc_lo, exec_lo, s2
	s_cbranch_vccnz .LBB142_1846
; %bb.1845:
	v_cmp_ne_u16_e64 s0, 0, v0
	s_mov_b32 s1, 0
.LBB142_1846:
	s_delay_alu instid0(SALU_CYCLE_1) | instskip(NEXT) | instid1(VALU_DEP_2)
	v_mov_b32_e32 v0, s1
	s_and_not1_b32 vcc_lo, exec_lo, s0
	s_cbranch_vccnz .LBB142_1848
; %bb.1847:
	v_lshrrev_b16 v0, 3, s7
	s_and_b32 s0, s7, 7
	s_lshl_b32 s4, s7, 24
	s_clz_i32_u32 s1, s0
	s_delay_alu instid0(SALU_CYCLE_1) | instskip(SKIP_4) | instid1(VALU_DEP_1)
	s_min_u32 s1, s1, 32
	v_readfirstlane_b32 s2, v0
	s_sub_i32 s3, s1, 28
	s_sub_i32 s1, 29, s1
	s_lshl_b32 s3, s7, s3
	s_and_b32 s2, s2, 15
	s_and_b32 s3, s3, 7
	s_cmp_eq_u32 s2, 0
	s_cselect_b32 s1, s1, s2
	s_cselect_b32 s0, s3, s0
	s_lshl_b32 s1, s1, 23
	s_and_b32 s2, s4, 0x80000000
	s_add_i32 s1, s1, 0x3b800000
	s_lshl_b32 s0, s0, 20
	s_or_b32 s1, s2, s1
	s_delay_alu instid0(SALU_CYCLE_1) | instskip(NEXT) | instid1(SALU_CYCLE_1)
	s_or_b32 s0, s1, s0
	v_cvt_i32_f32_e32 v0, s0
.LBB142_1848:
	global_store_b16 v[4:5], v0, off
	s_cbranch_execnz .LBB142_1860
	s_branch .LBB142_1840
.LBB142_1849:
	s_mov_b32 s2, -1
                                        ; implicit-def: $sgpr1
.LBB142_1850:
	s_delay_alu instid0(SALU_CYCLE_1)
	s_and_not1_b32 vcc_lo, exec_lo, s2
	s_cbranch_vccnz .LBB142_1852
; %bb.1851:
	v_cmp_ne_u16_e64 s0, 0, v0
	s_mov_b32 s1, 0
.LBB142_1852:
	s_delay_alu instid0(SALU_CYCLE_1) | instskip(NEXT) | instid1(VALU_DEP_2)
	v_mov_b32_e32 v0, s1
	s_and_not1_b32 vcc_lo, exec_lo, s0
	s_cbranch_vccnz .LBB142_1854
; %bb.1853:
	v_lshrrev_b16 v0, 3, s7
	s_and_b32 s0, s7, 7
	s_lshl_b32 s4, s7, 24
	s_clz_i32_u32 s1, s0
	s_delay_alu instid0(SALU_CYCLE_1) | instskip(SKIP_4) | instid1(VALU_DEP_1)
	s_min_u32 s1, s1, 32
	v_readfirstlane_b32 s2, v0
	s_sub_i32 s3, s1, 28
	s_sub_i32 s1, 29, s1
	s_lshl_b32 s3, s7, s3
	s_and_b32 s2, s2, 15
	s_and_b32 s3, s3, 7
	s_cmp_eq_u32 s2, 0
	s_cselect_b32 s1, s1, s2
	s_cselect_b32 s0, s3, s0
	s_lshl_b32 s1, s1, 23
	s_and_b32 s2, s4, 0x80000000
	s_add_i32 s1, s1, 0x3b800000
	s_lshl_b32 s0, s0, 20
	s_or_b32 s1, s2, s1
	s_delay_alu instid0(SALU_CYCLE_1) | instskip(NEXT) | instid1(SALU_CYCLE_1)
	s_or_b32 s0, s1, s0
	v_cvt_i32_f32_e32 v0, s0
.LBB142_1854:
	s_mov_b32 s1, 0
	global_store_b8 v[4:5], v0, off
.LBB142_1855:
	s_and_b32 vcc_lo, exec_lo, s1
	s_cbranch_vccz .LBB142_1860
; %bb.1856:
	v_and_b32_e64 v0, 0xff, s7
	s_delay_alu instid0(VALU_DEP_1)
	v_cmp_gt_i16_e32 vcc_lo, 0x80, v0
	s_cbranch_vccnz .LBB142_1861
; %bb.1857:
	v_cmp_ne_u16_e64 s0, 0x80, v0
	s_mov_b32 s1, 0
	s_cbranch_execz .LBB142_1862
; %bb.1858:
	v_mov_b32_e32 v0, s1
	s_delay_alu instid0(VALU_DEP_2)
	s_and_not1_b32 vcc_lo, exec_lo, s0
	s_cbranch_vccnz .LBB142_1863
.LBB142_1859:
	v_lshrrev_b16 v0, 3, s7
	s_and_b32 s0, s7, 7
	s_lshl_b32 s3, s7, 24
	s_clz_i32_u32 s1, s0
	s_delay_alu instid0(SALU_CYCLE_1) | instskip(SKIP_4) | instid1(VALU_DEP_1)
	s_min_u32 s1, s1, 32
	v_readfirstlane_b32 s2, v0
	s_sub_i32 s4, s1, 28
	s_sub_i32 s1, 29, s1
	s_lshl_b32 s4, s7, s4
	s_and_b32 s2, s2, 15
	s_and_b32 s4, s4, 7
	s_cmp_eq_u32 s2, 0
	s_cselect_b32 s1, s1, s2
	s_cselect_b32 s0, s4, s0
	s_lshl_b32 s1, s1, 23
	s_and_b32 s2, s3, 0x80000000
	s_add_i32 s1, s1, 0x3b800000
	s_lshl_b32 s0, s0, 20
	s_or_b32 s1, s2, s1
	s_delay_alu instid0(SALU_CYCLE_1) | instskip(NEXT) | instid1(SALU_CYCLE_1)
	s_or_b32 s0, s1, s0
	v_trunc_f32_e32 v0, s0
	s_delay_alu instid0(VALU_DEP_1) | instskip(NEXT) | instid1(VALU_DEP_1)
	v_mul_f32_e64 v1, 0x2f800000, |v0|
	v_floor_f32_e32 v1, v1
	s_delay_alu instid0(VALU_DEP_1) | instskip(SKIP_1) | instid1(VALU_DEP_2)
	v_fma_f32 v1, 0xcf800000, v1, |v0|
	v_ashrrev_i32_e32 v0, 31, v0
	v_cvt_u32_f32_e32 v1, v1
	s_delay_alu instid0(VALU_DEP_1) | instskip(NEXT) | instid1(VALU_DEP_1)
	v_xor_b32_e32 v1, v1, v0
	v_sub_nc_u32_e32 v0, v1, v0
	global_store_b8 v[4:5], v0, off
	s_nop 0
	s_sendmsg sendmsg(MSG_DEALLOC_VGPRS)
	s_endpgm
.LBB142_1860:
	s_nop 0
	s_sendmsg sendmsg(MSG_DEALLOC_VGPRS)
	s_endpgm
.LBB142_1861:
	s_mov_b32 s0, 0
                                        ; implicit-def: $sgpr1
.LBB142_1862:
	v_cmp_ne_u16_e64 s0, 0, v0
	s_mov_b32 s1, 0
	s_delay_alu instid0(SALU_CYCLE_1) | instskip(NEXT) | instid1(VALU_DEP_2)
	v_mov_b32_e32 v0, s1
	s_and_not1_b32 vcc_lo, exec_lo, s0
	s_cbranch_vccz .LBB142_1859
.LBB142_1863:
	global_store_b8 v[4:5], v0, off
	s_nop 0
	s_sendmsg sendmsg(MSG_DEALLOC_VGPRS)
	s_endpgm
.LBB142_1864:
	s_mov_b32 s5, -1
	s_mov_b32 s1, 0
                                        ; implicit-def: $sgpr0
	s_branch .LBB142_2176
.LBB142_1865:
                                        ; implicit-def: $sgpr0
.LBB142_1866:
	s_mov_b32 s18, 0
.LBB142_1867:
	s_delay_alu instid0(SALU_CYCLE_1)
	s_and_b32 vcc_lo, exec_lo, s18
	s_cbranch_vccz .LBB142_1869
; %bb.1868:
	v_cmp_ne_u16_e64 s17, 0, v0
	s_mov_b32 s0, 0
.LBB142_1869:
	s_delay_alu instid0(VALU_DEP_1)
	s_and_not1_b32 vcc_lo, exec_lo, s17
	s_cbranch_vccnz .LBB142_1871
; %bb.1870:
	s_mov_b32 s0, s2
.LBB142_1871:
	s_delay_alu instid0(SALU_CYCLE_1) | instskip(NEXT) | instid1(SALU_CYCLE_1)
	s_bfe_u32 s17, s0, 0x10010
	s_add_i32 s17, s0, s17
	v_cmp_o_f32_e64 s0, s0, s0
	s_addk_i32 s17, 0x7fff
	s_delay_alu instid0(SALU_CYCLE_1) | instskip(NEXT) | instid1(VALU_DEP_1)
	s_lshr_b32 s17, s17, 16
	s_and_b32 s0, s0, exec_lo
	s_cselect_b32 s0, s17, 0x7fc0
	s_mov_b32 s17, 0
	v_mov_b32_e32 v0, s0
	s_mov_b32 s0, -1
	global_store_b32 v[10:11], v0, off
.LBB142_1872:
	s_and_b32 vcc_lo, exec_lo, s1
	s_cbranch_vccz .LBB142_1885
; %bb.1873:
	v_cmp_eq_u16_e32 vcc_lo, 44, v12
	s_mov_b32 s17, -1
	s_cbranch_vccz .LBB142_1885
; %bb.1874:
	v_and_b32_e64 v0, 0xff, s7
	s_delay_alu instid0(VALU_DEP_1)
	v_cmp_gt_i16_e32 vcc_lo, 0x80, v0
	v_readfirstlane_b32 s1, v0
	s_cbranch_vccnz .LBB142_1877
; %bb.1875:
	s_delay_alu instid0(VALU_DEP_1) | instskip(NEXT) | instid1(VALU_DEP_1)
	v_cmp_eq_u16_e64 s0, 0x80, s1
	s_and_b32 vcc_lo, exec_lo, s0
	s_cbranch_vccz .LBB142_1878
; %bb.1876:
	s_mov_b32 s17, 0
	s_mov_b32 s0, 0x7f800001
	s_branch .LBB142_1879
.LBB142_1877:
	s_mov_b32 s18, -1
	s_mov_b32 s17, 0
                                        ; implicit-def: $sgpr0
	s_branch .LBB142_1880
.LBB142_1878:
                                        ; implicit-def: $sgpr0
.LBB142_1879:
	s_mov_b32 s18, 0
.LBB142_1880:
	s_delay_alu instid0(SALU_CYCLE_1)
	s_and_b32 vcc_lo, exec_lo, s18
	s_cbranch_vccz .LBB142_1890
; %bb.1881:
	v_cmp_ne_u16_e64 s17, s1, 0
	s_and_b32 s0, 0xffff, s1
	s_delay_alu instid0(VALU_DEP_1)
	s_and_not1_b32 vcc_lo, exec_lo, s17
	s_cbranch_vccz .LBB142_1891
.LBB142_1882:
	v_mov_b32_e32 v0, 0xff
	s_bfe_u32 s1, s0, 0x80017
	s_delay_alu instid0(SALU_CYCLE_1)
	s_cmpk_eq_i32 s1, 0xff
	s_cbranch_scc1 .LBB142_1884
.LBB142_1883:
	s_lshr_b32 s17, s0, 23
	s_bitcmp1_b32 s0, 22
	s_cselect_b32 s18, -1, 0
	s_and_b32 s0, s0, 0x3fffff
	s_delay_alu instid0(SALU_CYCLE_1) | instskip(NEXT) | instid1(SALU_CYCLE_1)
	s_or_b32 s0, s1, s0
	s_cmp_lg_u32 s0, 0
	s_cselect_b32 s0, -1, 0
	s_delay_alu instid0(SALU_CYCLE_1) | instskip(NEXT) | instid1(SALU_CYCLE_1)
	s_and_b32 s0, s18, s0
	v_cndmask_b32_e64 v0, 0, 1, s0
	s_delay_alu instid0(VALU_DEP_1)
	v_add_nc_u32_e32 v0, s17, v0
.LBB142_1884:
	s_mov_b32 s0, -1
	s_mov_b32 s17, 0
	global_store_b8 v[10:11], v0, off
.LBB142_1885:
	s_mov_b32 s1, 0
.LBB142_1886:
	s_delay_alu instid0(SALU_CYCLE_1)
	s_and_b32 vcc_lo, exec_lo, s1
	s_cbranch_vccz .LBB142_1898
; %bb.1887:
	v_cmp_eq_u16_e32 vcc_lo, 29, v12
	s_mov_b32 s17, -1
	s_cbranch_vccz .LBB142_1898
; %bb.1888:
	v_and_b32_e64 v0, 0xff, s7
	s_delay_alu instid0(VALU_DEP_1)
	v_cmp_gt_i16_e32 vcc_lo, 0x80, v0
	s_cbranch_vccnz .LBB142_1892
; %bb.1889:
	v_cmp_ne_u16_e64 s17, 0x80, v0
	s_mov_b32 s18, 0
	s_mov_b64 s[0:1], 0
	s_branch .LBB142_1893
.LBB142_1890:
	s_and_not1_b32 vcc_lo, exec_lo, s17
	s_cbranch_vccnz .LBB142_1882
.LBB142_1891:
	s_mov_b32 s0, s10
	v_mov_b32_e32 v0, 0xff
	s_bfe_u32 s1, s0, 0x80017
	s_delay_alu instid0(SALU_CYCLE_1)
	s_cmpk_eq_i32 s1, 0xff
	s_cbranch_scc0 .LBB142_1883
	s_branch .LBB142_1884
.LBB142_1892:
	s_mov_b32 s18, -1
	s_mov_b32 s17, 0
                                        ; implicit-def: $sgpr0_sgpr1
.LBB142_1893:
	s_and_not1_b32 vcc_lo, exec_lo, s18
	s_cbranch_vccnz .LBB142_1895
; %bb.1894:
	v_cmp_ne_u16_e64 s17, 0, v0
	s_mov_b64 s[0:1], 0
.LBB142_1895:
	s_delay_alu instid0(SALU_CYCLE_1) | instskip(NEXT) | instid1(VALU_DEP_2)
	v_dual_mov_b32 v0, s0 :: v_dual_mov_b32 v1, s1
	s_and_not1_b32 vcc_lo, exec_lo, s17
	s_cbranch_vccnz .LBB142_1897
; %bb.1896:
	v_dual_mov_b32 v0, v8 :: v_dual_mov_b32 v1, v9
.LBB142_1897:
	s_mov_b32 s0, -1
	s_mov_b32 s17, 0
	global_store_b64 v[10:11], v[0:1], off
.LBB142_1898:
	s_mov_b32 s1, 0
.LBB142_1899:
	s_delay_alu instid0(SALU_CYCLE_1)
	s_and_b32 vcc_lo, exec_lo, s1
	s_cbranch_vccz .LBB142_1923
; %bb.1900:
	v_cmp_gt_i16_e32 vcc_lo, 27, v12
	s_mov_b32 s0, -1
	s_cbranch_vccnz .LBB142_1920
; %bb.1901:
	v_cmp_lt_i16_e32 vcc_lo, 27, v12
	s_cbranch_vccz .LBB142_1910
; %bb.1902:
	v_and_b32_e64 v0, 0xff, s7
	s_delay_alu instid0(VALU_DEP_1)
	v_cmp_gt_i16_e32 vcc_lo, 0x80, v0
	s_cbranch_vccnz .LBB142_1904
; %bb.1903:
	v_cmp_ne_u16_e64 s0, 0x80, v0
	s_mov_b32 s18, 0
	s_mov_b32 s1, 0
	s_branch .LBB142_1905
.LBB142_1904:
	s_mov_b32 s18, -1
	s_mov_b32 s0, 0
                                        ; implicit-def: $sgpr1
.LBB142_1905:
	s_and_not1_b32 vcc_lo, exec_lo, s18
	s_cbranch_vccnz .LBB142_1907
; %bb.1906:
	v_cmp_ne_u16_e64 s0, 0, v0
	s_mov_b32 s1, 0
.LBB142_1907:
	s_delay_alu instid0(SALU_CYCLE_1) | instskip(NEXT) | instid1(VALU_DEP_2)
	v_mov_b32_e32 v0, s1
	s_and_not1_b32 vcc_lo, exec_lo, s0
	s_cbranch_vccnz .LBB142_1909
; %bb.1908:
	v_mov_b32_e32 v0, v16
.LBB142_1909:
	s_mov_b32 s0, 0
	global_store_b32 v[10:11], v0, off
.LBB142_1910:
	s_and_b32 vcc_lo, exec_lo, s0
	s_cbranch_vccz .LBB142_1919
; %bb.1911:
	v_and_b32_e64 v0, 0xff, s7
	s_delay_alu instid0(VALU_DEP_1)
	v_cmp_gt_i16_e32 vcc_lo, 0x80, v0
	s_cbranch_vccnz .LBB142_1913
; %bb.1912:
	v_cmp_ne_u16_e64 s0, 0x80, v0
	s_mov_b32 s18, 0
	s_mov_b32 s1, 0
	s_branch .LBB142_1914
.LBB142_1913:
	s_mov_b32 s18, -1
	s_mov_b32 s0, 0
                                        ; implicit-def: $sgpr1
.LBB142_1914:
	s_and_not1_b32 vcc_lo, exec_lo, s18
	s_cbranch_vccnz .LBB142_1916
; %bb.1915:
	v_cmp_ne_u16_e64 s0, 0, v0
	s_mov_b32 s1, 0
.LBB142_1916:
	s_delay_alu instid0(SALU_CYCLE_1) | instskip(NEXT) | instid1(VALU_DEP_2)
	v_mov_b32_e32 v0, s1
	s_and_not1_b32 vcc_lo, exec_lo, s0
	s_cbranch_vccnz .LBB142_1918
; %bb.1917:
	v_mov_b32_e32 v0, v16
.LBB142_1918:
	global_store_b16 v[10:11], v0, off
.LBB142_1919:
	s_mov_b32 s0, 0
.LBB142_1920:
	s_delay_alu instid0(SALU_CYCLE_1)
	s_and_not1_b32 vcc_lo, exec_lo, s0
	s_cbranch_vccnz .LBB142_1922
; %bb.1921:
	v_mov_b32_e32 v0, s7
	global_store_b8 v[10:11], v0, off
.LBB142_1922:
	s_mov_b32 s0, -1
.LBB142_1923:
	s_mov_b32 s1, 0
.LBB142_1924:
	s_delay_alu instid0(SALU_CYCLE_1)
	s_and_b32 vcc_lo, exec_lo, s1
	s_cbranch_vccz .LBB142_2021
; %bb.1925:
	v_cmp_lt_i16_e32 vcc_lo, 22, v12
	s_mov_b32 s1, -1
	s_cbranch_vccz .LBB142_1993
; %bb.1926:
	v_cmp_gt_i16_e32 vcc_lo, 24, v12
	s_mov_b32 s0, -1
	s_cbranch_vccnz .LBB142_1970
; %bb.1927:
	v_cmp_lt_i16_e32 vcc_lo, 24, v12
	s_cbranch_vccz .LBB142_1947
; %bb.1928:
	v_and_b32_e64 v0, 0xff, s7
	s_delay_alu instid0(VALU_DEP_1)
	v_cmp_gt_i16_e32 vcc_lo, 0x80, v0
	s_cbranch_vccnz .LBB142_1931
; %bb.1929:
	v_cmp_eq_u16_e32 vcc_lo, 0x80, v0
	s_cbranch_vccz .LBB142_1932
; %bb.1930:
	s_mov_b32 s1, 0
	s_mov_b32 s0, 0x7f800001
	s_branch .LBB142_1933
.LBB142_1931:
	s_mov_b32 s18, -1
	s_mov_b32 s1, 0
                                        ; implicit-def: $sgpr0
	s_branch .LBB142_1934
.LBB142_1932:
                                        ; implicit-def: $sgpr0
.LBB142_1933:
	s_mov_b32 s18, 0
.LBB142_1934:
	s_delay_alu instid0(SALU_CYCLE_1)
	s_and_b32 vcc_lo, exec_lo, s18
	s_cbranch_vccz .LBB142_1937
; %bb.1935:
	v_cmp_ne_u16_e64 s1, 0, v0
	s_mov_b32 s0, 0
	s_delay_alu instid0(VALU_DEP_1)
	s_and_not1_b32 vcc_lo, exec_lo, s1
	s_cbranch_vccz .LBB142_1938
.LBB142_1936:
	v_mov_b32_e32 v1, 0x80
	s_and_b32 s1, s0, 0x7fffffff
	s_delay_alu instid0(SALU_CYCLE_1)
	s_cmp_gt_u32 s1, 0x477fffff
	s_cbranch_scc0 .LBB142_1939
	s_branch .LBB142_1946
.LBB142_1937:
	s_and_not1_b32 vcc_lo, exec_lo, s1
	s_cbranch_vccnz .LBB142_1936
.LBB142_1938:
	s_mov_b32 s0, s2
	v_mov_b32_e32 v1, 0x80
	s_and_b32 s1, s0, 0x7fffffff
	s_delay_alu instid0(SALU_CYCLE_1)
	s_cmp_gt_u32 s1, 0x477fffff
	s_cbranch_scc1 .LBB142_1946
.LBB142_1939:
	s_cmp_lt_u32 s1, 0x38000000
	s_cbranch_scc1 .LBB142_1941
; %bb.1940:
	s_bfe_u32 s1, s0, 0x10015
	s_mov_b32 s18, 0
	s_add_i32 s1, s0, s1
	s_delay_alu instid0(SALU_CYCLE_1) | instskip(NEXT) | instid1(SALU_CYCLE_1)
	s_add_i32 s1, s1, 0x88fffff
	s_lshr_b32 s19, s1, 21
	s_mov_b32 s1, -1
	s_branch .LBB142_1942
.LBB142_1941:
	s_mov_b32 s18, -1
	s_mov_b32 s1, 0
                                        ; implicit-def: $sgpr19
.LBB142_1942:
	v_mov_b32_e32 v0, s19
	s_and_not1_b32 vcc_lo, exec_lo, s18
                                        ; implicit-def: $sgpr18
	s_cbranch_vccnz .LBB142_1944
; %bb.1943:
	v_add_f32_e64 v0, 0x42800000, |s0|
	s_mov_b32 s18, 0
	s_delay_alu instid0(VALU_DEP_1) | instskip(NEXT) | instid1(VALU_DEP_1)
	v_and_b32_e32 v0, 0xff, v0
	v_cmp_ne_u32_e64 s1, 0, v0
.LBB142_1944:
	v_mov_b32_e32 v1, s18
	s_delay_alu instid0(VALU_DEP_2)
	s_and_not1_b32 vcc_lo, exec_lo, s1
	s_cbranch_vccnz .LBB142_1946
; %bb.1945:
	s_lshr_b32 s0, s0, 24
	s_delay_alu instid0(SALU_CYCLE_1) | instskip(NEXT) | instid1(SALU_CYCLE_1)
	s_and_b32 s0, s0, 0x80
	v_or_b32_e32 v1, s0, v0
.LBB142_1946:
	s_mov_b32 s0, 0
	global_store_b8 v[10:11], v1, off
.LBB142_1947:
	s_and_b32 vcc_lo, exec_lo, s0
	s_cbranch_vccz .LBB142_1969
; %bb.1948:
	v_and_b32_e64 v0, 0xff, s7
	s_delay_alu instid0(VALU_DEP_1)
	v_cmp_gt_i16_e32 vcc_lo, 0x80, v0
	s_cbranch_vccnz .LBB142_1951
; %bb.1949:
	v_cmp_eq_u16_e32 vcc_lo, 0x80, v0
	s_cbranch_vccz .LBB142_1952
; %bb.1950:
	s_mov_b32 s1, 0
	s_mov_b32 s0, 0x7f800001
	s_branch .LBB142_1953
.LBB142_1951:
	s_mov_b32 s18, -1
	s_mov_b32 s1, 0
                                        ; implicit-def: $sgpr0
	s_branch .LBB142_1954
.LBB142_1952:
	s_mov_b32 s1, -1
                                        ; implicit-def: $sgpr0
.LBB142_1953:
	s_mov_b32 s18, 0
.LBB142_1954:
	s_delay_alu instid0(SALU_CYCLE_1)
	s_and_b32 vcc_lo, exec_lo, s18
	s_cbranch_vccz .LBB142_1959
; %bb.1955:
	v_cmp_ne_u16_e64 s1, 0, v0
	s_mov_b32 s0, 0
	s_delay_alu instid0(VALU_DEP_1)
	s_and_not1_b32 vcc_lo, exec_lo, s1
	s_cbranch_vccz .LBB142_1960
.LBB142_1956:
	s_and_b32 s1, s0, 0x7fffffff
	s_delay_alu instid0(SALU_CYCLE_1)
	s_cmp_gt_u32 s1, 0x43efffff
	s_cbranch_scc1 .LBB142_1961
.LBB142_1957:
	s_cmp_lt_u32 s1, 0x3c800000
	s_cbranch_scc1 .LBB142_1962
; %bb.1958:
	s_bfe_u32 s18, s0, 0x10014
	s_delay_alu instid0(SALU_CYCLE_1) | instskip(NEXT) | instid1(SALU_CYCLE_1)
	s_add_i32 s18, s0, s18
	s_add_i32 s18, s18, 0x407ffff
	s_delay_alu instid0(SALU_CYCLE_1)
	s_and_b32 s19, s18, 0xff00000
	s_lshr_b32 s18, s18, 20
	s_cmp_lg_u32 s19, 0x7f00000
	s_cselect_b32 s19, s18, 0x7e
	s_mov_b32 s18, 0
	s_branch .LBB142_1963
.LBB142_1959:
	s_and_not1_b32 vcc_lo, exec_lo, s1
	s_cbranch_vccnz .LBB142_1956
.LBB142_1960:
	s_mov_b32 s0, s2
	s_delay_alu instid0(SALU_CYCLE_1) | instskip(NEXT) | instid1(SALU_CYCLE_1)
	s_and_b32 s1, s0, 0x7fffffff
	s_cmp_gt_u32 s1, 0x43efffff
	s_cbranch_scc0 .LBB142_1957
.LBB142_1961:
	s_mov_b32 s18, -1
                                        ; implicit-def: $vgpr0
	s_branch .LBB142_1966
.LBB142_1962:
	s_mov_b32 s18, -1
                                        ; implicit-def: $sgpr19
.LBB142_1963:
	v_mov_b32_e32 v0, s19
	s_and_not1_b32 vcc_lo, exec_lo, s18
	s_cbranch_vccnz .LBB142_1965
; %bb.1964:
	v_add_f32_e64 v0, 0x46800000, |s0|
.LBB142_1965:
	s_mov_b32 s18, 0
.LBB142_1966:
	s_delay_alu instid0(SALU_CYCLE_1)
	s_and_not1_b32 vcc_lo, exec_lo, s18
	s_cbranch_vccnz .LBB142_1968
; %bb.1967:
	s_cmp_gt_u32 s1, 0x7f800000
	s_movk_i32 s1, 0x7f
	s_delay_alu instid0(SALU_CYCLE_1) | instskip(NEXT) | instid1(SALU_CYCLE_1)
	s_cselect_b32 s1, s1, 0x7e
	v_mov_b32_e32 v0, s1
.LBB142_1968:
	s_lshr_b32 s0, s0, 24
	s_delay_alu instid0(SALU_CYCLE_1)
	s_and_b32 s0, s0, 0x80
	s_delay_alu instid0(VALU_DEP_1) | instid1(SALU_CYCLE_1)
	v_or_b32_e32 v0, s0, v0
	global_store_b8 v[10:11], v0, off
.LBB142_1969:
	s_mov_b32 s0, 0
.LBB142_1970:
	s_delay_alu instid0(SALU_CYCLE_1)
	s_and_not1_b32 vcc_lo, exec_lo, s0
	s_cbranch_vccnz .LBB142_1992
; %bb.1971:
	v_and_b32_e64 v0, 0xff, s7
	s_delay_alu instid0(VALU_DEP_1)
	v_cmp_gt_i16_e32 vcc_lo, 0x80, v0
	s_cbranch_vccnz .LBB142_1974
; %bb.1972:
	v_cmp_eq_u16_e32 vcc_lo, 0x80, v0
	s_cbranch_vccz .LBB142_1975
; %bb.1973:
	s_mov_b32 s1, 0
	s_mov_b32 s0, 0x7f800001
	s_branch .LBB142_1976
.LBB142_1974:
	s_mov_b32 s18, -1
	s_mov_b32 s1, 0
                                        ; implicit-def: $sgpr0
	s_branch .LBB142_1977
.LBB142_1975:
	s_mov_b32 s1, -1
                                        ; implicit-def: $sgpr0
.LBB142_1976:
	s_mov_b32 s18, 0
.LBB142_1977:
	s_delay_alu instid0(SALU_CYCLE_1)
	s_and_b32 vcc_lo, exec_lo, s18
	s_cbranch_vccz .LBB142_1982
; %bb.1978:
	v_cmp_ne_u16_e64 s1, 0, v0
	s_mov_b32 s0, 0
	s_delay_alu instid0(VALU_DEP_1)
	s_and_not1_b32 vcc_lo, exec_lo, s1
	s_cbranch_vccz .LBB142_1983
.LBB142_1979:
	s_and_b32 s1, s0, 0x7fffffff
	s_delay_alu instid0(SALU_CYCLE_1)
	s_cmp_gt_u32 s1, 0x477fffff
	s_cbranch_scc1 .LBB142_1984
.LBB142_1980:
	s_cmp_lt_u32 s1, 0x38800000
	s_cbranch_scc1 .LBB142_1985
; %bb.1981:
	s_bfe_u32 s18, s0, 0x10015
	s_delay_alu instid0(SALU_CYCLE_1) | instskip(NEXT) | instid1(SALU_CYCLE_1)
	s_add_i32 s18, s0, s18
	s_add_i32 s18, s18, 0x80fffff
	s_delay_alu instid0(SALU_CYCLE_1)
	s_lshr_b32 s19, s18, 21
	s_mov_b32 s18, 0
	s_branch .LBB142_1986
.LBB142_1982:
	s_and_not1_b32 vcc_lo, exec_lo, s1
	s_cbranch_vccnz .LBB142_1979
.LBB142_1983:
	s_mov_b32 s0, s2
	s_delay_alu instid0(SALU_CYCLE_1) | instskip(NEXT) | instid1(SALU_CYCLE_1)
	s_and_b32 s1, s0, 0x7fffffff
	s_cmp_gt_u32 s1, 0x477fffff
	s_cbranch_scc0 .LBB142_1980
.LBB142_1984:
	s_mov_b32 s18, -1
                                        ; implicit-def: $vgpr0
	s_branch .LBB142_1989
.LBB142_1985:
	s_mov_b32 s18, -1
                                        ; implicit-def: $sgpr19
.LBB142_1986:
	v_mov_b32_e32 v0, s19
	s_and_not1_b32 vcc_lo, exec_lo, s18
	s_cbranch_vccnz .LBB142_1988
; %bb.1987:
	v_add_f32_e64 v0, 0x43000000, |s0|
.LBB142_1988:
	s_mov_b32 s18, 0
.LBB142_1989:
	s_delay_alu instid0(SALU_CYCLE_1)
	s_and_not1_b32 vcc_lo, exec_lo, s18
	s_cbranch_vccnz .LBB142_1991
; %bb.1990:
	s_cmp_gt_u32 s1, 0x7f800000
	s_movk_i32 s1, 0x7f
	s_delay_alu instid0(SALU_CYCLE_1) | instskip(NEXT) | instid1(SALU_CYCLE_1)
	s_cselect_b32 s1, s1, 0x7c
	v_mov_b32_e32 v0, s1
.LBB142_1991:
	s_lshr_b32 s0, s0, 24
	s_delay_alu instid0(SALU_CYCLE_1)
	s_and_b32 s0, s0, 0x80
	s_delay_alu instid0(VALU_DEP_1) | instid1(SALU_CYCLE_1)
	v_or_b32_e32 v0, s0, v0
	global_store_b8 v[10:11], v0, off
.LBB142_1992:
	s_mov_b32 s1, 0
	s_mov_b32 s0, -1
.LBB142_1993:
	s_and_not1_b32 vcc_lo, exec_lo, s1
	s_cbranch_vccnz .LBB142_2021
; %bb.1994:
	v_cmp_lt_i16_e32 vcc_lo, 14, v12
	s_mov_b32 s1, -1
	s_cbranch_vccz .LBB142_2008
; %bb.1995:
	v_cmp_eq_u16_e32 vcc_lo, 15, v12
	s_mov_b32 s17, -1
	s_cbranch_vccz .LBB142_2007
; %bb.1996:
	v_and_b32_e64 v0, 0xff, s7
	s_delay_alu instid0(VALU_DEP_1)
	v_cmp_gt_i16_e32 vcc_lo, 0x80, v0
	s_cbranch_vccnz .LBB142_1999
; %bb.1997:
	v_cmp_eq_u16_e32 vcc_lo, 0x80, v0
	s_cbranch_vccz .LBB142_2000
; %bb.1998:
	s_mov_b32 s1, 0
	s_mov_b32 s0, 0x7f800001
	s_branch .LBB142_2001
.LBB142_1999:
	s_mov_b32 s1, 0
                                        ; implicit-def: $sgpr0
	s_branch .LBB142_2002
.LBB142_2000:
                                        ; implicit-def: $sgpr0
.LBB142_2001:
	s_mov_b32 s17, 0
.LBB142_2002:
	s_delay_alu instid0(SALU_CYCLE_1)
	s_and_b32 vcc_lo, exec_lo, s17
	s_cbranch_vccz .LBB142_2004
; %bb.2003:
	v_cmp_ne_u16_e64 s1, 0, v0
	s_mov_b32 s0, 0
.LBB142_2004:
	s_delay_alu instid0(VALU_DEP_1)
	s_and_not1_b32 vcc_lo, exec_lo, s1
	s_cbranch_vccnz .LBB142_2006
; %bb.2005:
	s_mov_b32 s0, s2
.LBB142_2006:
	s_delay_alu instid0(SALU_CYCLE_1) | instskip(SKIP_4) | instid1(SALU_CYCLE_1)
	s_bfe_u32 s1, s0, 0x10010
	s_mov_b32 s17, 0
	s_add_i32 s1, s0, s1
	v_cmp_o_f32_e64 s0, s0, s0
	s_addk_i32 s1, 0x7fff
	s_lshr_b32 s1, s1, 16
	s_delay_alu instid0(VALU_DEP_1) | instskip(SKIP_1) | instid1(SALU_CYCLE_1)
	s_and_b32 s0, s0, exec_lo
	s_cselect_b32 s0, s1, 0x7fc0
	v_mov_b32_e32 v0, s0
	s_mov_b32 s0, -1
	global_store_b16 v[10:11], v0, off
.LBB142_2007:
	s_mov_b32 s1, 0
.LBB142_2008:
	s_delay_alu instid0(SALU_CYCLE_1)
	s_and_b32 vcc_lo, exec_lo, s1
	s_cbranch_vccz .LBB142_2021
; %bb.2009:
	v_cmp_eq_u16_e32 vcc_lo, 11, v12
	s_mov_b32 s17, -1
	s_cbranch_vccz .LBB142_2021
; %bb.2010:
	v_and_b32_e64 v0, 0xff, s7
	s_delay_alu instid0(VALU_DEP_1)
	v_cmp_gt_i16_e32 vcc_lo, 0x80, v0
	s_cbranch_vccnz .LBB142_2013
; %bb.2011:
	v_cmp_eq_u16_e32 vcc_lo, 0x80, v0
	s_cbranch_vccz .LBB142_2014
; %bb.2012:
	s_mov_b32 s1, 0
	s_mov_b32 s0, -1
	s_branch .LBB142_2015
.LBB142_2013:
	s_mov_b32 s1, 0
                                        ; implicit-def: $sgpr0
	s_branch .LBB142_2016
.LBB142_2014:
	s_mov_b32 s1, -1
                                        ; implicit-def: $sgpr0
.LBB142_2015:
	s_mov_b32 s17, 0
.LBB142_2016:
	s_delay_alu instid0(SALU_CYCLE_1)
	s_and_b32 vcc_lo, exec_lo, s17
	s_cbranch_vccz .LBB142_2018
; %bb.2017:
	v_cmp_ne_u16_e64 s1, 0, v0
	s_mov_b32 s0, 0
.LBB142_2018:
	s_delay_alu instid0(VALU_DEP_1)
	s_and_not1_b32 vcc_lo, exec_lo, s1
	s_cbranch_vccnz .LBB142_2020
; %bb.2019:
	s_mov_b32 s0, s9
.LBB142_2020:
	s_delay_alu instid0(SALU_CYCLE_1)
	v_cndmask_b32_e64 v0, 0, 1, s0
	s_mov_b32 s0, -1
	s_mov_b32 s17, 0
	global_store_b8 v[10:11], v0, off
.LBB142_2021:
	s_mov_b32 s1, 0
.LBB142_2022:
	s_delay_alu instid0(SALU_CYCLE_1)
	s_and_b32 vcc_lo, exec_lo, s1
	s_cbranch_vccz .LBB142_2156
; %bb.2023:
	v_cmp_gt_i16_e32 vcc_lo, 5, v12
	s_mov_b32 s0, -1
	s_cbranch_vccnz .LBB142_2104
; %bb.2024:
	v_cmp_gt_i16_e32 vcc_lo, 8, v12
	s_cbranch_vccnz .LBB142_2064
; %bb.2025:
	v_cmp_gt_i16_e32 vcc_lo, 9, v12
	s_cbranch_vccnz .LBB142_2051
; %bb.2026:
	v_cmp_lt_i16_e32 vcc_lo, 9, v12
	s_cbranch_vccz .LBB142_2038
; %bb.2027:
	v_and_b32_e64 v0, 0xff, s7
	s_delay_alu instid0(VALU_DEP_1)
	v_cmp_gt_i16_e32 vcc_lo, 0x80, v0
	s_cbranch_vccnz .LBB142_2030
; %bb.2028:
	v_cmp_eq_u16_e32 vcc_lo, 0x80, v0
	s_cbranch_vccz .LBB142_2031
; %bb.2029:
	s_mov_b32 s18, 0
	s_mov_b32 s1, 0x7ff80000
	s_brev_b32 s0, 4
	s_branch .LBB142_2032
.LBB142_2030:
	s_mov_b32 s19, -1
	s_mov_b32 s18, 0
                                        ; implicit-def: $sgpr0_sgpr1
	s_branch .LBB142_2033
.LBB142_2031:
	s_mov_b32 s18, -1
                                        ; implicit-def: $sgpr0_sgpr1
.LBB142_2032:
	s_mov_b32 s19, 0
.LBB142_2033:
	s_delay_alu instid0(SALU_CYCLE_1)
	s_and_b32 vcc_lo, exec_lo, s19
	s_cbranch_vccz .LBB142_2035
; %bb.2034:
	v_cmp_ne_u16_e64 s18, 0, v0
	s_mov_b64 s[0:1], 0
.LBB142_2035:
	s_delay_alu instid0(SALU_CYCLE_1) | instskip(NEXT) | instid1(VALU_DEP_2)
	v_dual_mov_b32 v0, s0 :: v_dual_mov_b32 v1, s1
	s_and_not1_b32 vcc_lo, exec_lo, s18
	s_cbranch_vccnz .LBB142_2037
; %bb.2036:
	v_dual_mov_b32 v0, v6 :: v_dual_mov_b32 v1, v7
.LBB142_2037:
	v_mov_b32_e32 v2, 0
	s_mov_b32 s0, 0
	s_delay_alu instid0(VALU_DEP_1)
	v_mov_b32_e32 v3, v2
	global_store_b128 v[10:11], v[0:3], off
.LBB142_2038:
	s_and_b32 vcc_lo, exec_lo, s0
	s_cbranch_vccz .LBB142_2050
; %bb.2039:
	v_and_b32_e64 v1, 0xff, s7
	s_delay_alu instid0(VALU_DEP_1)
	v_cmp_gt_i16_e32 vcc_lo, 0x80, v1
	s_cbranch_vccnz .LBB142_2042
; %bb.2040:
	v_cmp_eq_u16_e32 vcc_lo, 0x80, v1
	s_cbranch_vccz .LBB142_2043
; %bb.2041:
	s_mov_b32 s0, 0
	s_mov_b32 s1, 0x7f800001
	s_branch .LBB142_2044
.LBB142_2042:
	s_mov_b32 s18, -1
	s_mov_b32 s0, 0
                                        ; implicit-def: $sgpr1
	s_branch .LBB142_2045
.LBB142_2043:
	s_mov_b32 s0, -1
                                        ; implicit-def: $sgpr1
.LBB142_2044:
	s_mov_b32 s18, 0
.LBB142_2045:
	v_mov_b32_e32 v0, s1
	s_and_b32 vcc_lo, exec_lo, s18
	s_cbranch_vccz .LBB142_2047
; %bb.2046:
	v_and_b32_e32 v0, 0xffff, v1
	v_cmp_ne_u16_e64 s0, 0, v1
.LBB142_2047:
	s_delay_alu instid0(VALU_DEP_1)
	s_and_not1_b32 vcc_lo, exec_lo, s0
	s_cbranch_vccnz .LBB142_2049
; %bb.2048:
	v_mov_b32_e32 v0, s2
.LBB142_2049:
	v_mov_b32_e32 v1, 0
	global_store_b64 v[10:11], v[0:1], off
.LBB142_2050:
	s_mov_b32 s0, 0
.LBB142_2051:
	s_delay_alu instid0(SALU_CYCLE_1)
	s_and_not1_b32 vcc_lo, exec_lo, s0
	s_cbranch_vccnz .LBB142_2063
; %bb.2052:
	v_and_b32_e64 v0, 0xff, s7
	s_delay_alu instid0(VALU_DEP_1)
	v_cmp_gt_i16_e32 vcc_lo, 0x80, v0
	s_cbranch_vccnz .LBB142_2055
; %bb.2053:
	v_cmp_eq_u16_e32 vcc_lo, 0x80, v0
	s_cbranch_vccz .LBB142_2056
; %bb.2054:
	s_mov_b32 s0, 0
	s_movk_i32 s1, 0x7e00
	s_branch .LBB142_2057
.LBB142_2055:
	s_mov_b32 s18, -1
	s_mov_b32 s0, 0
                                        ; implicit-def: $sgpr1
	s_branch .LBB142_2058
.LBB142_2056:
	s_mov_b32 s0, -1
                                        ; implicit-def: $sgpr1
.LBB142_2057:
	s_mov_b32 s18, 0
.LBB142_2058:
	v_mov_b32_e32 v1, s1
	s_and_b32 vcc_lo, exec_lo, s18
	s_cbranch_vccz .LBB142_2060
; %bb.2059:
	v_and_b32_e32 v1, 0xffff, v0
	v_cmp_ne_u16_e64 s0, 0, v0
.LBB142_2060:
	s_delay_alu instid0(VALU_DEP_1)
	s_and_not1_b32 vcc_lo, exec_lo, s0
	s_cbranch_vccnz .LBB142_2062
; %bb.2061:
	v_mov_b32_e32 v1, v15
.LBB142_2062:
	global_store_b32 v[10:11], v1, off
.LBB142_2063:
	s_mov_b32 s0, 0
.LBB142_2064:
	s_delay_alu instid0(SALU_CYCLE_1)
	s_and_not1_b32 vcc_lo, exec_lo, s0
	s_cbranch_vccnz .LBB142_2103
; %bb.2065:
	v_cmp_gt_i16_e32 vcc_lo, 6, v12
	s_mov_b32 s0, -1
	s_cbranch_vccnz .LBB142_2091
; %bb.2066:
	v_cmp_lt_i16_e32 vcc_lo, 6, v12
	s_cbranch_vccz .LBB142_2078
; %bb.2067:
	v_and_b32_e64 v0, 0xff, s7
	s_delay_alu instid0(VALU_DEP_1)
	v_cmp_gt_i16_e32 vcc_lo, 0x80, v0
	s_cbranch_vccnz .LBB142_2070
; %bb.2068:
	v_cmp_eq_u16_e32 vcc_lo, 0x80, v0
	s_cbranch_vccz .LBB142_2071
; %bb.2069:
	s_mov_b32 s18, 0
	s_mov_b32 s1, 0x7ff80000
	s_brev_b32 s0, 4
	s_branch .LBB142_2072
.LBB142_2070:
	s_mov_b32 s19, -1
	s_mov_b32 s18, 0
                                        ; implicit-def: $sgpr0_sgpr1
	s_branch .LBB142_2073
.LBB142_2071:
	s_mov_b32 s18, -1
                                        ; implicit-def: $sgpr0_sgpr1
.LBB142_2072:
	s_mov_b32 s19, 0
.LBB142_2073:
	s_delay_alu instid0(SALU_CYCLE_1)
	s_and_b32 vcc_lo, exec_lo, s19
	s_cbranch_vccz .LBB142_2075
; %bb.2074:
	v_cmp_ne_u16_e64 s18, 0, v0
	s_mov_b64 s[0:1], 0
.LBB142_2075:
	s_delay_alu instid0(SALU_CYCLE_1) | instskip(NEXT) | instid1(VALU_DEP_2)
	v_dual_mov_b32 v0, s0 :: v_dual_mov_b32 v1, s1
	s_and_not1_b32 vcc_lo, exec_lo, s18
	s_cbranch_vccnz .LBB142_2077
; %bb.2076:
	v_dual_mov_b32 v0, v6 :: v_dual_mov_b32 v1, v7
.LBB142_2077:
	s_mov_b32 s0, 0
	global_store_b64 v[10:11], v[0:1], off
.LBB142_2078:
	s_and_b32 vcc_lo, exec_lo, s0
	s_cbranch_vccz .LBB142_2090
; %bb.2079:
	v_and_b32_e64 v0, 0xff, s7
	s_delay_alu instid0(VALU_DEP_1)
	v_cmp_gt_i16_e32 vcc_lo, 0x80, v0
	s_cbranch_vccnz .LBB142_2082
; %bb.2080:
	v_cmp_eq_u16_e32 vcc_lo, 0x80, v0
	s_cbranch_vccz .LBB142_2083
; %bb.2081:
	s_mov_b32 s1, 0
	s_mov_b32 s0, 0x7f800001
	s_branch .LBB142_2084
.LBB142_2082:
	s_mov_b32 s18, -1
	s_mov_b32 s1, 0
                                        ; implicit-def: $sgpr0
	s_branch .LBB142_2085
.LBB142_2083:
	s_mov_b32 s1, -1
                                        ; implicit-def: $sgpr0
.LBB142_2084:
	s_mov_b32 s18, 0
.LBB142_2085:
	s_delay_alu instid0(SALU_CYCLE_1)
	s_and_b32 vcc_lo, exec_lo, s18
	s_cbranch_vccz .LBB142_2087
; %bb.2086:
	v_cmp_ne_u16_e64 s1, 0, v0
	s_mov_b32 s0, 0
.LBB142_2087:
	s_delay_alu instid0(VALU_DEP_1)
	s_and_not1_b32 vcc_lo, exec_lo, s1
	s_cbranch_vccnz .LBB142_2089
; %bb.2088:
	s_mov_b32 s0, s2
.LBB142_2089:
	s_delay_alu instid0(SALU_CYCLE_1)
	v_mov_b32_e32 v0, s0
	global_store_b32 v[10:11], v0, off
.LBB142_2090:
	s_mov_b32 s0, 0
.LBB142_2091:
	s_delay_alu instid0(SALU_CYCLE_1)
	s_and_not1_b32 vcc_lo, exec_lo, s0
	s_cbranch_vccnz .LBB142_2103
; %bb.2092:
	v_and_b32_e64 v0, 0xff, s7
	s_delay_alu instid0(VALU_DEP_1)
	v_cmp_gt_i16_e32 vcc_lo, 0x80, v0
	s_cbranch_vccnz .LBB142_2095
; %bb.2093:
	v_cmp_eq_u16_e32 vcc_lo, 0x80, v0
	s_cbranch_vccz .LBB142_2096
; %bb.2094:
	s_mov_b32 s0, 0
	s_movk_i32 s1, 0x7e00
	s_branch .LBB142_2097
.LBB142_2095:
	s_mov_b32 s18, -1
	s_mov_b32 s0, 0
                                        ; implicit-def: $sgpr1
	s_branch .LBB142_2098
.LBB142_2096:
	s_mov_b32 s0, -1
                                        ; implicit-def: $sgpr1
.LBB142_2097:
	s_mov_b32 s18, 0
.LBB142_2098:
	v_mov_b32_e32 v1, s1
	s_and_b32 vcc_lo, exec_lo, s18
	s_cbranch_vccz .LBB142_2100
; %bb.2099:
	v_cmp_ne_u16_e64 s0, 0, v0
	v_mov_b32_e32 v1, v0
.LBB142_2100:
	s_delay_alu instid0(VALU_DEP_2)
	s_and_not1_b32 vcc_lo, exec_lo, s0
	s_cbranch_vccnz .LBB142_2102
; %bb.2101:
	v_mov_b32_e32 v1, v14
.LBB142_2102:
	global_store_b16 v[10:11], v1, off
.LBB142_2103:
	s_mov_b32 s0, 0
.LBB142_2104:
	s_delay_alu instid0(SALU_CYCLE_1)
	s_and_not1_b32 vcc_lo, exec_lo, s0
	s_cbranch_vccnz .LBB142_2155
; %bb.2105:
	v_cmp_gt_i16_e32 vcc_lo, 2, v12
	s_mov_b32 s0, -1
	s_cbranch_vccnz .LBB142_2136
; %bb.2106:
	v_cmp_gt_i16_e32 vcc_lo, 3, v12
	s_cbranch_vccnz .LBB142_2126
; %bb.2107:
	v_cmp_lt_i16_e32 vcc_lo, 3, v12
	s_cbranch_vccz .LBB142_2116
; %bb.2108:
	v_and_b32_e64 v0, 0xff, s7
	s_delay_alu instid0(VALU_DEP_1)
	v_cmp_gt_i16_e32 vcc_lo, 0x80, v0
	s_cbranch_vccnz .LBB142_2110
; %bb.2109:
	v_cmp_ne_u16_e64 s18, 0x80, v0
	s_mov_b32 s19, 0
	s_mov_b64 s[0:1], 0
	s_branch .LBB142_2111
.LBB142_2110:
	s_mov_b32 s19, -1
	s_mov_b32 s18, 0
                                        ; implicit-def: $sgpr0_sgpr1
.LBB142_2111:
	s_and_not1_b32 vcc_lo, exec_lo, s19
	s_cbranch_vccnz .LBB142_2113
; %bb.2112:
	v_cmp_ne_u16_e64 s18, 0, v0
	s_mov_b64 s[0:1], 0
.LBB142_2113:
	s_delay_alu instid0(SALU_CYCLE_1) | instskip(NEXT) | instid1(VALU_DEP_2)
	v_dual_mov_b32 v0, s0 :: v_dual_mov_b32 v1, s1
	s_and_not1_b32 vcc_lo, exec_lo, s18
	s_cbranch_vccnz .LBB142_2115
; %bb.2114:
	v_dual_mov_b32 v0, v4 :: v_dual_mov_b32 v1, v5
.LBB142_2115:
	s_mov_b32 s0, 0
	global_store_b64 v[10:11], v[0:1], off
.LBB142_2116:
	s_and_b32 vcc_lo, exec_lo, s0
	s_cbranch_vccz .LBB142_2125
; %bb.2117:
	v_and_b32_e64 v0, 0xff, s7
	s_delay_alu instid0(VALU_DEP_1)
	v_cmp_gt_i16_e32 vcc_lo, 0x80, v0
	s_cbranch_vccnz .LBB142_2119
; %bb.2118:
	v_cmp_ne_u16_e64 s0, 0x80, v0
	s_mov_b32 s18, 0
	s_mov_b32 s1, 0
	s_branch .LBB142_2120
.LBB142_2119:
	s_mov_b32 s18, -1
	s_mov_b32 s0, 0
                                        ; implicit-def: $sgpr1
.LBB142_2120:
	s_and_not1_b32 vcc_lo, exec_lo, s18
	s_cbranch_vccnz .LBB142_2122
; %bb.2121:
	v_cmp_ne_u16_e64 s0, 0, v0
	s_mov_b32 s1, 0
.LBB142_2122:
	s_delay_alu instid0(SALU_CYCLE_1) | instskip(NEXT) | instid1(VALU_DEP_2)
	v_mov_b32_e32 v0, s1
	s_and_not1_b32 vcc_lo, exec_lo, s0
	s_cbranch_vccnz .LBB142_2124
; %bb.2123:
	v_mov_b32_e32 v0, v13
.LBB142_2124:
	global_store_b32 v[10:11], v0, off
.LBB142_2125:
	s_mov_b32 s0, 0
.LBB142_2126:
	s_delay_alu instid0(SALU_CYCLE_1)
	s_and_not1_b32 vcc_lo, exec_lo, s0
	s_cbranch_vccnz .LBB142_2135
; %bb.2127:
	v_and_b32_e64 v0, 0xff, s7
	s_delay_alu instid0(VALU_DEP_1)
	v_cmp_gt_i16_e32 vcc_lo, 0x80, v0
	s_cbranch_vccnz .LBB142_2129
; %bb.2128:
	v_cmp_ne_u16_e64 s0, 0x80, v0
	s_mov_b32 s18, 0
	s_mov_b32 s1, 0
	s_branch .LBB142_2130
.LBB142_2129:
	s_mov_b32 s18, -1
	s_mov_b32 s0, 0
                                        ; implicit-def: $sgpr1
.LBB142_2130:
	s_and_not1_b32 vcc_lo, exec_lo, s18
	s_cbranch_vccnz .LBB142_2132
; %bb.2131:
	v_cmp_ne_u16_e64 s0, 0, v0
	s_mov_b32 s1, 0
.LBB142_2132:
	s_delay_alu instid0(SALU_CYCLE_1) | instskip(NEXT) | instid1(VALU_DEP_2)
	v_mov_b32_e32 v0, s1
	s_and_not1_b32 vcc_lo, exec_lo, s0
	s_cbranch_vccnz .LBB142_2134
; %bb.2133:
	v_mov_b32_e32 v0, v13
.LBB142_2134:
	global_store_b16 v[10:11], v0, off
.LBB142_2135:
	s_mov_b32 s0, 0
.LBB142_2136:
	s_delay_alu instid0(SALU_CYCLE_1)
	s_and_not1_b32 vcc_lo, exec_lo, s0
	s_cbranch_vccnz .LBB142_2155
; %bb.2137:
	v_cmp_lt_i16_e32 vcc_lo, 0, v12
	s_mov_b32 s0, 0
	s_mov_b32 s1, -1
	s_cbranch_vccz .LBB142_2146
; %bb.2138:
	v_and_b32_e64 v0, 0xff, s7
	s_delay_alu instid0(VALU_DEP_1)
	v_cmp_gt_i16_e32 vcc_lo, 0x80, v0
	s_cbranch_vccnz .LBB142_2140
; %bb.2139:
	v_cmp_ne_u16_e64 s0, 0x80, v0
	s_mov_b32 s18, 0
	s_mov_b32 s1, 0
	s_branch .LBB142_2141
.LBB142_2140:
	s_mov_b32 s18, -1
                                        ; implicit-def: $sgpr1
.LBB142_2141:
	s_delay_alu instid0(SALU_CYCLE_1)
	s_and_not1_b32 vcc_lo, exec_lo, s18
	s_cbranch_vccnz .LBB142_2143
; %bb.2142:
	v_cmp_ne_u16_e64 s0, 0, v0
	s_mov_b32 s1, 0
.LBB142_2143:
	s_delay_alu instid0(SALU_CYCLE_1) | instskip(NEXT) | instid1(VALU_DEP_2)
	v_mov_b32_e32 v0, s1
	s_and_not1_b32 vcc_lo, exec_lo, s0
	s_cbranch_vccnz .LBB142_2145
; %bb.2144:
	v_mov_b32_e32 v0, v13
.LBB142_2145:
	s_mov_b32 s1, 0
	global_store_b8 v[10:11], v0, off
.LBB142_2146:
	s_and_b32 vcc_lo, exec_lo, s1
	s_cbranch_vccz .LBB142_2155
; %bb.2147:
	v_and_b32_e64 v0, 0xff, s7
	s_delay_alu instid0(VALU_DEP_1)
	v_cmp_gt_i16_e32 vcc_lo, 0x80, v0
	s_cbranch_vccnz .LBB142_2149
; %bb.2148:
	v_cmp_ne_u16_e64 s0, 0x80, v0
	s_mov_b32 s18, 0
	s_mov_b32 s1, 0
	s_branch .LBB142_2150
.LBB142_2149:
	s_mov_b32 s18, -1
	s_mov_b32 s0, 0
                                        ; implicit-def: $sgpr1
.LBB142_2150:
	s_and_not1_b32 vcc_lo, exec_lo, s18
	s_cbranch_vccnz .LBB142_2152
; %bb.2151:
	v_cmp_ne_u16_e64 s0, 0, v0
	s_mov_b32 s1, 0
.LBB142_2152:
	s_delay_alu instid0(SALU_CYCLE_1) | instskip(NEXT) | instid1(VALU_DEP_2)
	v_mov_b32_e32 v0, s1
	s_and_not1_b32 vcc_lo, exec_lo, s0
	s_cbranch_vccnz .LBB142_2154
; %bb.2153:
	v_mov_b32_e32 v0, v4
.LBB142_2154:
	global_store_b8 v[10:11], v0, off
.LBB142_2155:
	s_mov_b32 s0, -1
.LBB142_2156:
	s_delay_alu instid0(SALU_CYCLE_1)
	s_and_not1_b32 vcc_lo, exec_lo, s0
	s_cbranch_vccnz .LBB142_2158
; %bb.2157:
	v_add_nc_u32_e32 v17, 0x80, v17
	s_mov_b32 s0, -1
	s_branch .LBB142_2159
.LBB142_2158:
	s_mov_b32 s0, 0
                                        ; implicit-def: $vgpr17
.LBB142_2159:
	s_and_not1_b32 s1, s14, exec_lo
	s_and_b32 s17, s17, exec_lo
	s_or_not1_b32 s18, s0, exec_lo
	s_or_b32 s17, s1, s17
.LBB142_2160:
	s_or_b32 exec_lo, exec_lo, s16
	s_mov_b32 s0, 0
	s_mov_b32 s1, 0
                                        ; implicit-def: $vgpr10_vgpr11
	s_and_saveexec_b32 s16, s18
	s_cbranch_execz .LBB142_2471
; %bb.2161:
	v_cmp_gt_i32_e32 vcc_lo, s11, v17
	s_mov_b32 s18, s17
                                        ; implicit-def: $vgpr10_vgpr11
	s_and_saveexec_b32 s11, vcc_lo
	s_cbranch_execz .LBB142_2470
; %bb.2162:
	v_mul_lo_u32 v0, v17, s6
	v_cmp_gt_i16_e32 vcc_lo, 11, v12
	s_delay_alu instid0(VALU_DEP_2) | instskip(SKIP_1) | instid1(VALU_DEP_1)
	v_ashrrev_i32_e32 v1, 31, v0
	v_add_co_u32 v10, s0, s4, v0
	v_add_co_ci_u32_e64 v11, s0, s5, v1, s0
	s_cbranch_vccnz .LBB142_2171
; %bb.2163:
	v_cmp_lt_i16_e32 vcc_lo, 25, v12
	s_mov_b32 s1, -1
	s_mov_b32 s0, s17
	s_cbranch_vccz .LBB142_2382
; %bb.2164:
	v_cmp_lt_i16_e32 vcc_lo, 28, v12
	s_mov_b32 s0, s17
	s_cbranch_vccz .LBB142_2358
; %bb.2165:
	v_cmp_lt_i16_e32 vcc_lo, 43, v12
	;; [unrolled: 4-line block ×3, first 2 shown]
	s_mov_b32 s0, s17
	s_cbranch_vccz .LBB142_2331
; %bb.2167:
	v_cmp_eq_u16_e32 vcc_lo, 46, v12
	s_mov_b32 s0, -1
	s_cbranch_vccz .LBB142_2172
; %bb.2168:
	v_and_b32_e64 v0, 0xff, s7
	s_delay_alu instid0(VALU_DEP_1)
	v_cmp_gt_i16_e32 vcc_lo, 0x80, v0
	s_cbranch_vccnz .LBB142_2173
; %bb.2169:
	v_cmp_eq_u16_e32 vcc_lo, 0x80, v0
	s_cbranch_vccz .LBB142_2324
; %bb.2170:
	s_mov_b32 s1, 0
	s_mov_b32 s0, 0x7f800001
	s_branch .LBB142_2325
.LBB142_2171:
	s_mov_b32 s10, 0
	s_mov_b32 s1, -1
	s_mov_b32 s0, s17
	s_branch .LBB142_2469
.LBB142_2172:
	s_mov_b32 s1, 0
	s_branch .LBB142_2331
.LBB142_2173:
	s_mov_b32 s18, -1
	s_mov_b32 s1, 0
                                        ; implicit-def: $sgpr0
	s_branch .LBB142_2326
.LBB142_2174:
                                        ; implicit-def: $sgpr0
.LBB142_2175:
	s_mov_b32 s5, 0
.LBB142_2176:
	s_delay_alu instid0(SALU_CYCLE_1)
	s_and_b32 vcc_lo, exec_lo, s5
	s_cbranch_vccz .LBB142_2178
; %bb.2177:
	v_cmp_ne_u16_e64 s1, 0, v0
	s_mov_b32 s0, 0
.LBB142_2178:
	s_delay_alu instid0(VALU_DEP_1)
	s_and_not1_b32 vcc_lo, exec_lo, s1
	s_cbranch_vccnz .LBB142_2180
; %bb.2179:
	v_lshrrev_b16 v0, 3, s7
	s_and_b32 s0, s7, 7
	s_lshl_b32 s9, s7, 24
	s_clz_i32_u32 s1, s0
	s_delay_alu instid0(SALU_CYCLE_1) | instskip(SKIP_4) | instid1(VALU_DEP_1)
	s_min_u32 s1, s1, 32
	v_readfirstlane_b32 s5, v0
	s_sub_i32 s6, s1, 28
	s_sub_i32 s1, 29, s1
	s_lshl_b32 s6, s7, s6
	s_and_b32 s5, s5, 15
	s_and_b32 s6, s6, 7
	s_cmp_eq_u32 s5, 0
	s_cselect_b32 s1, s1, s5
	s_cselect_b32 s0, s6, s0
	s_lshl_b32 s1, s1, 23
	s_and_b32 s5, s9, 0x80000000
	s_add_i32 s1, s1, 0x3b800000
	s_lshl_b32 s0, s0, 20
	s_or_b32 s1, s5, s1
	s_delay_alu instid0(SALU_CYCLE_1)
	s_or_b32 s0, s1, s0
.LBB142_2180:
	s_delay_alu instid0(SALU_CYCLE_1) | instskip(NEXT) | instid1(SALU_CYCLE_1)
	s_bfe_u32 s1, s0, 0x10010
	s_add_i32 s1, s0, s1
	v_cmp_o_f32_e64 s0, s0, s0
	s_addk_i32 s1, 0x7fff
	s_delay_alu instid0(SALU_CYCLE_1) | instskip(NEXT) | instid1(VALU_DEP_1)
	s_lshr_b32 s1, s1, 16
	s_and_b32 s0, s0, exec_lo
	s_cselect_b32 s0, s1, 0x7fc0
	s_delay_alu instid0(SALU_CYCLE_1)
	v_mov_b32_e32 v0, s0
	s_mov_b32 s0, 0
	global_store_b32 v[4:5], v0, off
.LBB142_2181:
	s_mov_b32 s1, 0
.LBB142_2182:
	s_delay_alu instid0(SALU_CYCLE_1)
	s_and_b32 vcc_lo, exec_lo, s1
	s_cbranch_vccz .LBB142_2195
; %bb.2183:
	v_cmp_eq_u16_e32 vcc_lo, 44, v12
	s_mov_b32 s0, -1
	s_cbranch_vccz .LBB142_2195
; %bb.2184:
	v_and_b32_e64 v0, 0xff, s7
	s_delay_alu instid0(VALU_DEP_1)
	v_cmp_gt_i16_e32 vcc_lo, 0x80, v0
	v_readfirstlane_b32 s1, v0
	s_cbranch_vccnz .LBB142_2187
; %bb.2185:
	s_delay_alu instid0(VALU_DEP_1) | instskip(NEXT) | instid1(VALU_DEP_1)
	v_cmp_eq_u16_e64 s0, 0x80, s1
	s_and_b32 vcc_lo, exec_lo, s0
	s_cbranch_vccz .LBB142_2188
; %bb.2186:
	s_mov_b32 s5, 0
	s_mov_b32 s0, 0x7f800001
	s_branch .LBB142_2189
.LBB142_2187:
	s_mov_b32 s6, -1
	s_mov_b32 s5, 0
                                        ; implicit-def: $sgpr0
	s_branch .LBB142_2190
.LBB142_2188:
	s_mov_b32 s5, -1
                                        ; implicit-def: $sgpr0
.LBB142_2189:
	s_mov_b32 s6, 0
.LBB142_2190:
	s_delay_alu instid0(SALU_CYCLE_1)
	s_and_b32 vcc_lo, exec_lo, s6
	s_cbranch_vccz .LBB142_2200
; %bb.2191:
	v_cmp_ne_u16_e64 s5, s1, 0
	s_and_b32 s0, 0xffff, s1
	s_delay_alu instid0(VALU_DEP_1)
	s_and_not1_b32 vcc_lo, exec_lo, s5
	s_cbranch_vccz .LBB142_2201
.LBB142_2192:
	v_mov_b32_e32 v0, 0xff
	s_bfe_u32 s1, s0, 0x80017
	s_delay_alu instid0(SALU_CYCLE_1)
	s_cmpk_eq_i32 s1, 0xff
	s_cbranch_scc1 .LBB142_2194
.LBB142_2193:
	s_lshr_b32 s5, s0, 23
	s_bitcmp1_b32 s0, 22
	s_cselect_b32 s6, -1, 0
	s_and_b32 s0, s0, 0x3fffff
	s_delay_alu instid0(SALU_CYCLE_1) | instskip(NEXT) | instid1(SALU_CYCLE_1)
	s_or_b32 s0, s1, s0
	s_cmp_lg_u32 s0, 0
	s_cselect_b32 s0, -1, 0
	s_delay_alu instid0(SALU_CYCLE_1) | instskip(NEXT) | instid1(SALU_CYCLE_1)
	s_and_b32 s0, s6, s0
	v_cndmask_b32_e64 v0, 0, 1, s0
	s_delay_alu instid0(VALU_DEP_1)
	v_add_nc_u32_e32 v0, s5, v0
.LBB142_2194:
	s_mov_b32 s0, 0
	global_store_b8 v[4:5], v0, off
.LBB142_2195:
	s_mov_b32 s1, 0
.LBB142_2196:
	s_delay_alu instid0(SALU_CYCLE_1)
	s_and_b32 vcc_lo, exec_lo, s1
	s_cbranch_vccz .LBB142_2208
; %bb.2197:
	v_cmp_eq_u16_e32 vcc_lo, 29, v12
	s_mov_b32 s0, -1
	s_cbranch_vccz .LBB142_2208
; %bb.2198:
	v_and_b32_e64 v0, 0xff, s7
	s_delay_alu instid0(VALU_DEP_1)
	v_cmp_gt_i16_e32 vcc_lo, 0x80, v0
	s_cbranch_vccnz .LBB142_2202
; %bb.2199:
	v_cmp_ne_u16_e64 s5, 0x80, v0
	s_mov_b32 s6, 0
	s_mov_b64 s[0:1], 0
	s_branch .LBB142_2203
.LBB142_2200:
	s_and_not1_b32 vcc_lo, exec_lo, s5
	s_cbranch_vccnz .LBB142_2192
.LBB142_2201:
	v_lshrrev_b16 v0, 3, s7
	s_and_b32 s0, s7, 7
	s_delay_alu instid0(SALU_CYCLE_1) | instskip(NEXT) | instid1(SALU_CYCLE_1)
	s_clz_i32_u32 s1, s0
	s_min_u32 s1, s1, 32
	s_delay_alu instid0(VALU_DEP_1) | instskip(SKIP_3) | instid1(VALU_DEP_1)
	v_readfirstlane_b32 s5, v0
	s_sub_i32 s6, s1, 28
	s_sub_i32 s1, 29, s1
	s_lshl_b32 s6, s7, s6
	s_and_b32 s5, s5, 15
	s_and_b32 s6, s6, 7
	s_cmp_eq_u32 s5, 0
	s_cselect_b32 s0, s6, s0
	s_cselect_b32 s1, s1, s5
	s_lshl_b32 s0, s0, 20
	s_lshl_b32 s1, s1, 23
	s_delay_alu instid0(SALU_CYCLE_1) | instskip(NEXT) | instid1(SALU_CYCLE_1)
	s_or_b32 s0, s1, s0
	s_add_i32 s0, s0, 0x3b800000
	v_mov_b32_e32 v0, 0xff
	s_bfe_u32 s1, s0, 0x80017
	s_delay_alu instid0(SALU_CYCLE_1)
	s_cmpk_eq_i32 s1, 0xff
	s_cbranch_scc0 .LBB142_2193
	s_branch .LBB142_2194
.LBB142_2202:
	s_mov_b32 s6, -1
	s_mov_b32 s5, 0
                                        ; implicit-def: $sgpr0_sgpr1
.LBB142_2203:
	s_and_not1_b32 vcc_lo, exec_lo, s6
	s_cbranch_vccnz .LBB142_2205
; %bb.2204:
	v_cmp_ne_u16_e64 s5, 0, v0
	s_mov_b64 s[0:1], 0
.LBB142_2205:
	s_delay_alu instid0(SALU_CYCLE_1) | instskip(NEXT) | instid1(VALU_DEP_2)
	v_dual_mov_b32 v0, s0 :: v_dual_mov_b32 v1, s1
	s_and_not1_b32 vcc_lo, exec_lo, s5
	s_cbranch_vccnz .LBB142_2207
; %bb.2206:
	v_lshrrev_b16 v0, 3, s7
	s_and_b32 s0, s7, 7
	s_lshl_b32 s6, s7, 24
	s_clz_i32_u32 s1, s0
	s_delay_alu instid0(SALU_CYCLE_1) | instskip(SKIP_4) | instid1(VALU_DEP_1)
	s_min_u32 s1, s1, 32
	v_readfirstlane_b32 s5, v0
	s_sub_i32 s9, s1, 28
	s_sub_i32 s1, 29, s1
	s_lshl_b32 s9, s7, s9
	s_and_b32 s5, s5, 15
	s_and_b32 s9, s9, 7
	s_cmp_eq_u32 s5, 0
	s_cselect_b32 s1, s1, s5
	s_cselect_b32 s0, s9, s0
	s_lshl_b32 s1, s1, 23
	s_and_b32 s5, s6, 0x80000000
	s_add_i32 s1, s1, 0x3b800000
	s_lshl_b32 s0, s0, 20
	s_or_b32 s1, s5, s1
	s_delay_alu instid0(SALU_CYCLE_1) | instskip(NEXT) | instid1(SALU_CYCLE_1)
	s_or_b32 s0, s1, s0
	v_trunc_f32_e32 v0, s0
	s_delay_alu instid0(VALU_DEP_1) | instskip(NEXT) | instid1(VALU_DEP_1)
	v_mul_f32_e32 v1, 0x2f800000, v0
	v_floor_f32_e32 v1, v1
	s_delay_alu instid0(VALU_DEP_1) | instskip(SKIP_1) | instid1(VALU_DEP_2)
	v_fmamk_f32 v0, v1, 0xcf800000, v0
	v_cvt_u32_f32_e32 v1, v1
	v_cvt_u32_f32_e32 v0, v0
.LBB142_2207:
	s_mov_b32 s0, 0
	global_store_b64 v[4:5], v[0:1], off
.LBB142_2208:
	s_mov_b32 s1, 0
.LBB142_2209:
	s_delay_alu instid0(SALU_CYCLE_1)
	s_and_b32 vcc_lo, exec_lo, s1
	s_cbranch_vccz .LBB142_2232
; %bb.2210:
	v_cmp_gt_i16_e32 vcc_lo, 27, v12
	s_mov_b32 s1, -1
	s_cbranch_vccnz .LBB142_2230
; %bb.2211:
	v_cmp_lt_i16_e32 vcc_lo, 27, v12
	s_cbranch_vccz .LBB142_2220
; %bb.2212:
	v_and_b32_e64 v0, 0xff, s7
	s_delay_alu instid0(VALU_DEP_1)
	v_cmp_gt_i16_e32 vcc_lo, 0x80, v0
	s_cbranch_vccnz .LBB142_2214
; %bb.2213:
	v_cmp_ne_u16_e64 s1, 0x80, v0
	s_mov_b32 s6, 0
	s_mov_b32 s5, 0
	s_branch .LBB142_2215
.LBB142_2214:
	s_mov_b32 s6, -1
	s_mov_b32 s1, 0
                                        ; implicit-def: $sgpr5
.LBB142_2215:
	s_and_not1_b32 vcc_lo, exec_lo, s6
	s_cbranch_vccnz .LBB142_2217
; %bb.2216:
	v_cmp_ne_u16_e64 s1, 0, v0
	s_mov_b32 s5, 0
.LBB142_2217:
	s_delay_alu instid0(SALU_CYCLE_1) | instskip(NEXT) | instid1(VALU_DEP_2)
	v_mov_b32_e32 v0, s5
	s_and_not1_b32 vcc_lo, exec_lo, s1
	s_cbranch_vccnz .LBB142_2219
; %bb.2218:
	v_lshrrev_b16 v0, 3, s7
	s_and_b32 s1, s7, 7
	s_lshl_b32 s10, s7, 24
	s_clz_i32_u32 s5, s1
	s_delay_alu instid0(SALU_CYCLE_1) | instskip(SKIP_4) | instid1(VALU_DEP_1)
	s_min_u32 s5, s5, 32
	v_readfirstlane_b32 s6, v0
	s_sub_i32 s9, s5, 28
	s_sub_i32 s5, 29, s5
	s_lshl_b32 s9, s7, s9
	s_and_b32 s6, s6, 15
	s_and_b32 s9, s9, 7
	s_cmp_eq_u32 s6, 0
	s_cselect_b32 s5, s5, s6
	s_cselect_b32 s1, s9, s1
	s_lshl_b32 s5, s5, 23
	s_and_b32 s6, s10, 0x80000000
	s_add_i32 s5, s5, 0x3b800000
	s_lshl_b32 s1, s1, 20
	s_or_b32 s5, s6, s5
	s_delay_alu instid0(SALU_CYCLE_1) | instskip(NEXT) | instid1(SALU_CYCLE_1)
	s_or_b32 s1, s5, s1
	v_cvt_u32_f32_e32 v0, s1
.LBB142_2219:
	s_mov_b32 s1, 0
	global_store_b32 v[4:5], v0, off
.LBB142_2220:
	s_and_b32 vcc_lo, exec_lo, s1
	s_cbranch_vccz .LBB142_2229
; %bb.2221:
	v_and_b32_e64 v0, 0xff, s7
	s_delay_alu instid0(VALU_DEP_1)
	v_cmp_gt_i16_e32 vcc_lo, 0x80, v0
	s_cbranch_vccnz .LBB142_2223
; %bb.2222:
	v_cmp_ne_u16_e64 s1, 0x80, v0
	s_mov_b32 s6, 0
	s_mov_b32 s5, 0
	s_branch .LBB142_2224
.LBB142_2223:
	s_mov_b32 s6, -1
	s_mov_b32 s1, 0
                                        ; implicit-def: $sgpr5
.LBB142_2224:
	s_and_not1_b32 vcc_lo, exec_lo, s6
	s_cbranch_vccnz .LBB142_2226
; %bb.2225:
	v_cmp_ne_u16_e64 s1, 0, v0
	s_mov_b32 s5, 0
.LBB142_2226:
	s_delay_alu instid0(SALU_CYCLE_1) | instskip(NEXT) | instid1(VALU_DEP_2)
	v_mov_b32_e32 v0, s5
	s_and_not1_b32 vcc_lo, exec_lo, s1
	s_cbranch_vccnz .LBB142_2228
; %bb.2227:
	v_lshrrev_b16 v0, 3, s7
	s_and_b32 s1, s7, 7
	s_lshl_b32 s10, s7, 24
	s_clz_i32_u32 s5, s1
	s_delay_alu instid0(SALU_CYCLE_1) | instskip(SKIP_4) | instid1(VALU_DEP_1)
	s_min_u32 s5, s5, 32
	v_readfirstlane_b32 s6, v0
	s_sub_i32 s9, s5, 28
	s_sub_i32 s5, 29, s5
	s_lshl_b32 s9, s7, s9
	s_and_b32 s6, s6, 15
	s_and_b32 s9, s9, 7
	s_cmp_eq_u32 s6, 0
	s_cselect_b32 s5, s5, s6
	s_cselect_b32 s1, s9, s1
	s_lshl_b32 s5, s5, 23
	s_and_b32 s6, s10, 0x80000000
	s_add_i32 s5, s5, 0x3b800000
	s_lshl_b32 s1, s1, 20
	s_or_b32 s5, s6, s5
	s_delay_alu instid0(SALU_CYCLE_1) | instskip(NEXT) | instid1(SALU_CYCLE_1)
	s_or_b32 s1, s5, s1
	v_cvt_u32_f32_e32 v0, s1
.LBB142_2228:
	global_store_b16 v[4:5], v0, off
.LBB142_2229:
	s_mov_b32 s1, 0
.LBB142_2230:
	s_delay_alu instid0(SALU_CYCLE_1)
	s_and_not1_b32 vcc_lo, exec_lo, s1
	s_cbranch_vccnz .LBB142_2232
; %bb.2231:
	v_mov_b32_e32 v0, s7
	global_store_b8 v[4:5], v0, off
.LBB142_2232:
	s_mov_b32 s1, 0
.LBB142_2233:
	s_delay_alu instid0(SALU_CYCLE_1)
	s_and_b32 vcc_lo, exec_lo, s1
	s_cbranch_vccz .LBB142_2318
; %bb.2234:
	v_cmp_lt_i16_e32 vcc_lo, 22, v12
	s_mov_b32 s1, -1
	s_cbranch_vccz .LBB142_2302
; %bb.2235:
	v_cmp_gt_i16_e32 vcc_lo, 24, v12
	s_cbranch_vccnz .LBB142_2279
; %bb.2236:
	v_cmp_lt_i16_e32 vcc_lo, 24, v12
	s_cbranch_vccz .LBB142_2256
; %bb.2237:
	v_and_b32_e64 v0, 0xff, s7
	s_delay_alu instid0(VALU_DEP_1)
	v_cmp_gt_i16_e32 vcc_lo, 0x80, v0
	s_cbranch_vccnz .LBB142_2240
; %bb.2238:
	v_cmp_eq_u16_e32 vcc_lo, 0x80, v0
	s_cbranch_vccz .LBB142_2241
; %bb.2239:
	s_mov_b32 s1, 0x7f800001
	s_branch .LBB142_2242
.LBB142_2240:
	s_mov_b32 s5, -1
                                        ; implicit-def: $sgpr1
	s_branch .LBB142_2243
.LBB142_2241:
	s_mov_b32 s4, -1
                                        ; implicit-def: $sgpr1
.LBB142_2242:
	s_mov_b32 s5, 0
.LBB142_2243:
	s_delay_alu instid0(SALU_CYCLE_1)
	s_and_b32 vcc_lo, exec_lo, s5
	s_cbranch_vccz .LBB142_2246
; %bb.2244:
	v_cmp_ne_u16_e64 s4, 0, v0
	s_mov_b32 s1, 0
	s_delay_alu instid0(VALU_DEP_1)
	s_and_not1_b32 vcc_lo, exec_lo, s4
	s_cbranch_vccz .LBB142_2247
.LBB142_2245:
	v_mov_b32_e32 v1, 0x80
	s_and_b32 s4, s1, 0x7fffffff
	s_delay_alu instid0(SALU_CYCLE_1)
	s_cmp_gt_u32 s4, 0x477fffff
	s_cbranch_scc0 .LBB142_2248
	s_branch .LBB142_2255
.LBB142_2246:
	s_and_not1_b32 vcc_lo, exec_lo, s4
	s_cbranch_vccnz .LBB142_2245
.LBB142_2247:
	v_lshrrev_b16 v0, 3, s7
	s_and_b32 s1, s7, 7
	s_lshl_b32 s9, s7, 24
	s_clz_i32_u32 s4, s1
	s_delay_alu instid0(SALU_CYCLE_1) | instskip(SKIP_4) | instid1(VALU_DEP_1)
	s_min_u32 s4, s4, 32
	v_readfirstlane_b32 s5, v0
	s_sub_i32 s6, s4, 28
	s_sub_i32 s4, 29, s4
	s_lshl_b32 s6, s7, s6
	s_and_b32 s5, s5, 15
	s_and_b32 s6, s6, 7
	s_cmp_eq_u32 s5, 0
	s_cselect_b32 s4, s4, s5
	s_cselect_b32 s1, s6, s1
	s_lshl_b32 s4, s4, 23
	s_and_b32 s5, s9, 0x80000000
	s_add_i32 s4, s4, 0x3b800000
	s_lshl_b32 s1, s1, 20
	s_or_b32 s4, s5, s4
	s_delay_alu instid0(SALU_CYCLE_1) | instskip(SKIP_2) | instid1(SALU_CYCLE_1)
	s_or_b32 s1, s4, s1
	v_mov_b32_e32 v1, 0x80
	s_and_b32 s4, s1, 0x7fffffff
	s_cmp_gt_u32 s4, 0x477fffff
	s_cbranch_scc1 .LBB142_2255
.LBB142_2248:
	s_cmp_gt_u32 s4, 0x37ffffff
	s_cbranch_scc0 .LBB142_2250
; %bb.2249:
	s_bfe_u32 s4, s1, 0x10015
	s_mov_b32 s5, 0
	s_add_i32 s4, s1, s4
	s_delay_alu instid0(SALU_CYCLE_1) | instskip(NEXT) | instid1(SALU_CYCLE_1)
	s_add_i32 s4, s4, 0x88fffff
	s_lshr_b32 s6, s4, 21
	s_mov_b32 s4, -1
	s_branch .LBB142_2251
.LBB142_2250:
	s_mov_b32 s5, -1
	s_mov_b32 s4, 0
                                        ; implicit-def: $sgpr6
.LBB142_2251:
	v_mov_b32_e32 v0, s6
	s_and_not1_b32 vcc_lo, exec_lo, s5
                                        ; implicit-def: $sgpr5
	s_cbranch_vccnz .LBB142_2253
; %bb.2252:
	v_add_f32_e64 v0, 0x42800000, |s1|
	s_mov_b32 s5, 0
	s_delay_alu instid0(VALU_DEP_1) | instskip(NEXT) | instid1(VALU_DEP_1)
	v_and_b32_e32 v0, 0xff, v0
	v_cmp_ne_u32_e64 s4, 0, v0
.LBB142_2253:
	v_mov_b32_e32 v1, s5
	s_delay_alu instid0(VALU_DEP_2)
	s_and_not1_b32 vcc_lo, exec_lo, s4
	s_cbranch_vccnz .LBB142_2255
; %bb.2254:
	s_lshr_b32 s1, s1, 24
	s_delay_alu instid0(SALU_CYCLE_1) | instskip(NEXT) | instid1(SALU_CYCLE_1)
	s_and_b32 s1, s1, 0x80
	v_or_b32_e32 v1, s1, v0
.LBB142_2255:
	s_mov_b32 s1, 0
	global_store_b8 v[4:5], v1, off
.LBB142_2256:
	s_and_b32 vcc_lo, exec_lo, s1
	s_cbranch_vccz .LBB142_2278
; %bb.2257:
	v_and_b32_e64 v0, 0xff, s7
	s_delay_alu instid0(VALU_DEP_1)
	v_cmp_gt_i16_e32 vcc_lo, 0x80, v0
	s_cbranch_vccnz .LBB142_2260
; %bb.2258:
	v_cmp_eq_u16_e32 vcc_lo, 0x80, v0
	s_cbranch_vccz .LBB142_2261
; %bb.2259:
	s_mov_b32 s4, 0
	s_mov_b32 s1, 0x7f800001
	s_branch .LBB142_2262
.LBB142_2260:
	s_mov_b32 s5, -1
	s_mov_b32 s4, 0
                                        ; implicit-def: $sgpr1
	s_branch .LBB142_2263
.LBB142_2261:
	s_mov_b32 s4, -1
                                        ; implicit-def: $sgpr1
.LBB142_2262:
	s_mov_b32 s5, 0
.LBB142_2263:
	s_delay_alu instid0(SALU_CYCLE_1)
	s_and_b32 vcc_lo, exec_lo, s5
	s_cbranch_vccz .LBB142_2268
; %bb.2264:
	v_cmp_ne_u16_e64 s4, 0, v0
	s_mov_b32 s1, 0
	s_delay_alu instid0(VALU_DEP_1)
	s_and_not1_b32 vcc_lo, exec_lo, s4
	s_cbranch_vccz .LBB142_2269
.LBB142_2265:
	s_and_b32 s4, s1, 0x7fffffff
	s_delay_alu instid0(SALU_CYCLE_1)
	s_cmp_lt_u32 s4, 0x43f00000
	s_cbranch_scc0 .LBB142_2270
.LBB142_2266:
	s_cmp_gt_u32 s4, 0x3c7fffff
	s_cbranch_scc0 .LBB142_2271
; %bb.2267:
	s_bfe_u32 s5, s1, 0x10014
	s_delay_alu instid0(SALU_CYCLE_1) | instskip(NEXT) | instid1(SALU_CYCLE_1)
	s_add_i32 s5, s1, s5
	s_add_i32 s5, s5, 0x407ffff
	s_delay_alu instid0(SALU_CYCLE_1)
	s_and_b32 s6, s5, 0xff00000
	s_lshr_b32 s5, s5, 20
	s_cmp_lg_u32 s6, 0x7f00000
	s_cselect_b32 s6, s5, 0x7e
	s_mov_b32 s5, 0
	s_branch .LBB142_2272
.LBB142_2268:
	s_and_not1_b32 vcc_lo, exec_lo, s4
	s_cbranch_vccnz .LBB142_2265
.LBB142_2269:
	v_lshrrev_b16 v0, 3, s7
	s_and_b32 s1, s7, 7
	s_lshl_b32 s9, s7, 24
	s_clz_i32_u32 s4, s1
	s_delay_alu instid0(SALU_CYCLE_1) | instskip(SKIP_4) | instid1(VALU_DEP_1)
	s_min_u32 s4, s4, 32
	v_readfirstlane_b32 s5, v0
	s_sub_i32 s6, s4, 28
	s_sub_i32 s4, 29, s4
	s_lshl_b32 s6, s7, s6
	s_and_b32 s5, s5, 15
	s_and_b32 s6, s6, 7
	s_cmp_eq_u32 s5, 0
	s_cselect_b32 s4, s4, s5
	s_cselect_b32 s1, s6, s1
	s_lshl_b32 s4, s4, 23
	s_and_b32 s5, s9, 0x80000000
	s_add_i32 s4, s4, 0x3b800000
	s_lshl_b32 s1, s1, 20
	s_or_b32 s4, s5, s4
	s_delay_alu instid0(SALU_CYCLE_1) | instskip(NEXT) | instid1(SALU_CYCLE_1)
	s_or_b32 s1, s4, s1
	s_and_b32 s4, s1, 0x7fffffff
	s_delay_alu instid0(SALU_CYCLE_1)
	s_cmp_lt_u32 s4, 0x43f00000
	s_cbranch_scc1 .LBB142_2266
.LBB142_2270:
	s_mov_b32 s5, -1
                                        ; implicit-def: $vgpr0
	s_branch .LBB142_2275
.LBB142_2271:
	s_mov_b32 s5, -1
                                        ; implicit-def: $sgpr6
.LBB142_2272:
	v_mov_b32_e32 v0, s6
	s_and_not1_b32 vcc_lo, exec_lo, s5
	s_cbranch_vccnz .LBB142_2274
; %bb.2273:
	v_add_f32_e64 v0, 0x46800000, |s1|
.LBB142_2274:
	s_mov_b32 s5, 0
.LBB142_2275:
	s_delay_alu instid0(SALU_CYCLE_1)
	s_and_not1_b32 vcc_lo, exec_lo, s5
	s_cbranch_vccnz .LBB142_2277
; %bb.2276:
	s_cmp_gt_u32 s4, 0x7f800000
	s_movk_i32 s4, 0x7f
	s_delay_alu instid0(SALU_CYCLE_1) | instskip(NEXT) | instid1(SALU_CYCLE_1)
	s_cselect_b32 s4, s4, 0x7e
	v_mov_b32_e32 v0, s4
.LBB142_2277:
	s_lshr_b32 s1, s1, 24
	s_delay_alu instid0(SALU_CYCLE_1)
	s_and_b32 s1, s1, 0x80
	s_delay_alu instid0(VALU_DEP_1) | instid1(SALU_CYCLE_1)
	v_or_b32_e32 v0, s1, v0
	global_store_b8 v[4:5], v0, off
.LBB142_2278:
	s_mov_b32 s1, 0
.LBB142_2279:
	s_delay_alu instid0(SALU_CYCLE_1)
	s_and_not1_b32 vcc_lo, exec_lo, s1
	s_cbranch_vccnz .LBB142_2301
; %bb.2280:
	v_and_b32_e64 v0, 0xff, s7
	s_delay_alu instid0(VALU_DEP_1)
	v_cmp_gt_i16_e32 vcc_lo, 0x80, v0
	s_cbranch_vccnz .LBB142_2283
; %bb.2281:
	v_cmp_eq_u16_e32 vcc_lo, 0x80, v0
	s_cbranch_vccz .LBB142_2284
; %bb.2282:
	s_mov_b32 s4, 0
	s_mov_b32 s1, 0x7f800001
	s_branch .LBB142_2285
.LBB142_2283:
	s_mov_b32 s5, -1
	s_mov_b32 s4, 0
                                        ; implicit-def: $sgpr1
	s_branch .LBB142_2286
.LBB142_2284:
	s_mov_b32 s4, -1
                                        ; implicit-def: $sgpr1
.LBB142_2285:
	s_mov_b32 s5, 0
.LBB142_2286:
	s_delay_alu instid0(SALU_CYCLE_1)
	s_and_b32 vcc_lo, exec_lo, s5
	s_cbranch_vccz .LBB142_2291
; %bb.2287:
	v_cmp_ne_u16_e64 s4, 0, v0
	s_mov_b32 s1, 0
	s_delay_alu instid0(VALU_DEP_1)
	s_and_not1_b32 vcc_lo, exec_lo, s4
	s_cbranch_vccz .LBB142_2292
.LBB142_2288:
	s_and_b32 s4, s1, 0x7fffffff
	s_delay_alu instid0(SALU_CYCLE_1)
	s_cmp_lt_u32 s4, 0x47800000
	s_cbranch_scc0 .LBB142_2293
.LBB142_2289:
	s_cmp_gt_u32 s4, 0x387fffff
	s_cbranch_scc0 .LBB142_2294
; %bb.2290:
	s_bfe_u32 s5, s1, 0x10015
	s_delay_alu instid0(SALU_CYCLE_1) | instskip(NEXT) | instid1(SALU_CYCLE_1)
	s_add_i32 s5, s1, s5
	s_add_i32 s5, s5, 0x80fffff
	s_delay_alu instid0(SALU_CYCLE_1)
	s_lshr_b32 s6, s5, 21
	s_mov_b32 s5, 0
	s_branch .LBB142_2295
.LBB142_2291:
	s_and_not1_b32 vcc_lo, exec_lo, s4
	s_cbranch_vccnz .LBB142_2288
.LBB142_2292:
	v_lshrrev_b16 v0, 3, s7
	s_and_b32 s1, s7, 7
	s_lshl_b32 s9, s7, 24
	s_clz_i32_u32 s4, s1
	s_delay_alu instid0(SALU_CYCLE_1) | instskip(SKIP_4) | instid1(VALU_DEP_1)
	s_min_u32 s4, s4, 32
	v_readfirstlane_b32 s5, v0
	s_sub_i32 s6, s4, 28
	s_sub_i32 s4, 29, s4
	s_lshl_b32 s6, s7, s6
	s_and_b32 s5, s5, 15
	s_and_b32 s6, s6, 7
	s_cmp_eq_u32 s5, 0
	s_cselect_b32 s4, s4, s5
	s_cselect_b32 s1, s6, s1
	s_lshl_b32 s4, s4, 23
	s_and_b32 s5, s9, 0x80000000
	s_add_i32 s4, s4, 0x3b800000
	s_lshl_b32 s1, s1, 20
	s_or_b32 s4, s5, s4
	s_delay_alu instid0(SALU_CYCLE_1) | instskip(NEXT) | instid1(SALU_CYCLE_1)
	s_or_b32 s1, s4, s1
	s_and_b32 s4, s1, 0x7fffffff
	s_delay_alu instid0(SALU_CYCLE_1)
	s_cmp_lt_u32 s4, 0x47800000
	s_cbranch_scc1 .LBB142_2289
.LBB142_2293:
	s_mov_b32 s5, -1
                                        ; implicit-def: $vgpr0
	s_branch .LBB142_2298
.LBB142_2294:
	s_mov_b32 s5, -1
                                        ; implicit-def: $sgpr6
.LBB142_2295:
	v_mov_b32_e32 v0, s6
	s_and_not1_b32 vcc_lo, exec_lo, s5
	s_cbranch_vccnz .LBB142_2297
; %bb.2296:
	v_add_f32_e64 v0, 0x43000000, |s1|
.LBB142_2297:
	s_mov_b32 s5, 0
.LBB142_2298:
	s_delay_alu instid0(SALU_CYCLE_1)
	s_and_not1_b32 vcc_lo, exec_lo, s5
	s_cbranch_vccnz .LBB142_2300
; %bb.2299:
	s_cmp_gt_u32 s4, 0x7f800000
	s_movk_i32 s4, 0x7f
	s_delay_alu instid0(SALU_CYCLE_1) | instskip(NEXT) | instid1(SALU_CYCLE_1)
	s_cselect_b32 s4, s4, 0x7c
	v_mov_b32_e32 v0, s4
.LBB142_2300:
	s_lshr_b32 s1, s1, 24
	s_delay_alu instid0(SALU_CYCLE_1)
	s_and_b32 s1, s1, 0x80
	s_delay_alu instid0(VALU_DEP_1) | instid1(SALU_CYCLE_1)
	v_or_b32_e32 v0, s1, v0
	global_store_b8 v[4:5], v0, off
.LBB142_2301:
	s_mov_b32 s1, 0
.LBB142_2302:
	s_delay_alu instid0(SALU_CYCLE_1)
	s_and_not1_b32 vcc_lo, exec_lo, s1
	s_mov_b32 s4, 0
	s_cbranch_vccnz .LBB142_2318
; %bb.2303:
	v_cmp_lt_i16_e32 vcc_lo, 14, v12
	s_mov_b32 s1, -1
	s_cbranch_vccz .LBB142_2316
; %bb.2304:
	v_cmp_eq_u16_e32 vcc_lo, 15, v12
	s_mov_b32 s0, -1
	s_cbranch_vccz .LBB142_2315
; %bb.2305:
	v_and_b32_e64 v0, 0xff, s7
	s_delay_alu instid0(VALU_DEP_1)
	v_cmp_gt_i16_e32 vcc_lo, 0x80, v0
	s_cbranch_vccnz .LBB142_2308
; %bb.2306:
	v_cmp_eq_u16_e32 vcc_lo, 0x80, v0
	s_cbranch_vccz .LBB142_2309
; %bb.2307:
	s_mov_b32 s1, 0
	s_mov_b32 s0, 0x7f800001
	s_branch .LBB142_2310
.LBB142_2308:
	s_mov_b32 s4, -1
	s_mov_b32 s1, 0
.LBB142_2309:
                                        ; implicit-def: $sgpr0
.LBB142_2310:
	s_and_b32 vcc_lo, exec_lo, s4
	s_cbranch_vccz .LBB142_2312
; %bb.2311:
	v_cmp_ne_u16_e64 s1, 0, v0
	s_mov_b32 s0, 0
.LBB142_2312:
	s_delay_alu instid0(VALU_DEP_1)
	s_and_not1_b32 vcc_lo, exec_lo, s1
	s_cbranch_vccnz .LBB142_2314
; %bb.2313:
	v_lshrrev_b16 v0, 3, s7
	s_and_b32 s0, s7, 7
	s_lshl_b32 s6, s7, 24
	s_clz_i32_u32 s1, s0
	s_delay_alu instid0(SALU_CYCLE_1) | instskip(SKIP_4) | instid1(VALU_DEP_1)
	s_min_u32 s1, s1, 32
	v_readfirstlane_b32 s4, v0
	s_sub_i32 s5, s1, 28
	s_sub_i32 s1, 29, s1
	s_lshl_b32 s5, s7, s5
	s_and_b32 s4, s4, 15
	s_and_b32 s5, s5, 7
	s_cmp_eq_u32 s4, 0
	s_cselect_b32 s1, s1, s4
	s_cselect_b32 s0, s5, s0
	s_lshl_b32 s1, s1, 23
	s_and_b32 s4, s6, 0x80000000
	s_add_i32 s1, s1, 0x3b800000
	s_lshl_b32 s0, s0, 20
	s_or_b32 s1, s4, s1
	s_delay_alu instid0(SALU_CYCLE_1)
	s_or_b32 s0, s1, s0
.LBB142_2314:
	s_delay_alu instid0(SALU_CYCLE_1) | instskip(NEXT) | instid1(SALU_CYCLE_1)
	s_bfe_u32 s1, s0, 0x10010
	s_add_i32 s1, s0, s1
	v_cmp_o_f32_e64 s0, s0, s0
	s_addk_i32 s1, 0x7fff
	s_delay_alu instid0(SALU_CYCLE_1) | instskip(NEXT) | instid1(VALU_DEP_1)
	s_lshr_b32 s1, s1, 16
	s_and_b32 s0, s0, exec_lo
	s_cselect_b32 s0, s1, 0x7fc0
	s_delay_alu instid0(SALU_CYCLE_1)
	v_mov_b32_e32 v0, s0
	s_mov_b32 s0, 0
	global_store_b16 v[4:5], v0, off
.LBB142_2315:
	s_mov_b32 s1, 0
.LBB142_2316:
	s_delay_alu instid0(SALU_CYCLE_1)
	s_and_b32 vcc_lo, exec_lo, s1
	s_mov_b32 s4, 0
	s_cbranch_vccz .LBB142_2318
; %bb.2317:
	v_cmp_ne_u16_e64 s0, 11, v12
	s_mov_b32 s4, -1
.LBB142_2318:
	s_delay_alu instid0(VALU_DEP_1)
	s_and_b32 vcc_lo, exec_lo, s0
	s_cbranch_vccnz .LBB142_2320
.LBB142_2319:
	s_mov_b32 s0, 0
	s_branch .LBB142_1717
.LBB142_2320:
	s_cbranch_execnz .LBB142_2322
; %bb.2321:
	s_mov_b32 s4, 0
	s_or_b32 s8, s8, exec_lo
	s_branch .LBB142_2319
.LBB142_2322:
	s_trap 2
	s_sendmsg_rtn_b32 s0, sendmsg(MSG_RTN_GET_DOORBELL)
	s_mov_b32 ttmp2, m0
	s_waitcnt lgkmcnt(0)
	s_and_b32 s0, s0, 0x3ff
	s_delay_alu instid0(SALU_CYCLE_1) | instskip(NEXT) | instid1(SALU_CYCLE_1)
	s_bitset1_b32 s0, 10
	s_mov_b32 m0, s0
	s_sendmsg sendmsg(MSG_INTERRUPT)
	s_mov_b32 m0, ttmp2
.LBB142_2323:                           ; =>This Inner Loop Header: Depth=1
	s_sethalt 5
	s_branch .LBB142_2323
.LBB142_2324:
                                        ; implicit-def: $sgpr0
.LBB142_2325:
	s_mov_b32 s18, 0
.LBB142_2326:
	s_delay_alu instid0(SALU_CYCLE_1)
	s_and_b32 vcc_lo, exec_lo, s18
	s_cbranch_vccz .LBB142_2328
; %bb.2327:
	v_cmp_ne_u16_e64 s1, 0, v0
	s_mov_b32 s0, 0
.LBB142_2328:
	s_delay_alu instid0(VALU_DEP_1)
	s_and_not1_b32 vcc_lo, exec_lo, s1
	s_cbranch_vccnz .LBB142_2330
; %bb.2329:
	s_mov_b32 s0, s2
.LBB142_2330:
	s_delay_alu instid0(SALU_CYCLE_1) | instskip(NEXT) | instid1(SALU_CYCLE_1)
	s_bfe_u32 s1, s0, 0x10010
	s_add_i32 s1, s0, s1
	v_cmp_o_f32_e64 s0, s0, s0
	s_addk_i32 s1, 0x7fff
	s_delay_alu instid0(SALU_CYCLE_1) | instskip(NEXT) | instid1(VALU_DEP_1)
	s_lshr_b32 s1, s1, 16
	s_and_b32 s0, s0, exec_lo
	s_cselect_b32 s0, s1, 0x7fc0
	s_mov_b32 s1, 0
	v_mov_b32_e32 v0, s0
	s_mov_b32 s0, 0
	global_store_b32 v[10:11], v0, off
.LBB142_2331:
	s_and_b32 vcc_lo, exec_lo, s1
	s_cbranch_vccz .LBB142_2344
; %bb.2332:
	v_cmp_eq_u16_e32 vcc_lo, 44, v12
	s_mov_b32 s0, -1
	s_cbranch_vccz .LBB142_2344
; %bb.2333:
	v_and_b32_e64 v0, 0xff, s7
	s_delay_alu instid0(VALU_DEP_1)
	v_cmp_gt_i16_e32 vcc_lo, 0x80, v0
	v_readfirstlane_b32 s1, v0
	s_cbranch_vccnz .LBB142_2336
; %bb.2334:
	s_delay_alu instid0(VALU_DEP_1) | instskip(NEXT) | instid1(VALU_DEP_1)
	v_cmp_eq_u16_e64 s0, 0x80, s1
	s_and_b32 vcc_lo, exec_lo, s0
	s_cbranch_vccz .LBB142_2337
; %bb.2335:
	s_mov_b32 s18, 0
	s_mov_b32 s0, 0x7f800001
	s_branch .LBB142_2338
.LBB142_2336:
	s_mov_b32 s19, -1
	s_mov_b32 s18, 0
                                        ; implicit-def: $sgpr0
	s_branch .LBB142_2339
.LBB142_2337:
	s_mov_b32 s18, -1
                                        ; implicit-def: $sgpr0
.LBB142_2338:
	s_mov_b32 s19, 0
.LBB142_2339:
	s_delay_alu instid0(SALU_CYCLE_1)
	s_and_b32 vcc_lo, exec_lo, s19
	s_cbranch_vccz .LBB142_2349
; %bb.2340:
	v_cmp_ne_u16_e64 s18, s1, 0
	s_and_b32 s0, 0xffff, s1
	s_delay_alu instid0(VALU_DEP_1)
	s_and_not1_b32 vcc_lo, exec_lo, s18
	s_cbranch_vccz .LBB142_2350
.LBB142_2341:
	v_mov_b32_e32 v0, 0xff
	s_bfe_u32 s1, s0, 0x80017
	s_delay_alu instid0(SALU_CYCLE_1)
	s_cmpk_eq_i32 s1, 0xff
	s_cbranch_scc1 .LBB142_2343
.LBB142_2342:
	s_lshr_b32 s10, s0, 23
	s_bitcmp1_b32 s0, 22
	s_cselect_b32 s18, -1, 0
	s_and_b32 s0, s0, 0x3fffff
	s_delay_alu instid0(SALU_CYCLE_1) | instskip(NEXT) | instid1(SALU_CYCLE_1)
	s_or_b32 s0, s1, s0
	s_cmp_lg_u32 s0, 0
	s_cselect_b32 s0, -1, 0
	s_delay_alu instid0(SALU_CYCLE_1) | instskip(NEXT) | instid1(SALU_CYCLE_1)
	s_and_b32 s0, s18, s0
	v_cndmask_b32_e64 v0, 0, 1, s0
	s_delay_alu instid0(VALU_DEP_1)
	v_add_nc_u32_e32 v0, s10, v0
.LBB142_2343:
	s_mov_b32 s0, 0
	global_store_b8 v[10:11], v0, off
.LBB142_2344:
	s_mov_b32 s1, 0
.LBB142_2345:
	s_delay_alu instid0(SALU_CYCLE_1)
	s_and_b32 vcc_lo, exec_lo, s1
	s_cbranch_vccz .LBB142_2357
; %bb.2346:
	v_cmp_eq_u16_e32 vcc_lo, 29, v12
	s_mov_b32 s0, -1
	s_cbranch_vccz .LBB142_2357
; %bb.2347:
	v_and_b32_e64 v0, 0xff, s7
	s_delay_alu instid0(VALU_DEP_1)
	v_cmp_gt_i16_e32 vcc_lo, 0x80, v0
	s_cbranch_vccnz .LBB142_2351
; %bb.2348:
	v_cmp_ne_u16_e64 s10, 0x80, v0
	s_mov_b32 s18, 0
	s_mov_b64 s[0:1], 0
	s_branch .LBB142_2352
.LBB142_2349:
	s_and_not1_b32 vcc_lo, exec_lo, s18
	s_cbranch_vccnz .LBB142_2341
.LBB142_2350:
	s_mov_b32 s0, s10
	v_mov_b32_e32 v0, 0xff
	s_bfe_u32 s1, s0, 0x80017
	s_delay_alu instid0(SALU_CYCLE_1)
	s_cmpk_eq_i32 s1, 0xff
	s_cbranch_scc0 .LBB142_2342
	s_branch .LBB142_2343
.LBB142_2351:
	s_mov_b32 s18, -1
	s_mov_b32 s10, 0
                                        ; implicit-def: $sgpr0_sgpr1
.LBB142_2352:
	s_and_not1_b32 vcc_lo, exec_lo, s18
	s_cbranch_vccnz .LBB142_2354
; %bb.2353:
	v_cmp_ne_u16_e64 s10, 0, v0
	s_mov_b64 s[0:1], 0
.LBB142_2354:
	s_delay_alu instid0(SALU_CYCLE_1) | instskip(NEXT) | instid1(VALU_DEP_2)
	v_dual_mov_b32 v0, s0 :: v_dual_mov_b32 v1, s1
	s_and_not1_b32 vcc_lo, exec_lo, s10
	s_cbranch_vccnz .LBB142_2356
; %bb.2355:
	v_dual_mov_b32 v0, v8 :: v_dual_mov_b32 v1, v9
.LBB142_2356:
	s_mov_b32 s0, 0
	global_store_b64 v[10:11], v[0:1], off
.LBB142_2357:
	s_mov_b32 s1, 0
.LBB142_2358:
	s_delay_alu instid0(SALU_CYCLE_1)
	s_and_b32 vcc_lo, exec_lo, s1
	s_cbranch_vccz .LBB142_2381
; %bb.2359:
	v_cmp_gt_i16_e32 vcc_lo, 27, v12
	s_mov_b32 s1, -1
	s_cbranch_vccnz .LBB142_2379
; %bb.2360:
	v_cmp_lt_i16_e32 vcc_lo, 27, v12
	s_cbranch_vccz .LBB142_2369
; %bb.2361:
	v_and_b32_e64 v0, 0xff, s7
	s_delay_alu instid0(VALU_DEP_1)
	v_cmp_gt_i16_e32 vcc_lo, 0x80, v0
	s_cbranch_vccnz .LBB142_2363
; %bb.2362:
	v_cmp_ne_u16_e64 s1, 0x80, v0
	s_mov_b32 s18, 0
	s_mov_b32 s10, 0
	s_branch .LBB142_2364
.LBB142_2363:
	s_mov_b32 s18, -1
	s_mov_b32 s1, 0
                                        ; implicit-def: $sgpr10
.LBB142_2364:
	s_and_not1_b32 vcc_lo, exec_lo, s18
	s_cbranch_vccnz .LBB142_2366
; %bb.2365:
	v_cmp_ne_u16_e64 s1, 0, v0
	s_mov_b32 s10, 0
.LBB142_2366:
	s_delay_alu instid0(SALU_CYCLE_1) | instskip(NEXT) | instid1(VALU_DEP_2)
	v_mov_b32_e32 v0, s10
	s_and_not1_b32 vcc_lo, exec_lo, s1
	s_cbranch_vccnz .LBB142_2368
; %bb.2367:
	v_mov_b32_e32 v0, v16
.LBB142_2368:
	s_mov_b32 s1, 0
	global_store_b32 v[10:11], v0, off
.LBB142_2369:
	s_and_b32 vcc_lo, exec_lo, s1
	s_cbranch_vccz .LBB142_2378
; %bb.2370:
	v_and_b32_e64 v0, 0xff, s7
	s_delay_alu instid0(VALU_DEP_1)
	v_cmp_gt_i16_e32 vcc_lo, 0x80, v0
	s_cbranch_vccnz .LBB142_2372
; %bb.2371:
	v_cmp_ne_u16_e64 s1, 0x80, v0
	s_mov_b32 s18, 0
	s_mov_b32 s10, 0
	s_branch .LBB142_2373
.LBB142_2372:
	s_mov_b32 s18, -1
	s_mov_b32 s1, 0
                                        ; implicit-def: $sgpr10
.LBB142_2373:
	s_and_not1_b32 vcc_lo, exec_lo, s18
	s_cbranch_vccnz .LBB142_2375
; %bb.2374:
	v_cmp_ne_u16_e64 s1, 0, v0
	s_mov_b32 s10, 0
.LBB142_2375:
	s_delay_alu instid0(SALU_CYCLE_1) | instskip(NEXT) | instid1(VALU_DEP_2)
	v_mov_b32_e32 v0, s10
	s_and_not1_b32 vcc_lo, exec_lo, s1
	s_cbranch_vccnz .LBB142_2377
; %bb.2376:
	v_mov_b32_e32 v0, v16
.LBB142_2377:
	global_store_b16 v[10:11], v0, off
.LBB142_2378:
	s_mov_b32 s1, 0
.LBB142_2379:
	s_delay_alu instid0(SALU_CYCLE_1)
	s_and_not1_b32 vcc_lo, exec_lo, s1
	s_cbranch_vccnz .LBB142_2381
; %bb.2380:
	v_mov_b32_e32 v0, s7
	global_store_b8 v[10:11], v0, off
.LBB142_2381:
	s_mov_b32 s1, 0
.LBB142_2382:
	s_delay_alu instid0(SALU_CYCLE_1)
	s_and_b32 vcc_lo, exec_lo, s1
	s_mov_b32 s1, 0
	s_cbranch_vccz .LBB142_2389
; %bb.2383:
	v_cmp_lt_i16_e32 vcc_lo, 22, v12
	s_mov_b32 s10, -1
	s_cbranch_vccz .LBB142_2452
; %bb.2384:
	v_cmp_gt_i16_e32 vcc_lo, 24, v12
	s_cbranch_vccnz .LBB142_2429
; %bb.2385:
	v_cmp_lt_i16_e32 vcc_lo, 24, v12
	s_cbranch_vccz .LBB142_2406
; %bb.2386:
	v_and_b32_e64 v0, 0xff, s7
	s_delay_alu instid0(VALU_DEP_1)
	v_cmp_gt_i16_e32 vcc_lo, 0x80, v0
	s_cbranch_vccnz .LBB142_2390
; %bb.2387:
	v_cmp_eq_u16_e32 vcc_lo, 0x80, v0
	s_cbranch_vccz .LBB142_2391
; %bb.2388:
	s_mov_b32 s18, 0
	s_mov_b32 s10, 0x7f800001
	s_branch .LBB142_2392
.LBB142_2389:
	s_mov_b32 s10, 0
	s_branch .LBB142_2469
.LBB142_2390:
	s_mov_b32 s19, -1
	s_mov_b32 s18, 0
                                        ; implicit-def: $sgpr10
	s_branch .LBB142_2393
.LBB142_2391:
	s_mov_b32 s18, -1
                                        ; implicit-def: $sgpr10
.LBB142_2392:
	s_mov_b32 s19, 0
.LBB142_2393:
	s_delay_alu instid0(SALU_CYCLE_1)
	s_and_b32 vcc_lo, exec_lo, s19
	s_cbranch_vccz .LBB142_2396
; %bb.2394:
	v_cmp_ne_u16_e64 s18, 0, v0
	s_mov_b32 s10, 0
	s_delay_alu instid0(VALU_DEP_1)
	s_and_not1_b32 vcc_lo, exec_lo, s18
	s_cbranch_vccz .LBB142_2397
.LBB142_2395:
	v_mov_b32_e32 v1, 0x80
	s_and_b32 s18, s10, 0x7fffffff
	s_delay_alu instid0(SALU_CYCLE_1)
	s_cmp_gt_u32 s18, 0x477fffff
	s_cbranch_scc0 .LBB142_2398
	s_branch .LBB142_2405
.LBB142_2396:
	s_and_not1_b32 vcc_lo, exec_lo, s18
	s_cbranch_vccnz .LBB142_2395
.LBB142_2397:
	s_mov_b32 s10, s2
	v_mov_b32_e32 v1, 0x80
	s_and_b32 s18, s10, 0x7fffffff
	s_delay_alu instid0(SALU_CYCLE_1)
	s_cmp_gt_u32 s18, 0x477fffff
	s_cbranch_scc1 .LBB142_2405
.LBB142_2398:
	s_cmp_lt_u32 s18, 0x38000000
	s_cbranch_scc1 .LBB142_2400
; %bb.2399:
	s_bfe_u32 s18, s10, 0x10015
	s_mov_b32 s19, 0
	s_add_i32 s18, s10, s18
	s_delay_alu instid0(SALU_CYCLE_1) | instskip(NEXT) | instid1(SALU_CYCLE_1)
	s_add_i32 s18, s18, 0x88fffff
	s_lshr_b32 s20, s18, 21
	s_mov_b32 s18, -1
	s_branch .LBB142_2401
.LBB142_2400:
	s_mov_b32 s19, -1
	s_mov_b32 s18, 0
                                        ; implicit-def: $sgpr20
.LBB142_2401:
	v_mov_b32_e32 v0, s20
	s_and_not1_b32 vcc_lo, exec_lo, s19
                                        ; implicit-def: $sgpr19
	s_cbranch_vccnz .LBB142_2403
; %bb.2402:
	v_add_f32_e64 v0, 0x42800000, |s10|
	s_mov_b32 s19, 0
	s_delay_alu instid0(VALU_DEP_1) | instskip(NEXT) | instid1(VALU_DEP_1)
	v_and_b32_e32 v0, 0xff, v0
	v_cmp_ne_u32_e64 s18, 0, v0
.LBB142_2403:
	v_mov_b32_e32 v1, s19
	s_delay_alu instid0(VALU_DEP_2)
	s_and_not1_b32 vcc_lo, exec_lo, s18
	s_cbranch_vccnz .LBB142_2405
; %bb.2404:
	s_lshr_b32 s10, s10, 24
	s_delay_alu instid0(SALU_CYCLE_1) | instskip(NEXT) | instid1(SALU_CYCLE_1)
	s_and_b32 s10, s10, 0x80
	v_or_b32_e32 v1, s10, v0
.LBB142_2405:
	s_mov_b32 s10, 0
	global_store_b8 v[10:11], v1, off
.LBB142_2406:
	s_and_b32 vcc_lo, exec_lo, s10
	s_cbranch_vccz .LBB142_2428
; %bb.2407:
	v_and_b32_e64 v0, 0xff, s7
	s_delay_alu instid0(VALU_DEP_1)
	v_cmp_gt_i16_e32 vcc_lo, 0x80, v0
	s_cbranch_vccnz .LBB142_2410
; %bb.2408:
	v_cmp_eq_u16_e32 vcc_lo, 0x80, v0
	s_cbranch_vccz .LBB142_2411
; %bb.2409:
	s_mov_b32 s18, 0
	s_mov_b32 s10, 0x7f800001
	s_branch .LBB142_2412
.LBB142_2410:
	s_mov_b32 s19, -1
	s_mov_b32 s18, 0
                                        ; implicit-def: $sgpr10
	s_branch .LBB142_2413
.LBB142_2411:
	s_mov_b32 s18, -1
                                        ; implicit-def: $sgpr10
.LBB142_2412:
	s_mov_b32 s19, 0
.LBB142_2413:
	s_delay_alu instid0(SALU_CYCLE_1)
	s_and_b32 vcc_lo, exec_lo, s19
	s_cbranch_vccz .LBB142_2418
; %bb.2414:
	v_cmp_ne_u16_e64 s18, 0, v0
	s_mov_b32 s10, 0
	s_delay_alu instid0(VALU_DEP_1)
	s_and_not1_b32 vcc_lo, exec_lo, s18
	s_cbranch_vccz .LBB142_2419
.LBB142_2415:
	s_and_b32 s18, s10, 0x7fffffff
	s_delay_alu instid0(SALU_CYCLE_1)
	s_cmp_gt_u32 s18, 0x43efffff
	s_cbranch_scc1 .LBB142_2420
.LBB142_2416:
	s_cmp_lt_u32 s18, 0x3c800000
	s_cbranch_scc1 .LBB142_2421
; %bb.2417:
	s_bfe_u32 s19, s10, 0x10014
	s_delay_alu instid0(SALU_CYCLE_1) | instskip(NEXT) | instid1(SALU_CYCLE_1)
	s_add_i32 s19, s10, s19
	s_add_i32 s19, s19, 0x407ffff
	s_delay_alu instid0(SALU_CYCLE_1)
	s_and_b32 s20, s19, 0xff00000
	s_lshr_b32 s19, s19, 20
	s_cmp_lg_u32 s20, 0x7f00000
	s_cselect_b32 s20, s19, 0x7e
	s_mov_b32 s19, 0
	s_branch .LBB142_2422
.LBB142_2418:
	s_and_not1_b32 vcc_lo, exec_lo, s18
	s_cbranch_vccnz .LBB142_2415
.LBB142_2419:
	s_mov_b32 s10, s2
	s_delay_alu instid0(SALU_CYCLE_1) | instskip(NEXT) | instid1(SALU_CYCLE_1)
	s_and_b32 s18, s10, 0x7fffffff
	s_cmp_gt_u32 s18, 0x43efffff
	s_cbranch_scc0 .LBB142_2416
.LBB142_2420:
	s_mov_b32 s19, -1
                                        ; implicit-def: $vgpr0
	s_branch .LBB142_2425
.LBB142_2421:
	s_mov_b32 s19, -1
                                        ; implicit-def: $sgpr20
.LBB142_2422:
	v_mov_b32_e32 v0, s20
	s_and_not1_b32 vcc_lo, exec_lo, s19
	s_cbranch_vccnz .LBB142_2424
; %bb.2423:
	v_add_f32_e64 v0, 0x46800000, |s10|
.LBB142_2424:
	s_mov_b32 s19, 0
.LBB142_2425:
	s_delay_alu instid0(SALU_CYCLE_1)
	s_and_not1_b32 vcc_lo, exec_lo, s19
	s_cbranch_vccnz .LBB142_2427
; %bb.2426:
	s_cmp_gt_u32 s18, 0x7f800000
	s_movk_i32 s18, 0x7f
	s_delay_alu instid0(SALU_CYCLE_1) | instskip(NEXT) | instid1(SALU_CYCLE_1)
	s_cselect_b32 s18, s18, 0x7e
	v_mov_b32_e32 v0, s18
.LBB142_2427:
	s_lshr_b32 s10, s10, 24
	s_delay_alu instid0(SALU_CYCLE_1)
	s_and_b32 s10, s10, 0x80
	s_delay_alu instid0(VALU_DEP_1) | instid1(SALU_CYCLE_1)
	v_or_b32_e32 v0, s10, v0
	global_store_b8 v[10:11], v0, off
.LBB142_2428:
	s_mov_b32 s10, 0
.LBB142_2429:
	s_delay_alu instid0(SALU_CYCLE_1)
	s_and_not1_b32 vcc_lo, exec_lo, s10
	s_cbranch_vccnz .LBB142_2433
; %bb.2430:
	v_and_b32_e64 v0, 0xff, s7
	s_delay_alu instid0(VALU_DEP_1)
	v_cmp_gt_i16_e32 vcc_lo, 0x80, v0
	s_cbranch_vccnz .LBB142_2434
; %bb.2431:
	v_cmp_eq_u16_e32 vcc_lo, 0x80, v0
	s_cbranch_vccz .LBB142_2435
; %bb.2432:
	s_mov_b32 s18, 0
	s_mov_b32 s10, 0x7f800001
	s_branch .LBB142_2436
.LBB142_2433:
	s_mov_b32 s10, 0
	s_branch .LBB142_2452
.LBB142_2434:
	s_mov_b32 s19, -1
	s_mov_b32 s18, 0
                                        ; implicit-def: $sgpr10
	s_branch .LBB142_2437
.LBB142_2435:
	s_mov_b32 s18, -1
                                        ; implicit-def: $sgpr10
.LBB142_2436:
	s_mov_b32 s19, 0
.LBB142_2437:
	s_delay_alu instid0(SALU_CYCLE_1)
	s_and_b32 vcc_lo, exec_lo, s19
	s_cbranch_vccz .LBB142_2442
; %bb.2438:
	v_cmp_ne_u16_e64 s18, 0, v0
	s_mov_b32 s10, 0
	s_delay_alu instid0(VALU_DEP_1)
	s_and_not1_b32 vcc_lo, exec_lo, s18
	s_cbranch_vccz .LBB142_2443
.LBB142_2439:
	s_and_b32 s18, s10, 0x7fffffff
	s_delay_alu instid0(SALU_CYCLE_1)
	s_cmp_gt_u32 s18, 0x477fffff
	s_cbranch_scc1 .LBB142_2444
.LBB142_2440:
	s_cmp_lt_u32 s18, 0x38800000
	s_cbranch_scc1 .LBB142_2445
; %bb.2441:
	s_bfe_u32 s19, s10, 0x10015
	s_delay_alu instid0(SALU_CYCLE_1) | instskip(NEXT) | instid1(SALU_CYCLE_1)
	s_add_i32 s19, s10, s19
	s_add_i32 s19, s19, 0x80fffff
	s_delay_alu instid0(SALU_CYCLE_1)
	s_lshr_b32 s20, s19, 21
	s_mov_b32 s19, 0
	s_branch .LBB142_2446
.LBB142_2442:
	s_and_not1_b32 vcc_lo, exec_lo, s18
	s_cbranch_vccnz .LBB142_2439
.LBB142_2443:
	s_mov_b32 s10, s2
	s_delay_alu instid0(SALU_CYCLE_1) | instskip(NEXT) | instid1(SALU_CYCLE_1)
	s_and_b32 s18, s10, 0x7fffffff
	s_cmp_gt_u32 s18, 0x477fffff
	s_cbranch_scc0 .LBB142_2440
.LBB142_2444:
	s_mov_b32 s19, -1
                                        ; implicit-def: $vgpr0
	s_branch .LBB142_2449
.LBB142_2445:
	s_mov_b32 s19, -1
                                        ; implicit-def: $sgpr20
.LBB142_2446:
	v_mov_b32_e32 v0, s20
	s_and_not1_b32 vcc_lo, exec_lo, s19
	s_cbranch_vccnz .LBB142_2448
; %bb.2447:
	v_add_f32_e64 v0, 0x43000000, |s10|
.LBB142_2448:
	s_mov_b32 s19, 0
.LBB142_2449:
	s_delay_alu instid0(SALU_CYCLE_1)
	s_and_not1_b32 vcc_lo, exec_lo, s19
	s_cbranch_vccnz .LBB142_2451
; %bb.2450:
	s_cmp_gt_u32 s18, 0x7f800000
	s_movk_i32 s18, 0x7f
	s_delay_alu instid0(SALU_CYCLE_1) | instskip(NEXT) | instid1(SALU_CYCLE_1)
	s_cselect_b32 s18, s18, 0x7c
	v_mov_b32_e32 v0, s18
.LBB142_2451:
	s_lshr_b32 s10, s10, 24
	s_delay_alu instid0(SALU_CYCLE_1)
	s_and_b32 s10, s10, 0x80
	s_delay_alu instid0(VALU_DEP_1) | instid1(SALU_CYCLE_1)
	v_or_b32_e32 v0, s10, v0
	s_mov_b32 s10, 0
	global_store_b8 v[10:11], v0, off
.LBB142_2452:
	s_and_not1_b32 vcc_lo, exec_lo, s10
	s_mov_b32 s10, 0
	s_cbranch_vccnz .LBB142_2469
; %bb.2453:
	v_cmp_lt_i16_e32 vcc_lo, 14, v12
	s_mov_b32 s10, -1
	s_cbranch_vccz .LBB142_2467
; %bb.2454:
	v_cmp_eq_u16_e32 vcc_lo, 15, v12
	s_mov_b32 s0, -1
	s_cbranch_vccz .LBB142_2466
; %bb.2455:
	v_and_b32_e64 v0, 0xff, s7
	s_delay_alu instid0(VALU_DEP_1)
	v_cmp_gt_i16_e32 vcc_lo, 0x80, v0
	s_cbranch_vccnz .LBB142_2458
; %bb.2456:
	v_cmp_eq_u16_e32 vcc_lo, 0x80, v0
	s_cbranch_vccz .LBB142_2459
; %bb.2457:
	s_mov_b32 s10, 0
	s_mov_b32 s0, 0x7f800001
	s_branch .LBB142_2460
.LBB142_2458:
	s_mov_b32 s18, -1
	s_mov_b32 s10, 0
                                        ; implicit-def: $sgpr0
	s_branch .LBB142_2461
.LBB142_2459:
                                        ; implicit-def: $sgpr0
.LBB142_2460:
	s_mov_b32 s18, 0
.LBB142_2461:
	s_delay_alu instid0(SALU_CYCLE_1)
	s_and_b32 vcc_lo, exec_lo, s18
	s_cbranch_vccz .LBB142_2463
; %bb.2462:
	v_cmp_ne_u16_e64 s10, 0, v0
	s_mov_b32 s0, 0
.LBB142_2463:
	s_delay_alu instid0(VALU_DEP_1)
	s_and_not1_b32 vcc_lo, exec_lo, s10
	s_cbranch_vccnz .LBB142_2465
; %bb.2464:
	s_mov_b32 s0, s2
.LBB142_2465:
	s_delay_alu instid0(SALU_CYCLE_1) | instskip(NEXT) | instid1(SALU_CYCLE_1)
	s_bfe_u32 s10, s0, 0x10010
	s_add_i32 s10, s0, s10
	v_cmp_o_f32_e64 s0, s0, s0
	s_addk_i32 s10, 0x7fff
	s_delay_alu instid0(SALU_CYCLE_1) | instskip(NEXT) | instid1(VALU_DEP_1)
	s_lshr_b32 s10, s10, 16
	s_and_b32 s0, s0, exec_lo
	s_cselect_b32 s0, s10, 0x7fc0
	s_delay_alu instid0(SALU_CYCLE_1)
	v_mov_b32_e32 v0, s0
	s_mov_b32 s0, 0
	global_store_b16 v[10:11], v0, off
.LBB142_2466:
	s_mov_b32 s10, 0
.LBB142_2467:
	s_delay_alu instid0(SALU_CYCLE_1)
	s_and_b32 vcc_lo, exec_lo, s10
	s_mov_b32 s10, 0
	s_cbranch_vccz .LBB142_2469
; %bb.2468:
	v_cmp_ne_u16_e32 vcc_lo, 11, v12
	s_and_not1_b32 s0, s0, exec_lo
	s_mov_b32 s10, -1
	s_and_b32 s18, vcc_lo, exec_lo
	s_delay_alu instid0(SALU_CYCLE_1)
	s_or_b32 s0, s0, s18
.LBB142_2469:
	s_and_not1_b32 s18, s17, exec_lo
	s_and_b32 s19, s0, exec_lo
	s_and_b32 s1, s1, exec_lo
	;; [unrolled: 1-line block ×3, first 2 shown]
	s_or_b32 s18, s18, s19
.LBB142_2470:
	s_or_b32 exec_lo, exec_lo, s11
	s_delay_alu instid0(SALU_CYCLE_1)
	s_and_not1_b32 s10, s17, exec_lo
	s_and_b32 s11, s18, exec_lo
	s_and_b32 s1, s1, exec_lo
	;; [unrolled: 1-line block ×3, first 2 shown]
	s_or_b32 s17, s10, s11
.LBB142_2471:
	s_or_b32 exec_lo, exec_lo, s16
	s_delay_alu instid0(SALU_CYCLE_1)
	s_and_not1_b32 s10, s14, exec_lo
	s_and_b32 s11, s17, exec_lo
	s_and_b32 s16, s1, exec_lo
	;; [unrolled: 1-line block ×3, first 2 shown]
	s_or_b32 s14, s10, s11
.LBB142_2472:
	s_or_b32 exec_lo, exec_lo, s15
	s_delay_alu instid0(SALU_CYCLE_1)
	s_and_not1_b32 s10, s12, exec_lo
	s_and_b32 s11, s14, exec_lo
	s_and_b32 s0, s16, exec_lo
	;; [unrolled: 1-line block ×3, first 2 shown]
	s_or_b32 s12, s10, s11
	s_or_b32 exec_lo, exec_lo, s13
	s_mov_b32 s10, 0
	s_and_saveexec_b32 s1, s12
	s_cbranch_execz .LBB142_322
.LBB142_2473:
	s_cbranch_execnz .LBB142_2475
; %bb.2474:
	s_mov_b32 s10, exec_lo
	s_and_not1_b32 s14, s14, exec_lo
	s_or_b32 exec_lo, exec_lo, s1
	s_and_saveexec_b32 s1, s14
	s_cbranch_execnz .LBB142_323
	s_branch .LBB142_331
.LBB142_2475:
	s_trap 2
	s_sendmsg_rtn_b32 s0, sendmsg(MSG_RTN_GET_DOORBELL)
	s_mov_b32 ttmp2, m0
	s_waitcnt lgkmcnt(0)
	s_and_b32 s0, s0, 0x3ff
	s_delay_alu instid0(SALU_CYCLE_1) | instskip(NEXT) | instid1(SALU_CYCLE_1)
	s_bitset1_b32 s0, 10
	s_mov_b32 m0, s0
	s_sendmsg sendmsg(MSG_INTERRUPT)
	s_mov_b32 m0, ttmp2
.LBB142_2476:                           ; =>This Inner Loop Header: Depth=1
	s_sethalt 5
	s_branch .LBB142_2476
	.section	.rodata,"a",@progbits
	.p2align	6, 0x0
	.amdhsa_kernel _ZN2at6native32elementwise_kernel_manual_unrollILi128ELi4EZNS0_15gpu_kernel_implINS0_11FillFunctorIN3c1015Float8_e4m3fnuzEEEEEvRNS_18TensorIteratorBaseERKT_EUlibE_EEviT1_
		.amdhsa_group_segment_fixed_size 0
		.amdhsa_private_segment_fixed_size 0
		.amdhsa_kernarg_size 24
		.amdhsa_user_sgpr_count 15
		.amdhsa_user_sgpr_dispatch_ptr 0
		.amdhsa_user_sgpr_queue_ptr 0
		.amdhsa_user_sgpr_kernarg_segment_ptr 1
		.amdhsa_user_sgpr_dispatch_id 0
		.amdhsa_user_sgpr_private_segment_size 0
		.amdhsa_wavefront_size32 1
		.amdhsa_uses_dynamic_stack 0
		.amdhsa_enable_private_segment 0
		.amdhsa_system_sgpr_workgroup_id_x 1
		.amdhsa_system_sgpr_workgroup_id_y 0
		.amdhsa_system_sgpr_workgroup_id_z 0
		.amdhsa_system_sgpr_workgroup_info 0
		.amdhsa_system_vgpr_workitem_id 0
		.amdhsa_next_free_vgpr 18
		.amdhsa_next_free_sgpr 21
		.amdhsa_reserve_vcc 1
		.amdhsa_float_round_mode_32 0
		.amdhsa_float_round_mode_16_64 0
		.amdhsa_float_denorm_mode_32 3
		.amdhsa_float_denorm_mode_16_64 3
		.amdhsa_dx10_clamp 1
		.amdhsa_ieee_mode 1
		.amdhsa_fp16_overflow 0
		.amdhsa_workgroup_processor_mode 1
		.amdhsa_memory_ordered 1
		.amdhsa_forward_progress 0
		.amdhsa_shared_vgpr_count 0
		.amdhsa_exception_fp_ieee_invalid_op 0
		.amdhsa_exception_fp_denorm_src 0
		.amdhsa_exception_fp_ieee_div_zero 0
		.amdhsa_exception_fp_ieee_overflow 0
		.amdhsa_exception_fp_ieee_underflow 0
		.amdhsa_exception_fp_ieee_inexact 0
		.amdhsa_exception_int_div_zero 0
	.end_amdhsa_kernel
	.section	.text._ZN2at6native32elementwise_kernel_manual_unrollILi128ELi4EZNS0_15gpu_kernel_implINS0_11FillFunctorIN3c1015Float8_e4m3fnuzEEEEEvRNS_18TensorIteratorBaseERKT_EUlibE_EEviT1_,"axG",@progbits,_ZN2at6native32elementwise_kernel_manual_unrollILi128ELi4EZNS0_15gpu_kernel_implINS0_11FillFunctorIN3c1015Float8_e4m3fnuzEEEEEvRNS_18TensorIteratorBaseERKT_EUlibE_EEviT1_,comdat
.Lfunc_end142:
	.size	_ZN2at6native32elementwise_kernel_manual_unrollILi128ELi4EZNS0_15gpu_kernel_implINS0_11FillFunctorIN3c1015Float8_e4m3fnuzEEEEEvRNS_18TensorIteratorBaseERKT_EUlibE_EEviT1_, .Lfunc_end142-_ZN2at6native32elementwise_kernel_manual_unrollILi128ELi4EZNS0_15gpu_kernel_implINS0_11FillFunctorIN3c1015Float8_e4m3fnuzEEEEEvRNS_18TensorIteratorBaseERKT_EUlibE_EEviT1_
                                        ; -- End function
	.section	.AMDGPU.csdata,"",@progbits
; Kernel info:
; codeLenInByte = 43476
; NumSgprs: 23
; NumVgprs: 18
; ScratchSize: 0
; MemoryBound: 0
; FloatMode: 240
; IeeeMode: 1
; LDSByteSize: 0 bytes/workgroup (compile time only)
; SGPRBlocks: 2
; VGPRBlocks: 2
; NumSGPRsForWavesPerEU: 23
; NumVGPRsForWavesPerEU: 18
; Occupancy: 16
; WaveLimiterHint : 0
; COMPUTE_PGM_RSRC2:SCRATCH_EN: 0
; COMPUTE_PGM_RSRC2:USER_SGPR: 15
; COMPUTE_PGM_RSRC2:TRAP_HANDLER: 0
; COMPUTE_PGM_RSRC2:TGID_X_EN: 1
; COMPUTE_PGM_RSRC2:TGID_Y_EN: 0
; COMPUTE_PGM_RSRC2:TGID_Z_EN: 0
; COMPUTE_PGM_RSRC2:TIDIG_COMP_CNT: 0
	.section	.text._ZN2at6native32elementwise_kernel_manual_unrollILi128ELi4EZNS0_15gpu_kernel_implINS0_11FillFunctorIN3c1015Float8_e4m3fnuzEEEEEvRNS_18TensorIteratorBaseERKT_EUlibE0_EEviT1_,"axG",@progbits,_ZN2at6native32elementwise_kernel_manual_unrollILi128ELi4EZNS0_15gpu_kernel_implINS0_11FillFunctorIN3c1015Float8_e4m3fnuzEEEEEvRNS_18TensorIteratorBaseERKT_EUlibE0_EEviT1_,comdat
	.protected	_ZN2at6native32elementwise_kernel_manual_unrollILi128ELi4EZNS0_15gpu_kernel_implINS0_11FillFunctorIN3c1015Float8_e4m3fnuzEEEEEvRNS_18TensorIteratorBaseERKT_EUlibE0_EEviT1_ ; -- Begin function _ZN2at6native32elementwise_kernel_manual_unrollILi128ELi4EZNS0_15gpu_kernel_implINS0_11FillFunctorIN3c1015Float8_e4m3fnuzEEEEEvRNS_18TensorIteratorBaseERKT_EUlibE0_EEviT1_
	.globl	_ZN2at6native32elementwise_kernel_manual_unrollILi128ELi4EZNS0_15gpu_kernel_implINS0_11FillFunctorIN3c1015Float8_e4m3fnuzEEEEEvRNS_18TensorIteratorBaseERKT_EUlibE0_EEviT1_
	.p2align	8
	.type	_ZN2at6native32elementwise_kernel_manual_unrollILi128ELi4EZNS0_15gpu_kernel_implINS0_11FillFunctorIN3c1015Float8_e4m3fnuzEEEEEvRNS_18TensorIteratorBaseERKT_EUlibE0_EEviT1_,@function
_ZN2at6native32elementwise_kernel_manual_unrollILi128ELi4EZNS0_15gpu_kernel_implINS0_11FillFunctorIN3c1015Float8_e4m3fnuzEEEEEvRNS_18TensorIteratorBaseERKT_EUlibE0_EEviT1_: ; @_ZN2at6native32elementwise_kernel_manual_unrollILi128ELi4EZNS0_15gpu_kernel_implINS0_11FillFunctorIN3c1015Float8_e4m3fnuzEEEEEvRNS_18TensorIteratorBaseERKT_EUlibE0_EEviT1_
; %bb.0:
	s_clause 0x1
	s_load_b32 s20, s[0:1], 0x8
	s_load_b32 s30, s[0:1], 0x0
	v_lshl_or_b32 v16, s15, 9, v0
	s_or_b32 s2, s0, 8
	s_mov_b32 s16, -1
	s_mov_b32 s22, 0
	s_mov_b32 s3, s1
	v_or_b32_e32 v1, 0x180, v16
	s_mov_b32 s8, 0
	s_mov_b32 s4, exec_lo
	s_waitcnt lgkmcnt(0)
	s_add_i32 s21, s20, -1
	s_delay_alu instid0(SALU_CYCLE_1)
	s_cmp_gt_u32 s21, 1
	s_cselect_b32 s23, -1, 0
	v_cmpx_le_i32_e64 s30, v1
	s_xor_b32 s24, exec_lo, s4
	s_cbranch_execz .LBB143_501
; %bb.1:
	s_load_b32 s25, s[2:3], 0x110
	s_cmp_lg_u32 s20, 0
	s_mov_b32 s36, 0
	s_cselect_b32 s33, -1, 0
	s_add_u32 s14, s2, 0xc4
	s_addc_u32 s15, s3, 0
	s_min_u32 s31, s21, 15
	s_cmp_gt_u32 s20, 1
	s_mov_b32 s34, 0
	s_cselect_b32 s29, -1, 0
	s_mov_b32 s35, exec_lo
	s_waitcnt lgkmcnt(0)
	s_and_b32 s4, s25, 7
	s_and_b32 s6, s25, 0xffff
	s_clz_i32_u32 s5, s4
	s_bfe_u32 s8, s25, 0x40003
	s_min_u32 s5, s5, 32
	v_lshrrev_b16 v13, 8, s25
	s_sub_i32 s7, s5, 28
	s_sub_i32 s5, 29, s5
	s_lshl_b32 s6, s6, s7
	s_delay_alu instid0(SALU_CYCLE_1)
	s_and_b32 s6, s6, 7
	s_cmp_eq_u32 s8, 0
	s_cselect_b32 s5, s5, s8
	s_cselect_b32 s4, s6, s4
	s_lshl_b32 s6, s25, 24
	s_lshl_b32 s5, s5, 23
	s_and_b32 s6, s6, 0x80000000
	s_add_i32 s17, s5, 0x3b800000
	s_lshl_b32 s18, s4, 20
	s_or_b32 s4, s6, s17
	s_or_b32 s28, s18, s17
	;; [unrolled: 1-line block ×3, first 2 shown]
	s_clause 0x3
	s_load_b64 s[10:11], s[2:3], 0xc4
	s_load_b64 s[8:9], s[2:3], 0x108
	s_load_b128 s[4:7], s[2:3], 0x4
	s_load_b64 s[12:13], s[2:3], 0x14
	v_cvt_f64_f32_e32 v[6:7], s26
	v_trunc_f32_e32 v0, s26
	v_cvt_f16_f32_e32 v14, s26
	s_and_b32 s17, s17, 0x7f800000
	v_cvt_u32_f32_e32 v17, s26
	s_or_b32 s17, s17, s18
	v_mul_f32_e64 v1, 0x2f800000, |v0|
	v_mul_f32_e32 v2, 0x2f800000, v0
	v_ashrrev_i32_e32 v5, 31, v0
	v_and_b32_e32 v15, 0xffff, v14
	v_cvt_i32_f32_e32 v12, s26
	v_floor_f32_e32 v1, v1
	v_floor_f32_e32 v2, v2
	s_cmp_lg_u32 s17, 0
	s_cselect_b32 s27, -1, 0
	s_delay_alu instid0(VALU_DEP_2) | instskip(SKIP_3) | instid1(VALU_DEP_4)
	v_fma_f32 v3, 0xcf800000, v1, |v0|
	v_cvt_u32_f32_e32 v1, v1
	v_fmamk_f32 v0, v2, 0xcf800000, v0
	v_cvt_u32_f32_e32 v9, v2
	v_cvt_u32_f32_e32 v3, v3
	s_delay_alu instid0(VALU_DEP_4) | instskip(NEXT) | instid1(VALU_DEP_4)
	v_xor_b32_e32 v1, v1, v5
	v_cvt_u32_f32_e32 v8, v0
	s_delay_alu instid0(VALU_DEP_3) | instskip(NEXT) | instid1(VALU_DEP_1)
	v_xor_b32_e32 v3, v3, v5
	v_sub_co_u32 v4, vcc_lo, v3, v5
	s_delay_alu instid0(VALU_DEP_4)
	v_sub_co_ci_u32_e32 v5, vcc_lo, v1, v5, vcc_lo
	v_cmpx_gt_i32_e64 s30, v16
	s_cbranch_execz .LBB143_320
; %bb.2:
	s_and_not1_b32 vcc_lo, exec_lo, s23
	s_cbranch_vccnz .LBB143_7
; %bb.3:
	v_mov_b32_e32 v0, 0
	s_and_not1_b32 vcc_lo, exec_lo, s33
	s_cbranch_vccnz .LBB143_12
; %bb.4:
	s_add_i32 s37, s31, 1
	s_cmp_eq_u32 s21, 2
	s_cbranch_scc1 .LBB143_8
; %bb.5:
	v_dual_mov_b32 v0, 0 :: v_dual_mov_b32 v1, v16
	s_and_b32 s34, s37, 28
	s_mov_b32 s38, 0
	s_mov_b64 s[16:17], s[2:3]
	s_mov_b64 s[18:19], s[14:15]
.LBB143_6:                              ; =>This Inner Loop Header: Depth=1
	s_clause 0x1
	s_load_b256 s[40:47], s[16:17], 0x4
	s_load_b128 s[48:51], s[16:17], 0x24
	s_load_b128 s[52:55], s[18:19], 0x0
	s_add_u32 s16, s16, 48
	s_addc_u32 s17, s17, 0
	s_add_i32 s38, s38, 4
	s_add_u32 s18, s18, 16
	s_addc_u32 s19, s19, 0
	s_cmp_lg_u32 s34, s38
	s_waitcnt lgkmcnt(0)
	v_mul_hi_u32 v2, s41, v1
	s_delay_alu instid0(VALU_DEP_1) | instskip(NEXT) | instid1(VALU_DEP_1)
	v_add_nc_u32_e32 v2, v1, v2
	v_lshrrev_b32_e32 v2, s42, v2
	s_delay_alu instid0(VALU_DEP_1) | instskip(SKIP_1) | instid1(VALU_DEP_2)
	v_mul_hi_u32 v3, s44, v2
	v_mul_lo_u32 v18, v2, s40
	v_add_nc_u32_e32 v3, v2, v3
	s_delay_alu instid0(VALU_DEP_2) | instskip(NEXT) | instid1(VALU_DEP_2)
	v_sub_nc_u32_e32 v18, v1, v18
	v_lshrrev_b32_e32 v3, s45, v3
	s_delay_alu instid0(VALU_DEP_2) | instskip(NEXT) | instid1(VALU_DEP_2)
	v_mul_lo_u32 v18, v18, s52
	v_mul_hi_u32 v10, s47, v3
	v_mul_lo_u32 v19, v3, s43
	s_delay_alu instid0(VALU_DEP_2) | instskip(NEXT) | instid1(VALU_DEP_2)
	v_add_nc_u32_e32 v10, v3, v10
	v_sub_nc_u32_e32 v2, v2, v19
	s_delay_alu instid0(VALU_DEP_2) | instskip(NEXT) | instid1(VALU_DEP_2)
	v_lshrrev_b32_e32 v10, s48, v10
	v_mul_lo_u32 v2, v2, s53
	s_delay_alu instid0(VALU_DEP_2) | instskip(NEXT) | instid1(VALU_DEP_2)
	v_mul_hi_u32 v11, s50, v10
	v_add3_u32 v0, v18, v0, v2
	s_delay_alu instid0(VALU_DEP_2) | instskip(NEXT) | instid1(VALU_DEP_1)
	v_add_nc_u32_e32 v11, v10, v11
	v_lshrrev_b32_e32 v1, s51, v11
	v_mul_lo_u32 v11, v10, s46
	s_delay_alu instid0(VALU_DEP_2) | instskip(NEXT) | instid1(VALU_DEP_2)
	v_mul_lo_u32 v20, v1, s49
	v_sub_nc_u32_e32 v3, v3, v11
	s_delay_alu instid0(VALU_DEP_2) | instskip(NEXT) | instid1(VALU_DEP_2)
	v_sub_nc_u32_e32 v10, v10, v20
	v_mul_lo_u32 v3, v3, s54
	s_delay_alu instid0(VALU_DEP_2) | instskip(NEXT) | instid1(VALU_DEP_1)
	v_mul_lo_u32 v10, v10, s55
	v_add3_u32 v0, v3, v0, v10
	s_cbranch_scc1 .LBB143_6
	s_branch .LBB143_9
.LBB143_7:
                                        ; implicit-def: $vgpr0
	s_and_not1_b32 vcc_lo, exec_lo, s16
	s_cbranch_vccz .LBB143_13
	s_branch .LBB143_15
.LBB143_8:
	v_mov_b32_e32 v1, v16
.LBB143_9:
	s_and_b32 s37, s37, 3
	s_delay_alu instid0(SALU_CYCLE_1)
	s_cmp_eq_u32 s37, 0
	s_cbranch_scc1 .LBB143_12
; %bb.10:
	s_lshl_b32 s16, s34, 2
	s_mul_i32 s18, s34, 12
	s_add_u32 s16, s16, s2
	s_addc_u32 s17, s3, 0
	s_add_u32 s16, s16, 0xc4
	s_addc_u32 s17, s17, 0
	;; [unrolled: 2-line block ×3, first 2 shown]
	.p2align	6
.LBB143_11:                             ; =>This Inner Loop Header: Depth=1
	s_clause 0x1
	s_load_b64 s[38:39], s[18:19], 0x4
	s_load_b32 s34, s[18:19], 0xc
	s_add_u32 s18, s18, 12
	s_addc_u32 s19, s19, 0
	s_waitcnt lgkmcnt(0)
	v_mul_hi_u32 v2, s39, v1
	s_load_b32 s39, s[16:17], 0x0
	s_add_u32 s16, s16, 4
	s_addc_u32 s17, s17, 0
	s_add_i32 s37, s37, -1
	s_delay_alu instid0(SALU_CYCLE_1) | instskip(NEXT) | instid1(VALU_DEP_1)
	s_cmp_lg_u32 s37, 0
	v_add_nc_u32_e32 v2, v1, v2
	s_delay_alu instid0(VALU_DEP_1) | instskip(NEXT) | instid1(VALU_DEP_1)
	v_lshrrev_b32_e32 v10, s34, v2
	v_mul_lo_u32 v2, v10, s38
	s_delay_alu instid0(VALU_DEP_1) | instskip(SKIP_1) | instid1(VALU_DEP_1)
	v_sub_nc_u32_e32 v1, v1, v2
	s_waitcnt lgkmcnt(0)
	v_mad_u64_u32 v[2:3], null, v1, s39, v[0:1]
	v_mov_b32_e32 v1, v10
	s_delay_alu instid0(VALU_DEP_2)
	v_mov_b32_e32 v0, v2
	s_cbranch_scc1 .LBB143_11
.LBB143_12:
	s_cbranch_execnz .LBB143_15
.LBB143_13:
	s_waitcnt lgkmcnt(0)
	v_mul_hi_u32 v0, s5, v16
	s_and_not1_b32 vcc_lo, exec_lo, s29
	s_delay_alu instid0(VALU_DEP_1) | instskip(NEXT) | instid1(VALU_DEP_1)
	v_add_nc_u32_e32 v0, v16, v0
	v_lshrrev_b32_e32 v1, s6, v0
	s_delay_alu instid0(VALU_DEP_1) | instskip(NEXT) | instid1(VALU_DEP_1)
	v_mul_lo_u32 v0, v1, s4
	v_sub_nc_u32_e32 v0, v16, v0
	s_delay_alu instid0(VALU_DEP_1)
	v_mul_lo_u32 v0, v0, s10
	s_cbranch_vccnz .LBB143_15
; %bb.14:
	v_mul_hi_u32 v2, s12, v1
	s_delay_alu instid0(VALU_DEP_1) | instskip(NEXT) | instid1(VALU_DEP_1)
	v_add_nc_u32_e32 v2, v1, v2
	v_lshrrev_b32_e32 v2, s13, v2
	s_delay_alu instid0(VALU_DEP_1) | instskip(NEXT) | instid1(VALU_DEP_1)
	v_mul_lo_u32 v2, v2, s7
	v_sub_nc_u32_e32 v3, v1, v2
	s_delay_alu instid0(VALU_DEP_1) | instskip(NEXT) | instid1(VALU_DEP_1)
	v_mad_u64_u32 v[1:2], null, v3, s11, v[0:1]
	v_mov_b32_e32 v0, v1
.LBB143_15:
	v_cmp_gt_i16_e32 vcc_lo, 11, v13
	s_waitcnt lgkmcnt(0)
	s_delay_alu instid0(VALU_DEP_2) | instskip(NEXT) | instid1(VALU_DEP_1)
	v_add_co_u32 v10, s16, s8, v0
	v_add_co_ci_u32_e64 v11, null, s9, 0, s16
	s_mov_b32 s18, 0
	s_mov_b32 s17, -1
	s_mov_b32 s16, 0
	s_cbranch_vccnz .LBB143_24
; %bb.16:
	v_cmp_lt_i16_e32 vcc_lo, 25, v13
	s_cbranch_vccz .LBB143_219
; %bb.17:
	v_cmp_lt_i16_e32 vcc_lo, 28, v13
	s_cbranch_vccz .LBB143_194
; %bb.18:
	v_cmp_lt_i16_e32 vcc_lo, 43, v13
	s_cbranch_vccz .LBB143_181
; %bb.19:
	v_cmp_lt_i16_e32 vcc_lo, 45, v13
	s_cbranch_vccz .LBB143_167
; %bb.20:
	v_cmp_eq_u16_e32 vcc_lo, 46, v13
	s_mov_b32 s17, 0
	s_mov_b32 s18, -1
	s_cbranch_vccz .LBB143_167
; %bb.21:
	v_and_b32_e64 v0, 0xff, s25
	s_delay_alu instid0(VALU_DEP_1)
	v_cmp_gt_i16_e32 vcc_lo, 0x80, v0
	s_cbranch_vccnz .LBB143_33
; %bb.22:
	v_cmp_eq_u16_e32 vcc_lo, 0x80, v0
	s_cbranch_vccz .LBB143_160
; %bb.23:
	s_mov_b32 s18, 0
	s_mov_b32 s16, 0x7f800001
	s_branch .LBB143_161
.LBB143_24:
	s_and_b32 vcc_lo, exec_lo, s17
	s_cbranch_vccz .LBB143_317
; %bb.25:
	v_cmp_gt_i16_e32 vcc_lo, 5, v13
	s_mov_b32 s16, -1
	s_cbranch_vccnz .LBB143_107
; %bb.26:
	v_cmp_gt_i16_e32 vcc_lo, 8, v13
	s_cbranch_vccnz .LBB143_67
; %bb.27:
	v_cmp_gt_i16_e32 vcc_lo, 9, v13
	s_cbranch_vccnz .LBB143_54
; %bb.28:
	v_cmp_lt_i16_e32 vcc_lo, 9, v13
	s_cbranch_vccz .LBB143_41
; %bb.29:
	v_and_b32_e64 v0, 0xff, s25
	s_delay_alu instid0(VALU_DEP_1)
	v_cmp_gt_i16_e32 vcc_lo, 0x80, v0
	s_cbranch_vccnz .LBB143_32
; %bb.30:
	v_cmp_eq_u16_e32 vcc_lo, 0x80, v0
	s_cbranch_vccz .LBB143_34
; %bb.31:
	s_mov_b32 s19, 0
	s_mov_b32 s17, 0x7ff80000
	s_brev_b32 s16, 4
	s_branch .LBB143_35
.LBB143_32:
	s_mov_b32 s34, -1
	s_mov_b32 s19, 0
                                        ; implicit-def: $sgpr16_sgpr17
	s_branch .LBB143_36
.LBB143_33:
	s_mov_b32 s19, -1
	s_mov_b32 s18, 0
                                        ; implicit-def: $sgpr16
	s_branch .LBB143_162
.LBB143_34:
	s_mov_b32 s19, -1
                                        ; implicit-def: $sgpr16_sgpr17
.LBB143_35:
	s_mov_b32 s34, 0
.LBB143_36:
	s_delay_alu instid0(SALU_CYCLE_1)
	s_and_b32 vcc_lo, exec_lo, s34
	s_cbranch_vccz .LBB143_38
; %bb.37:
	v_cmp_ne_u16_e64 s19, 0, v0
	s_mov_b64 s[16:17], 0
.LBB143_38:
	s_delay_alu instid0(SALU_CYCLE_1) | instskip(NEXT) | instid1(VALU_DEP_2)
	v_dual_mov_b32 v0, s16 :: v_dual_mov_b32 v1, s17
	s_and_not1_b32 vcc_lo, exec_lo, s19
	s_cbranch_vccnz .LBB143_40
; %bb.39:
	v_dual_mov_b32 v0, v6 :: v_dual_mov_b32 v1, v7
.LBB143_40:
	v_mov_b32_e32 v2, 0
	s_mov_b32 s16, 0
	s_delay_alu instid0(VALU_DEP_1)
	v_mov_b32_e32 v3, v2
	global_store_b128 v[10:11], v[0:3], off
.LBB143_41:
	s_and_b32 vcc_lo, exec_lo, s16
	s_cbranch_vccz .LBB143_53
; %bb.42:
	v_and_b32_e64 v1, 0xff, s25
	s_delay_alu instid0(VALU_DEP_1)
	v_cmp_gt_i16_e32 vcc_lo, 0x80, v1
	s_cbranch_vccnz .LBB143_45
; %bb.43:
	v_cmp_eq_u16_e32 vcc_lo, 0x80, v1
	s_cbranch_vccz .LBB143_46
; %bb.44:
	s_mov_b32 s16, 0
	s_mov_b32 s17, 0x7f800001
	s_branch .LBB143_47
.LBB143_45:
	s_mov_b32 s19, -1
	s_mov_b32 s16, 0
                                        ; implicit-def: $sgpr17
	s_branch .LBB143_48
.LBB143_46:
	s_mov_b32 s16, -1
                                        ; implicit-def: $sgpr17
.LBB143_47:
	s_mov_b32 s19, 0
.LBB143_48:
	v_mov_b32_e32 v0, s17
	s_and_b32 vcc_lo, exec_lo, s19
	s_cbranch_vccz .LBB143_50
; %bb.49:
	v_and_b32_e32 v0, 0xffff, v1
	v_cmp_ne_u16_e64 s16, 0, v1
.LBB143_50:
	s_delay_alu instid0(VALU_DEP_1)
	s_and_not1_b32 vcc_lo, exec_lo, s16
	s_cbranch_vccnz .LBB143_52
; %bb.51:
	v_mov_b32_e32 v0, s26
.LBB143_52:
	v_mov_b32_e32 v1, 0
	global_store_b64 v[10:11], v[0:1], off
.LBB143_53:
	s_mov_b32 s16, 0
.LBB143_54:
	s_delay_alu instid0(SALU_CYCLE_1)
	s_and_not1_b32 vcc_lo, exec_lo, s16
	s_cbranch_vccnz .LBB143_66
; %bb.55:
	v_and_b32_e64 v0, 0xff, s25
	s_delay_alu instid0(VALU_DEP_1)
	v_cmp_gt_i16_e32 vcc_lo, 0x80, v0
	s_cbranch_vccnz .LBB143_58
; %bb.56:
	v_cmp_eq_u16_e32 vcc_lo, 0x80, v0
	s_cbranch_vccz .LBB143_59
; %bb.57:
	s_mov_b32 s16, 0
	s_movk_i32 s17, 0x7e00
	s_branch .LBB143_60
.LBB143_58:
	s_mov_b32 s19, -1
	s_mov_b32 s16, 0
                                        ; implicit-def: $sgpr17
	s_branch .LBB143_61
.LBB143_59:
	s_mov_b32 s16, -1
                                        ; implicit-def: $sgpr17
.LBB143_60:
	s_mov_b32 s19, 0
.LBB143_61:
	v_mov_b32_e32 v1, s17
	s_and_b32 vcc_lo, exec_lo, s19
	s_cbranch_vccz .LBB143_63
; %bb.62:
	v_and_b32_e32 v1, 0xffff, v0
	v_cmp_ne_u16_e64 s16, 0, v0
.LBB143_63:
	s_delay_alu instid0(VALU_DEP_1)
	s_and_not1_b32 vcc_lo, exec_lo, s16
	s_cbranch_vccnz .LBB143_65
; %bb.64:
	v_mov_b32_e32 v1, v15
.LBB143_65:
	global_store_b32 v[10:11], v1, off
.LBB143_66:
	s_mov_b32 s16, 0
.LBB143_67:
	s_delay_alu instid0(SALU_CYCLE_1)
	s_and_not1_b32 vcc_lo, exec_lo, s16
	s_cbranch_vccnz .LBB143_106
; %bb.68:
	v_cmp_gt_i16_e32 vcc_lo, 6, v13
	s_mov_b32 s16, -1
	s_cbranch_vccnz .LBB143_94
; %bb.69:
	v_cmp_lt_i16_e32 vcc_lo, 6, v13
	s_cbranch_vccz .LBB143_81
; %bb.70:
	v_and_b32_e64 v0, 0xff, s25
	s_delay_alu instid0(VALU_DEP_1)
	v_cmp_gt_i16_e32 vcc_lo, 0x80, v0
	s_cbranch_vccnz .LBB143_73
; %bb.71:
	v_cmp_eq_u16_e32 vcc_lo, 0x80, v0
	s_cbranch_vccz .LBB143_74
; %bb.72:
	s_mov_b32 s19, 0
	s_mov_b32 s17, 0x7ff80000
	s_brev_b32 s16, 4
	s_branch .LBB143_75
.LBB143_73:
	s_mov_b32 s34, -1
	s_mov_b32 s19, 0
                                        ; implicit-def: $sgpr16_sgpr17
	s_branch .LBB143_76
.LBB143_74:
	s_mov_b32 s19, -1
                                        ; implicit-def: $sgpr16_sgpr17
.LBB143_75:
	s_mov_b32 s34, 0
.LBB143_76:
	s_delay_alu instid0(SALU_CYCLE_1)
	s_and_b32 vcc_lo, exec_lo, s34
	s_cbranch_vccz .LBB143_78
; %bb.77:
	v_cmp_ne_u16_e64 s19, 0, v0
	s_mov_b64 s[16:17], 0
.LBB143_78:
	s_delay_alu instid0(SALU_CYCLE_1) | instskip(NEXT) | instid1(VALU_DEP_2)
	v_dual_mov_b32 v0, s16 :: v_dual_mov_b32 v1, s17
	s_and_not1_b32 vcc_lo, exec_lo, s19
	s_cbranch_vccnz .LBB143_80
; %bb.79:
	v_dual_mov_b32 v0, v6 :: v_dual_mov_b32 v1, v7
.LBB143_80:
	s_mov_b32 s16, 0
	global_store_b64 v[10:11], v[0:1], off
.LBB143_81:
	s_and_b32 vcc_lo, exec_lo, s16
	s_cbranch_vccz .LBB143_93
; %bb.82:
	v_and_b32_e64 v0, 0xff, s25
	s_delay_alu instid0(VALU_DEP_1)
	v_cmp_gt_i16_e32 vcc_lo, 0x80, v0
	s_cbranch_vccnz .LBB143_85
; %bb.83:
	v_cmp_eq_u16_e32 vcc_lo, 0x80, v0
	s_cbranch_vccz .LBB143_86
; %bb.84:
	s_mov_b32 s17, 0
	s_mov_b32 s16, 0x7f800001
	s_branch .LBB143_87
.LBB143_85:
	s_mov_b32 s19, -1
	s_mov_b32 s17, 0
                                        ; implicit-def: $sgpr16
	s_branch .LBB143_88
.LBB143_86:
	s_mov_b32 s17, -1
                                        ; implicit-def: $sgpr16
.LBB143_87:
	s_mov_b32 s19, 0
.LBB143_88:
	s_delay_alu instid0(SALU_CYCLE_1)
	s_and_b32 vcc_lo, exec_lo, s19
	s_cbranch_vccz .LBB143_90
; %bb.89:
	v_cmp_ne_u16_e64 s17, 0, v0
	s_mov_b32 s16, 0
.LBB143_90:
	s_delay_alu instid0(VALU_DEP_1)
	s_and_not1_b32 vcc_lo, exec_lo, s17
	s_cbranch_vccnz .LBB143_92
; %bb.91:
	s_mov_b32 s16, s26
.LBB143_92:
	s_delay_alu instid0(SALU_CYCLE_1)
	v_mov_b32_e32 v0, s16
	global_store_b32 v[10:11], v0, off
.LBB143_93:
	s_mov_b32 s16, 0
.LBB143_94:
	s_delay_alu instid0(SALU_CYCLE_1)
	s_and_not1_b32 vcc_lo, exec_lo, s16
	s_cbranch_vccnz .LBB143_106
; %bb.95:
	v_and_b32_e64 v0, 0xff, s25
	s_delay_alu instid0(VALU_DEP_1)
	v_cmp_gt_i16_e32 vcc_lo, 0x80, v0
	s_cbranch_vccnz .LBB143_98
; %bb.96:
	v_cmp_eq_u16_e32 vcc_lo, 0x80, v0
	s_cbranch_vccz .LBB143_99
; %bb.97:
	s_mov_b32 s16, 0
	s_movk_i32 s17, 0x7e00
	s_branch .LBB143_100
.LBB143_98:
	s_mov_b32 s19, -1
	s_mov_b32 s16, 0
                                        ; implicit-def: $sgpr17
	s_branch .LBB143_101
.LBB143_99:
	s_mov_b32 s16, -1
                                        ; implicit-def: $sgpr17
.LBB143_100:
	s_mov_b32 s19, 0
.LBB143_101:
	v_mov_b32_e32 v1, s17
	s_and_b32 vcc_lo, exec_lo, s19
	s_cbranch_vccz .LBB143_103
; %bb.102:
	v_cmp_ne_u16_e64 s16, 0, v0
	v_mov_b32_e32 v1, v0
.LBB143_103:
	s_delay_alu instid0(VALU_DEP_2)
	s_and_not1_b32 vcc_lo, exec_lo, s16
	s_cbranch_vccnz .LBB143_105
; %bb.104:
	v_mov_b32_e32 v1, v14
.LBB143_105:
	global_store_b16 v[10:11], v1, off
.LBB143_106:
	s_mov_b32 s16, 0
.LBB143_107:
	s_delay_alu instid0(SALU_CYCLE_1)
	s_and_not1_b32 vcc_lo, exec_lo, s16
	s_cbranch_vccnz .LBB143_158
; %bb.108:
	v_cmp_gt_i16_e32 vcc_lo, 2, v13
	s_mov_b32 s16, -1
	s_cbranch_vccnz .LBB143_139
; %bb.109:
	v_cmp_gt_i16_e32 vcc_lo, 3, v13
	s_cbranch_vccnz .LBB143_129
; %bb.110:
	v_cmp_lt_i16_e32 vcc_lo, 3, v13
	s_cbranch_vccz .LBB143_119
; %bb.111:
	v_and_b32_e64 v0, 0xff, s25
	s_delay_alu instid0(VALU_DEP_1)
	v_cmp_gt_i16_e32 vcc_lo, 0x80, v0
	s_cbranch_vccnz .LBB143_113
; %bb.112:
	v_cmp_ne_u16_e64 s19, 0x80, v0
	s_mov_b32 s34, 0
	s_mov_b64 s[16:17], 0
	s_branch .LBB143_114
.LBB143_113:
	s_mov_b32 s34, -1
	s_mov_b32 s19, 0
                                        ; implicit-def: $sgpr16_sgpr17
.LBB143_114:
	s_and_not1_b32 vcc_lo, exec_lo, s34
	s_cbranch_vccnz .LBB143_116
; %bb.115:
	v_cmp_ne_u16_e64 s19, 0, v0
	s_mov_b64 s[16:17], 0
.LBB143_116:
	s_delay_alu instid0(SALU_CYCLE_1) | instskip(NEXT) | instid1(VALU_DEP_2)
	v_dual_mov_b32 v0, s16 :: v_dual_mov_b32 v1, s17
	s_and_not1_b32 vcc_lo, exec_lo, s19
	s_cbranch_vccnz .LBB143_118
; %bb.117:
	v_dual_mov_b32 v0, v4 :: v_dual_mov_b32 v1, v5
.LBB143_118:
	s_mov_b32 s16, 0
	global_store_b64 v[10:11], v[0:1], off
.LBB143_119:
	s_and_b32 vcc_lo, exec_lo, s16
	s_cbranch_vccz .LBB143_128
; %bb.120:
	v_and_b32_e64 v0, 0xff, s25
	s_delay_alu instid0(VALU_DEP_1)
	v_cmp_gt_i16_e32 vcc_lo, 0x80, v0
	s_cbranch_vccnz .LBB143_122
; %bb.121:
	v_cmp_ne_u16_e64 s16, 0x80, v0
	s_mov_b32 s19, 0
	s_mov_b32 s17, 0
	s_branch .LBB143_123
.LBB143_122:
	s_mov_b32 s19, -1
	s_mov_b32 s16, 0
                                        ; implicit-def: $sgpr17
.LBB143_123:
	s_and_not1_b32 vcc_lo, exec_lo, s19
	s_cbranch_vccnz .LBB143_125
; %bb.124:
	v_cmp_ne_u16_e64 s16, 0, v0
	s_mov_b32 s17, 0
.LBB143_125:
	s_delay_alu instid0(SALU_CYCLE_1) | instskip(NEXT) | instid1(VALU_DEP_2)
	v_mov_b32_e32 v0, s17
	s_and_not1_b32 vcc_lo, exec_lo, s16
	s_cbranch_vccnz .LBB143_127
; %bb.126:
	v_mov_b32_e32 v0, v12
.LBB143_127:
	global_store_b32 v[10:11], v0, off
.LBB143_128:
	s_mov_b32 s16, 0
.LBB143_129:
	s_delay_alu instid0(SALU_CYCLE_1)
	s_and_not1_b32 vcc_lo, exec_lo, s16
	s_cbranch_vccnz .LBB143_138
; %bb.130:
	v_and_b32_e64 v0, 0xff, s25
	s_delay_alu instid0(VALU_DEP_1)
	v_cmp_gt_i16_e32 vcc_lo, 0x80, v0
	s_cbranch_vccnz .LBB143_132
; %bb.131:
	v_cmp_ne_u16_e64 s16, 0x80, v0
	s_mov_b32 s19, 0
	s_mov_b32 s17, 0
	s_branch .LBB143_133
.LBB143_132:
	s_mov_b32 s19, -1
	s_mov_b32 s16, 0
                                        ; implicit-def: $sgpr17
.LBB143_133:
	s_and_not1_b32 vcc_lo, exec_lo, s19
	s_cbranch_vccnz .LBB143_135
; %bb.134:
	v_cmp_ne_u16_e64 s16, 0, v0
	s_mov_b32 s17, 0
.LBB143_135:
	s_delay_alu instid0(SALU_CYCLE_1) | instskip(NEXT) | instid1(VALU_DEP_2)
	v_mov_b32_e32 v0, s17
	s_and_not1_b32 vcc_lo, exec_lo, s16
	s_cbranch_vccnz .LBB143_137
; %bb.136:
	v_mov_b32_e32 v0, v12
.LBB143_137:
	global_store_b16 v[10:11], v0, off
.LBB143_138:
	s_mov_b32 s16, 0
.LBB143_139:
	s_delay_alu instid0(SALU_CYCLE_1)
	s_and_not1_b32 vcc_lo, exec_lo, s16
	s_cbranch_vccnz .LBB143_158
; %bb.140:
	v_cmp_lt_i16_e32 vcc_lo, 0, v13
	s_mov_b32 s16, 0
	s_mov_b32 s17, -1
	s_cbranch_vccz .LBB143_149
; %bb.141:
	v_and_b32_e64 v0, 0xff, s25
	s_delay_alu instid0(VALU_DEP_1)
	v_cmp_gt_i16_e32 vcc_lo, 0x80, v0
	s_cbranch_vccnz .LBB143_143
; %bb.142:
	v_cmp_ne_u16_e64 s16, 0x80, v0
	s_mov_b32 s19, 0
	s_mov_b32 s17, 0
	s_branch .LBB143_144
.LBB143_143:
	s_mov_b32 s19, -1
                                        ; implicit-def: $sgpr17
.LBB143_144:
	s_delay_alu instid0(SALU_CYCLE_1)
	s_and_not1_b32 vcc_lo, exec_lo, s19
	s_cbranch_vccnz .LBB143_146
; %bb.145:
	v_cmp_ne_u16_e64 s16, 0, v0
	s_mov_b32 s17, 0
.LBB143_146:
	s_delay_alu instid0(SALU_CYCLE_1) | instskip(NEXT) | instid1(VALU_DEP_2)
	v_mov_b32_e32 v0, s17
	s_and_not1_b32 vcc_lo, exec_lo, s16
	s_cbranch_vccnz .LBB143_148
; %bb.147:
	v_mov_b32_e32 v0, v12
.LBB143_148:
	s_mov_b32 s17, 0
	global_store_b8 v[10:11], v0, off
.LBB143_149:
	s_and_b32 vcc_lo, exec_lo, s17
	s_cbranch_vccz .LBB143_158
; %bb.150:
	v_and_b32_e64 v0, 0xff, s25
	s_delay_alu instid0(VALU_DEP_1)
	v_cmp_gt_i16_e32 vcc_lo, 0x80, v0
	s_cbranch_vccnz .LBB143_152
; %bb.151:
	v_cmp_ne_u16_e64 s16, 0x80, v0
	s_mov_b32 s19, 0
	s_mov_b32 s17, 0
	s_branch .LBB143_153
.LBB143_152:
	s_mov_b32 s19, -1
	s_mov_b32 s16, 0
                                        ; implicit-def: $sgpr17
.LBB143_153:
	s_and_not1_b32 vcc_lo, exec_lo, s19
	s_cbranch_vccnz .LBB143_155
; %bb.154:
	v_cmp_ne_u16_e64 s16, 0, v0
	s_mov_b32 s17, 0
.LBB143_155:
	s_delay_alu instid0(SALU_CYCLE_1) | instskip(NEXT) | instid1(VALU_DEP_2)
	v_mov_b32_e32 v0, s17
	s_and_not1_b32 vcc_lo, exec_lo, s16
	s_cbranch_vccnz .LBB143_157
; %bb.156:
	v_mov_b32_e32 v0, v4
.LBB143_157:
	global_store_b8 v[10:11], v0, off
.LBB143_158:
	s_branch .LBB143_318
.LBB143_159:
	s_mov_b32 s16, 0
                                        ; implicit-def: $vgpr16
	s_branch .LBB143_319
.LBB143_160:
                                        ; implicit-def: $sgpr16
.LBB143_161:
	s_mov_b32 s19, 0
.LBB143_162:
	s_delay_alu instid0(SALU_CYCLE_1)
	s_and_b32 vcc_lo, exec_lo, s19
	s_cbranch_vccz .LBB143_164
; %bb.163:
	v_cmp_ne_u16_e64 s18, 0, v0
	s_mov_b32 s16, 0
.LBB143_164:
	s_delay_alu instid0(VALU_DEP_1)
	s_and_not1_b32 vcc_lo, exec_lo, s18
	s_cbranch_vccnz .LBB143_166
; %bb.165:
	s_mov_b32 s16, s26
.LBB143_166:
	s_delay_alu instid0(SALU_CYCLE_1) | instskip(NEXT) | instid1(SALU_CYCLE_1)
	s_bfe_u32 s18, s16, 0x10010
	s_add_i32 s18, s16, s18
	v_cmp_o_f32_e64 s16, s16, s16
	s_addk_i32 s18, 0x7fff
	s_delay_alu instid0(SALU_CYCLE_1) | instskip(NEXT) | instid1(VALU_DEP_1)
	s_lshr_b32 s18, s18, 16
	s_and_b32 s16, s16, exec_lo
	s_cselect_b32 s16, s18, 0x7fc0
	s_mov_b32 s18, 0
	v_mov_b32_e32 v0, s16
	s_mov_b32 s16, -1
	global_store_b32 v[10:11], v0, off
.LBB143_167:
	s_and_b32 vcc_lo, exec_lo, s17
	s_cbranch_vccz .LBB143_180
; %bb.168:
	v_cmp_eq_u16_e32 vcc_lo, 44, v13
	s_mov_b32 s18, -1
	s_cbranch_vccz .LBB143_180
; %bb.169:
	v_and_b32_e64 v0, 0xff, s25
	s_delay_alu instid0(VALU_DEP_1)
	v_cmp_gt_i16_e32 vcc_lo, 0x80, v0
	v_readfirstlane_b32 s17, v0
	s_cbranch_vccnz .LBB143_172
; %bb.170:
	s_delay_alu instid0(VALU_DEP_1) | instskip(NEXT) | instid1(VALU_DEP_1)
	v_cmp_eq_u16_e64 s16, 0x80, s17
	s_and_b32 vcc_lo, exec_lo, s16
	s_cbranch_vccz .LBB143_173
; %bb.171:
	s_mov_b32 s18, 0
	s_mov_b32 s16, 0x7f800001
	s_branch .LBB143_174
.LBB143_172:
	s_mov_b32 s19, -1
	s_mov_b32 s18, 0
                                        ; implicit-def: $sgpr16
	s_branch .LBB143_175
.LBB143_173:
                                        ; implicit-def: $sgpr16
.LBB143_174:
	s_mov_b32 s19, 0
.LBB143_175:
	s_delay_alu instid0(SALU_CYCLE_1)
	s_and_b32 vcc_lo, exec_lo, s19
	s_cbranch_vccz .LBB143_185
; %bb.176:
	v_cmp_ne_u16_e64 s18, s17, 0
	s_and_b32 s16, 0xffff, s17
	s_delay_alu instid0(VALU_DEP_1)
	s_and_not1_b32 vcc_lo, exec_lo, s18
	s_cbranch_vccz .LBB143_186
.LBB143_177:
	v_mov_b32_e32 v0, 0xff
	s_bfe_u32 s17, s16, 0x80017
	s_delay_alu instid0(SALU_CYCLE_1)
	s_cmpk_eq_i32 s17, 0xff
	s_cbranch_scc1 .LBB143_179
.LBB143_178:
	s_lshr_b32 s18, s16, 23
	s_bitcmp1_b32 s16, 22
	s_cselect_b32 s19, -1, 0
	s_and_b32 s16, s16, 0x3fffff
	s_delay_alu instid0(SALU_CYCLE_1) | instskip(NEXT) | instid1(SALU_CYCLE_1)
	s_or_b32 s16, s17, s16
	s_cmp_lg_u32 s16, 0
	s_cselect_b32 s16, -1, 0
	s_delay_alu instid0(SALU_CYCLE_1) | instskip(NEXT) | instid1(SALU_CYCLE_1)
	s_and_b32 s16, s19, s16
	v_cndmask_b32_e64 v0, 0, 1, s16
	s_delay_alu instid0(VALU_DEP_1)
	v_add_nc_u32_e32 v0, s18, v0
.LBB143_179:
	s_mov_b32 s16, -1
	s_mov_b32 s18, 0
	global_store_b8 v[10:11], v0, off
.LBB143_180:
	s_mov_b32 s17, 0
.LBB143_181:
	s_delay_alu instid0(SALU_CYCLE_1)
	s_and_b32 vcc_lo, exec_lo, s17
	s_cbranch_vccz .LBB143_193
; %bb.182:
	v_cmp_eq_u16_e32 vcc_lo, 29, v13
	s_mov_b32 s18, -1
	s_cbranch_vccz .LBB143_193
; %bb.183:
	v_and_b32_e64 v0, 0xff, s25
	s_delay_alu instid0(VALU_DEP_1)
	v_cmp_gt_i16_e32 vcc_lo, 0x80, v0
	s_cbranch_vccnz .LBB143_187
; %bb.184:
	v_cmp_ne_u16_e64 s18, 0x80, v0
	s_mov_b32 s19, 0
	s_mov_b64 s[16:17], 0
	s_branch .LBB143_188
.LBB143_185:
	s_and_not1_b32 vcc_lo, exec_lo, s18
	s_cbranch_vccnz .LBB143_177
.LBB143_186:
	s_mov_b32 s16, s28
	v_mov_b32_e32 v0, 0xff
	s_bfe_u32 s17, s16, 0x80017
	s_delay_alu instid0(SALU_CYCLE_1)
	s_cmpk_eq_i32 s17, 0xff
	s_cbranch_scc0 .LBB143_178
	s_branch .LBB143_179
.LBB143_187:
	s_mov_b32 s19, -1
	s_mov_b32 s18, 0
                                        ; implicit-def: $sgpr16_sgpr17
.LBB143_188:
	s_and_not1_b32 vcc_lo, exec_lo, s19
	s_cbranch_vccnz .LBB143_190
; %bb.189:
	v_cmp_ne_u16_e64 s18, 0, v0
	s_mov_b64 s[16:17], 0
.LBB143_190:
	s_delay_alu instid0(SALU_CYCLE_1) | instskip(NEXT) | instid1(VALU_DEP_2)
	v_dual_mov_b32 v0, s16 :: v_dual_mov_b32 v1, s17
	s_and_not1_b32 vcc_lo, exec_lo, s18
	s_cbranch_vccnz .LBB143_192
; %bb.191:
	v_dual_mov_b32 v0, v8 :: v_dual_mov_b32 v1, v9
.LBB143_192:
	s_mov_b32 s16, -1
	s_mov_b32 s18, 0
	global_store_b64 v[10:11], v[0:1], off
.LBB143_193:
	s_mov_b32 s17, 0
.LBB143_194:
	s_delay_alu instid0(SALU_CYCLE_1)
	s_and_b32 vcc_lo, exec_lo, s17
	s_cbranch_vccz .LBB143_218
; %bb.195:
	v_cmp_gt_i16_e32 vcc_lo, 27, v13
	s_mov_b32 s16, -1
	s_cbranch_vccnz .LBB143_215
; %bb.196:
	v_cmp_lt_i16_e32 vcc_lo, 27, v13
	s_cbranch_vccz .LBB143_205
; %bb.197:
	v_and_b32_e64 v0, 0xff, s25
	s_delay_alu instid0(VALU_DEP_1)
	v_cmp_gt_i16_e32 vcc_lo, 0x80, v0
	s_cbranch_vccnz .LBB143_199
; %bb.198:
	v_cmp_ne_u16_e64 s16, 0x80, v0
	s_mov_b32 s19, 0
	s_mov_b32 s17, 0
	s_branch .LBB143_200
.LBB143_199:
	s_mov_b32 s19, -1
	s_mov_b32 s16, 0
                                        ; implicit-def: $sgpr17
.LBB143_200:
	s_and_not1_b32 vcc_lo, exec_lo, s19
	s_cbranch_vccnz .LBB143_202
; %bb.201:
	v_cmp_ne_u16_e64 s16, 0, v0
	s_mov_b32 s17, 0
.LBB143_202:
	s_delay_alu instid0(SALU_CYCLE_1) | instskip(NEXT) | instid1(VALU_DEP_2)
	v_mov_b32_e32 v0, s17
	s_and_not1_b32 vcc_lo, exec_lo, s16
	s_cbranch_vccnz .LBB143_204
; %bb.203:
	v_mov_b32_e32 v0, v17
.LBB143_204:
	s_mov_b32 s16, 0
	global_store_b32 v[10:11], v0, off
.LBB143_205:
	s_and_b32 vcc_lo, exec_lo, s16
	s_cbranch_vccz .LBB143_214
; %bb.206:
	v_and_b32_e64 v0, 0xff, s25
	s_delay_alu instid0(VALU_DEP_1)
	v_cmp_gt_i16_e32 vcc_lo, 0x80, v0
	s_cbranch_vccnz .LBB143_208
; %bb.207:
	v_cmp_ne_u16_e64 s16, 0x80, v0
	s_mov_b32 s19, 0
	s_mov_b32 s17, 0
	s_branch .LBB143_209
.LBB143_208:
	s_mov_b32 s19, -1
	s_mov_b32 s16, 0
                                        ; implicit-def: $sgpr17
.LBB143_209:
	s_and_not1_b32 vcc_lo, exec_lo, s19
	s_cbranch_vccnz .LBB143_211
; %bb.210:
	v_cmp_ne_u16_e64 s16, 0, v0
	s_mov_b32 s17, 0
.LBB143_211:
	s_delay_alu instid0(SALU_CYCLE_1) | instskip(NEXT) | instid1(VALU_DEP_2)
	v_mov_b32_e32 v0, s17
	s_and_not1_b32 vcc_lo, exec_lo, s16
	s_cbranch_vccnz .LBB143_213
; %bb.212:
	v_mov_b32_e32 v0, v17
.LBB143_213:
	global_store_b16 v[10:11], v0, off
.LBB143_214:
	s_mov_b32 s16, 0
.LBB143_215:
	s_delay_alu instid0(SALU_CYCLE_1)
	s_and_not1_b32 vcc_lo, exec_lo, s16
	s_cbranch_vccnz .LBB143_217
; %bb.216:
	v_mov_b32_e32 v0, s25
	global_store_b8 v[10:11], v0, off
.LBB143_217:
	s_mov_b32 s16, -1
.LBB143_218:
	s_mov_b32 s17, 0
.LBB143_219:
	s_delay_alu instid0(SALU_CYCLE_1)
	s_and_b32 vcc_lo, exec_lo, s17
	s_cbranch_vccz .LBB143_316
; %bb.220:
	v_cmp_lt_i16_e32 vcc_lo, 22, v13
	s_mov_b32 s17, -1
	s_cbranch_vccz .LBB143_288
; %bb.221:
	v_cmp_gt_i16_e32 vcc_lo, 24, v13
	s_mov_b32 s16, -1
	s_cbranch_vccnz .LBB143_265
; %bb.222:
	v_cmp_lt_i16_e32 vcc_lo, 24, v13
	s_cbranch_vccz .LBB143_242
; %bb.223:
	v_and_b32_e64 v0, 0xff, s25
	s_delay_alu instid0(VALU_DEP_1)
	v_cmp_gt_i16_e32 vcc_lo, 0x80, v0
	s_cbranch_vccnz .LBB143_226
; %bb.224:
	v_cmp_eq_u16_e32 vcc_lo, 0x80, v0
	s_cbranch_vccz .LBB143_227
; %bb.225:
	s_mov_b32 s17, 0
	s_mov_b32 s16, 0x7f800001
	s_branch .LBB143_228
.LBB143_226:
	s_mov_b32 s19, -1
	s_mov_b32 s17, 0
                                        ; implicit-def: $sgpr16
	s_branch .LBB143_229
.LBB143_227:
                                        ; implicit-def: $sgpr16
.LBB143_228:
	s_mov_b32 s19, 0
.LBB143_229:
	s_delay_alu instid0(SALU_CYCLE_1)
	s_and_b32 vcc_lo, exec_lo, s19
	s_cbranch_vccz .LBB143_232
; %bb.230:
	v_cmp_ne_u16_e64 s17, 0, v0
	s_mov_b32 s16, 0
	s_delay_alu instid0(VALU_DEP_1)
	s_and_not1_b32 vcc_lo, exec_lo, s17
	s_cbranch_vccz .LBB143_233
.LBB143_231:
	v_mov_b32_e32 v1, 0x80
	s_and_b32 s17, s16, 0x7fffffff
	s_delay_alu instid0(SALU_CYCLE_1)
	s_cmp_gt_u32 s17, 0x477fffff
	s_cbranch_scc0 .LBB143_234
	s_branch .LBB143_241
.LBB143_232:
	s_and_not1_b32 vcc_lo, exec_lo, s17
	s_cbranch_vccnz .LBB143_231
.LBB143_233:
	s_mov_b32 s16, s26
	v_mov_b32_e32 v1, 0x80
	s_and_b32 s17, s16, 0x7fffffff
	s_delay_alu instid0(SALU_CYCLE_1)
	s_cmp_gt_u32 s17, 0x477fffff
	s_cbranch_scc1 .LBB143_241
.LBB143_234:
	s_cmp_gt_u32 s17, 0x37ffffff
	s_cbranch_scc0 .LBB143_236
; %bb.235:
	s_bfe_u32 s17, s16, 0x10015
	s_mov_b32 s19, 0
	s_add_i32 s17, s16, s17
	s_delay_alu instid0(SALU_CYCLE_1) | instskip(NEXT) | instid1(SALU_CYCLE_1)
	s_add_i32 s17, s17, 0x88fffff
	s_lshr_b32 s34, s17, 21
	s_mov_b32 s17, -1
	s_branch .LBB143_237
.LBB143_236:
	s_mov_b32 s19, -1
	s_mov_b32 s17, 0
                                        ; implicit-def: $sgpr34
.LBB143_237:
	v_mov_b32_e32 v0, s34
	s_and_not1_b32 vcc_lo, exec_lo, s19
                                        ; implicit-def: $sgpr19
	s_cbranch_vccnz .LBB143_239
; %bb.238:
	v_add_f32_e64 v0, 0x42800000, |s16|
	s_mov_b32 s19, 0
	s_delay_alu instid0(VALU_DEP_1) | instskip(NEXT) | instid1(VALU_DEP_1)
	v_and_b32_e32 v0, 0xff, v0
	v_cmp_ne_u32_e64 s17, 0, v0
.LBB143_239:
	v_mov_b32_e32 v1, s19
	s_delay_alu instid0(VALU_DEP_2)
	s_and_not1_b32 vcc_lo, exec_lo, s17
	s_cbranch_vccnz .LBB143_241
; %bb.240:
	s_lshr_b32 s16, s16, 24
	s_delay_alu instid0(SALU_CYCLE_1) | instskip(NEXT) | instid1(SALU_CYCLE_1)
	s_and_b32 s16, s16, 0x80
	v_or_b32_e32 v1, s16, v0
.LBB143_241:
	s_mov_b32 s16, 0
	global_store_b8 v[10:11], v1, off
.LBB143_242:
	s_and_b32 vcc_lo, exec_lo, s16
	s_cbranch_vccz .LBB143_264
; %bb.243:
	v_and_b32_e64 v0, 0xff, s25
	s_delay_alu instid0(VALU_DEP_1)
	v_cmp_gt_i16_e32 vcc_lo, 0x80, v0
	s_cbranch_vccnz .LBB143_246
; %bb.244:
	v_cmp_eq_u16_e32 vcc_lo, 0x80, v0
	s_cbranch_vccz .LBB143_247
; %bb.245:
	s_mov_b32 s17, 0
	s_mov_b32 s16, 0x7f800001
	s_branch .LBB143_248
.LBB143_246:
	s_mov_b32 s19, -1
	s_mov_b32 s17, 0
                                        ; implicit-def: $sgpr16
	s_branch .LBB143_249
.LBB143_247:
	s_mov_b32 s17, -1
                                        ; implicit-def: $sgpr16
.LBB143_248:
	s_mov_b32 s19, 0
.LBB143_249:
	s_delay_alu instid0(SALU_CYCLE_1)
	s_and_b32 vcc_lo, exec_lo, s19
	s_cbranch_vccz .LBB143_254
; %bb.250:
	v_cmp_ne_u16_e64 s17, 0, v0
	s_mov_b32 s16, 0
	s_delay_alu instid0(VALU_DEP_1)
	s_and_not1_b32 vcc_lo, exec_lo, s17
	s_cbranch_vccz .LBB143_255
.LBB143_251:
	s_and_b32 s17, s16, 0x7fffffff
	s_delay_alu instid0(SALU_CYCLE_1)
	s_cmp_lt_u32 s17, 0x43f00000
	s_cbranch_scc0 .LBB143_256
.LBB143_252:
	s_cmp_gt_u32 s17, 0x3c7fffff
	s_cbranch_scc0 .LBB143_257
; %bb.253:
	s_bfe_u32 s19, s16, 0x10014
	s_delay_alu instid0(SALU_CYCLE_1) | instskip(NEXT) | instid1(SALU_CYCLE_1)
	s_add_i32 s19, s16, s19
	s_add_i32 s19, s19, 0x407ffff
	s_delay_alu instid0(SALU_CYCLE_1)
	s_and_b32 s34, s19, 0xff00000
	s_lshr_b32 s19, s19, 20
	s_cmp_lg_u32 s34, 0x7f00000
	s_cselect_b32 s34, s19, 0x7e
	s_mov_b32 s19, 0
	s_branch .LBB143_258
.LBB143_254:
	s_and_not1_b32 vcc_lo, exec_lo, s17
	s_cbranch_vccnz .LBB143_251
.LBB143_255:
	s_mov_b32 s16, s26
	s_delay_alu instid0(SALU_CYCLE_1) | instskip(NEXT) | instid1(SALU_CYCLE_1)
	s_and_b32 s17, s16, 0x7fffffff
	s_cmp_lt_u32 s17, 0x43f00000
	s_cbranch_scc1 .LBB143_252
.LBB143_256:
	s_mov_b32 s19, -1
                                        ; implicit-def: $vgpr0
	s_branch .LBB143_261
.LBB143_257:
	s_mov_b32 s19, -1
                                        ; implicit-def: $sgpr34
.LBB143_258:
	v_mov_b32_e32 v0, s34
	s_and_not1_b32 vcc_lo, exec_lo, s19
	s_cbranch_vccnz .LBB143_260
; %bb.259:
	v_add_f32_e64 v0, 0x46800000, |s16|
.LBB143_260:
	s_mov_b32 s19, 0
.LBB143_261:
	s_delay_alu instid0(SALU_CYCLE_1)
	s_and_not1_b32 vcc_lo, exec_lo, s19
	s_cbranch_vccnz .LBB143_263
; %bb.262:
	s_cmp_gt_u32 s17, 0x7f800000
	s_movk_i32 s17, 0x7f
	s_delay_alu instid0(SALU_CYCLE_1) | instskip(NEXT) | instid1(SALU_CYCLE_1)
	s_cselect_b32 s17, s17, 0x7e
	v_mov_b32_e32 v0, s17
.LBB143_263:
	s_lshr_b32 s16, s16, 24
	s_delay_alu instid0(SALU_CYCLE_1)
	s_and_b32 s16, s16, 0x80
	s_delay_alu instid0(VALU_DEP_1) | instid1(SALU_CYCLE_1)
	v_or_b32_e32 v0, s16, v0
	global_store_b8 v[10:11], v0, off
.LBB143_264:
	s_mov_b32 s16, 0
.LBB143_265:
	s_delay_alu instid0(SALU_CYCLE_1)
	s_and_not1_b32 vcc_lo, exec_lo, s16
	s_cbranch_vccnz .LBB143_287
; %bb.266:
	v_and_b32_e64 v0, 0xff, s25
	s_delay_alu instid0(VALU_DEP_1)
	v_cmp_gt_i16_e32 vcc_lo, 0x80, v0
	s_cbranch_vccnz .LBB143_269
; %bb.267:
	v_cmp_eq_u16_e32 vcc_lo, 0x80, v0
	s_cbranch_vccz .LBB143_270
; %bb.268:
	s_mov_b32 s17, 0
	s_mov_b32 s16, 0x7f800001
	s_branch .LBB143_271
.LBB143_269:
	s_mov_b32 s19, -1
	s_mov_b32 s17, 0
                                        ; implicit-def: $sgpr16
	s_branch .LBB143_272
.LBB143_270:
	s_mov_b32 s17, -1
                                        ; implicit-def: $sgpr16
.LBB143_271:
	s_mov_b32 s19, 0
.LBB143_272:
	s_delay_alu instid0(SALU_CYCLE_1)
	s_and_b32 vcc_lo, exec_lo, s19
	s_cbranch_vccz .LBB143_277
; %bb.273:
	v_cmp_ne_u16_e64 s17, 0, v0
	s_mov_b32 s16, 0
	s_delay_alu instid0(VALU_DEP_1)
	s_and_not1_b32 vcc_lo, exec_lo, s17
	s_cbranch_vccz .LBB143_278
.LBB143_274:
	s_and_b32 s17, s16, 0x7fffffff
	s_delay_alu instid0(SALU_CYCLE_1)
	s_cmp_lt_u32 s17, 0x47800000
	s_cbranch_scc0 .LBB143_279
.LBB143_275:
	s_cmp_gt_u32 s17, 0x387fffff
	s_cbranch_scc0 .LBB143_280
; %bb.276:
	s_bfe_u32 s19, s16, 0x10015
	s_delay_alu instid0(SALU_CYCLE_1) | instskip(NEXT) | instid1(SALU_CYCLE_1)
	s_add_i32 s19, s16, s19
	s_add_i32 s19, s19, 0x80fffff
	s_delay_alu instid0(SALU_CYCLE_1)
	s_lshr_b32 s34, s19, 21
	s_mov_b32 s19, 0
	s_branch .LBB143_281
.LBB143_277:
	s_and_not1_b32 vcc_lo, exec_lo, s17
	s_cbranch_vccnz .LBB143_274
.LBB143_278:
	s_mov_b32 s16, s26
	s_delay_alu instid0(SALU_CYCLE_1) | instskip(NEXT) | instid1(SALU_CYCLE_1)
	s_and_b32 s17, s16, 0x7fffffff
	s_cmp_lt_u32 s17, 0x47800000
	s_cbranch_scc1 .LBB143_275
.LBB143_279:
	s_mov_b32 s19, -1
                                        ; implicit-def: $vgpr0
	s_branch .LBB143_284
.LBB143_280:
	s_mov_b32 s19, -1
                                        ; implicit-def: $sgpr34
.LBB143_281:
	v_mov_b32_e32 v0, s34
	s_and_not1_b32 vcc_lo, exec_lo, s19
	s_cbranch_vccnz .LBB143_283
; %bb.282:
	v_add_f32_e64 v0, 0x43000000, |s16|
.LBB143_283:
	s_mov_b32 s19, 0
.LBB143_284:
	s_delay_alu instid0(SALU_CYCLE_1)
	s_and_not1_b32 vcc_lo, exec_lo, s19
	s_cbranch_vccnz .LBB143_286
; %bb.285:
	s_cmp_gt_u32 s17, 0x7f800000
	s_movk_i32 s17, 0x7f
	s_delay_alu instid0(SALU_CYCLE_1) | instskip(NEXT) | instid1(SALU_CYCLE_1)
	s_cselect_b32 s17, s17, 0x7c
	v_mov_b32_e32 v0, s17
.LBB143_286:
	s_lshr_b32 s16, s16, 24
	s_delay_alu instid0(SALU_CYCLE_1)
	s_and_b32 s16, s16, 0x80
	s_delay_alu instid0(VALU_DEP_1) | instid1(SALU_CYCLE_1)
	v_or_b32_e32 v0, s16, v0
	global_store_b8 v[10:11], v0, off
.LBB143_287:
	s_mov_b32 s17, 0
	s_mov_b32 s16, -1
.LBB143_288:
	s_and_not1_b32 vcc_lo, exec_lo, s17
	s_cbranch_vccnz .LBB143_316
; %bb.289:
	v_cmp_lt_i16_e32 vcc_lo, 14, v13
	s_mov_b32 s17, -1
	s_cbranch_vccz .LBB143_303
; %bb.290:
	v_cmp_eq_u16_e32 vcc_lo, 15, v13
	s_mov_b32 s18, -1
	s_cbranch_vccz .LBB143_302
; %bb.291:
	v_and_b32_e64 v0, 0xff, s25
	s_delay_alu instid0(VALU_DEP_1)
	v_cmp_gt_i16_e32 vcc_lo, 0x80, v0
	s_cbranch_vccnz .LBB143_294
; %bb.292:
	v_cmp_eq_u16_e32 vcc_lo, 0x80, v0
	s_cbranch_vccz .LBB143_295
; %bb.293:
	s_mov_b32 s17, 0
	s_mov_b32 s16, 0x7f800001
	s_branch .LBB143_296
.LBB143_294:
	s_mov_b32 s17, 0
                                        ; implicit-def: $sgpr16
	s_branch .LBB143_297
.LBB143_295:
                                        ; implicit-def: $sgpr16
.LBB143_296:
	s_mov_b32 s18, 0
.LBB143_297:
	s_delay_alu instid0(SALU_CYCLE_1)
	s_and_b32 vcc_lo, exec_lo, s18
	s_cbranch_vccz .LBB143_299
; %bb.298:
	v_cmp_ne_u16_e64 s17, 0, v0
	s_mov_b32 s16, 0
.LBB143_299:
	s_delay_alu instid0(VALU_DEP_1)
	s_and_not1_b32 vcc_lo, exec_lo, s17
	s_cbranch_vccnz .LBB143_301
; %bb.300:
	s_mov_b32 s16, s26
.LBB143_301:
	s_delay_alu instid0(SALU_CYCLE_1) | instskip(SKIP_4) | instid1(SALU_CYCLE_1)
	s_bfe_u32 s17, s16, 0x10010
	s_mov_b32 s18, 0
	s_add_i32 s17, s16, s17
	v_cmp_o_f32_e64 s16, s16, s16
	s_addk_i32 s17, 0x7fff
	s_lshr_b32 s17, s17, 16
	s_delay_alu instid0(VALU_DEP_1) | instskip(SKIP_1) | instid1(SALU_CYCLE_1)
	s_and_b32 s16, s16, exec_lo
	s_cselect_b32 s16, s17, 0x7fc0
	v_mov_b32_e32 v0, s16
	s_mov_b32 s16, -1
	global_store_b16 v[10:11], v0, off
.LBB143_302:
	s_mov_b32 s17, 0
.LBB143_303:
	s_delay_alu instid0(SALU_CYCLE_1)
	s_and_b32 vcc_lo, exec_lo, s17
	s_cbranch_vccz .LBB143_316
; %bb.304:
	v_cmp_eq_u16_e32 vcc_lo, 11, v13
	s_mov_b32 s18, -1
	s_cbranch_vccz .LBB143_316
; %bb.305:
	v_and_b32_e64 v0, 0xff, s25
	s_delay_alu instid0(VALU_DEP_1)
	v_cmp_gt_i16_e32 vcc_lo, 0x80, v0
	s_cbranch_vccnz .LBB143_308
; %bb.306:
	v_cmp_eq_u16_e32 vcc_lo, 0x80, v0
	s_cbranch_vccz .LBB143_309
; %bb.307:
	s_mov_b32 s17, 0
	s_mov_b32 s16, -1
	s_branch .LBB143_310
.LBB143_308:
	s_mov_b32 s17, 0
                                        ; implicit-def: $sgpr16
	s_branch .LBB143_311
.LBB143_309:
	s_mov_b32 s17, -1
                                        ; implicit-def: $sgpr16
.LBB143_310:
	s_mov_b32 s18, 0
.LBB143_311:
	s_delay_alu instid0(SALU_CYCLE_1)
	s_and_b32 vcc_lo, exec_lo, s18
	s_cbranch_vccz .LBB143_313
; %bb.312:
	v_cmp_ne_u16_e64 s17, 0, v0
	s_mov_b32 s16, 0
.LBB143_313:
	s_delay_alu instid0(VALU_DEP_1)
	s_and_not1_b32 vcc_lo, exec_lo, s17
	s_cbranch_vccnz .LBB143_315
; %bb.314:
	s_mov_b32 s16, s27
.LBB143_315:
	s_delay_alu instid0(SALU_CYCLE_1)
	v_cndmask_b32_e64 v0, 0, 1, s16
	s_mov_b32 s16, -1
	s_mov_b32 s18, 0
	global_store_b8 v[10:11], v0, off
.LBB143_316:
.LBB143_317:
	s_and_not1_b32 vcc_lo, exec_lo, s16
	s_cbranch_vccnz .LBB143_159
.LBB143_318:
	v_add_nc_u32_e32 v16, 0x80, v16
	s_mov_b32 s16, -1
.LBB143_319:
	s_and_b32 s34, s18, exec_lo
	s_or_not1_b32 s16, s16, exec_lo
.LBB143_320:
	s_or_b32 exec_lo, exec_lo, s35
	s_mov_b32 s17, 0
                                        ; implicit-def: $vgpr10_vgpr11
	s_and_saveexec_b32 s35, s16
	s_cbranch_execz .LBB143_327
; %bb.321:
	s_mov_b32 s18, -1
	s_mov_b32 s36, s34
	s_mov_b32 s37, exec_lo
	v_cmpx_gt_i32_e64 s30, v16
	s_cbranch_execz .LBB143_1466
; %bb.322:
	s_and_not1_b32 vcc_lo, exec_lo, s23
	s_cbranch_vccnz .LBB143_345
; %bb.323:
	v_mov_b32_e32 v0, 0
	s_and_not1_b32 vcc_lo, exec_lo, s33
	s_cbranch_vccnz .LBB143_351
; %bb.324:
	s_add_i32 s38, s31, 1
	s_cmp_eq_u32 s21, 2
	s_mov_b32 s36, 0
	s_cbranch_scc1 .LBB143_347
; %bb.325:
	v_dual_mov_b32 v0, 0 :: v_dual_mov_b32 v1, v16
	s_and_b32 s36, s38, 28
	s_mov_b32 s39, 0
	s_mov_b64 s[16:17], s[2:3]
	s_mov_b64 s[18:19], s[14:15]
.LBB143_326:                            ; =>This Inner Loop Header: Depth=1
	s_clause 0x1
	s_load_b256 s[40:47], s[16:17], 0x4
	s_load_b128 s[48:51], s[16:17], 0x24
	s_load_b128 s[52:55], s[18:19], 0x0
	s_add_u32 s16, s16, 48
	s_addc_u32 s17, s17, 0
	s_add_i32 s39, s39, 4
	s_add_u32 s18, s18, 16
	s_addc_u32 s19, s19, 0
	s_cmp_eq_u32 s36, s39
	s_waitcnt lgkmcnt(0)
	v_mul_hi_u32 v2, s41, v1
	s_delay_alu instid0(VALU_DEP_1) | instskip(NEXT) | instid1(VALU_DEP_1)
	v_add_nc_u32_e32 v2, v1, v2
	v_lshrrev_b32_e32 v2, s42, v2
	s_delay_alu instid0(VALU_DEP_1) | instskip(SKIP_1) | instid1(VALU_DEP_2)
	v_mul_hi_u32 v3, s44, v2
	v_mul_lo_u32 v18, v2, s40
	v_add_nc_u32_e32 v3, v2, v3
	s_delay_alu instid0(VALU_DEP_2) | instskip(NEXT) | instid1(VALU_DEP_2)
	v_sub_nc_u32_e32 v18, v1, v18
	v_lshrrev_b32_e32 v3, s45, v3
	s_delay_alu instid0(VALU_DEP_2) | instskip(NEXT) | instid1(VALU_DEP_2)
	v_mul_lo_u32 v18, v18, s52
	v_mul_hi_u32 v10, s47, v3
	v_mul_lo_u32 v19, v3, s43
	s_delay_alu instid0(VALU_DEP_2) | instskip(NEXT) | instid1(VALU_DEP_2)
	v_add_nc_u32_e32 v10, v3, v10
	v_sub_nc_u32_e32 v2, v2, v19
	s_delay_alu instid0(VALU_DEP_2) | instskip(NEXT) | instid1(VALU_DEP_2)
	v_lshrrev_b32_e32 v10, s48, v10
	v_mul_lo_u32 v2, v2, s53
	s_delay_alu instid0(VALU_DEP_2) | instskip(NEXT) | instid1(VALU_DEP_2)
	v_mul_hi_u32 v11, s50, v10
	v_add3_u32 v0, v18, v0, v2
	s_delay_alu instid0(VALU_DEP_2) | instskip(NEXT) | instid1(VALU_DEP_1)
	v_add_nc_u32_e32 v11, v10, v11
	v_lshrrev_b32_e32 v1, s51, v11
	v_mul_lo_u32 v11, v10, s46
	s_delay_alu instid0(VALU_DEP_2) | instskip(NEXT) | instid1(VALU_DEP_2)
	v_mul_lo_u32 v20, v1, s49
	v_sub_nc_u32_e32 v3, v3, v11
	s_delay_alu instid0(VALU_DEP_2) | instskip(NEXT) | instid1(VALU_DEP_2)
	v_sub_nc_u32_e32 v10, v10, v20
	v_mul_lo_u32 v3, v3, s54
	s_delay_alu instid0(VALU_DEP_2) | instskip(NEXT) | instid1(VALU_DEP_1)
	v_mul_lo_u32 v10, v10, s55
	v_add3_u32 v0, v3, v0, v10
	s_cbranch_scc0 .LBB143_326
	s_branch .LBB143_348
.LBB143_327:
	s_or_b32 exec_lo, exec_lo, s35
	s_waitcnt lgkmcnt(0)
	s_mov_b32 s6, 0
	s_and_saveexec_b32 s4, s34
	s_cbranch_execnz .LBB143_2572
.LBB143_328:
	s_or_b32 exec_lo, exec_lo, s4
	s_and_saveexec_b32 s4, s36
	s_cbranch_execz .LBB143_337
.LBB143_329:
	v_and_b32_e64 v0, 0xff, s25
	s_delay_alu instid0(VALU_DEP_1)
	v_cmp_gt_i16_e32 vcc_lo, 0x80, v0
	s_cbranch_vccnz .LBB143_332
; %bb.330:
	v_cmp_eq_u16_e32 vcc_lo, 0x80, v0
	s_cbranch_vccz .LBB143_346
; %bb.331:
	s_mov_b32 s7, 0
	s_mov_b32 s5, -1
	s_branch .LBB143_334
.LBB143_332:
	s_mov_b32 s7, 0
                                        ; implicit-def: $sgpr5
	s_cbranch_execz .LBB143_334
; %bb.333:
	v_cmp_ne_u16_e64 s7, 0, v0
	s_mov_b32 s5, 0
.LBB143_334:
	s_delay_alu instid0(VALU_DEP_1)
	s_and_not1_b32 vcc_lo, exec_lo, s7
	s_cbranch_vccnz .LBB143_336
; %bb.335:
	s_mov_b32 s5, s27
.LBB143_336:
	s_delay_alu instid0(SALU_CYCLE_1)
	v_cndmask_b32_e64 v0, 0, 1, s5
	global_store_b8 v[10:11], v0, off
.LBB143_337:
	s_or_b32 exec_lo, exec_lo, s4
	s_and_saveexec_b32 s4, s17
	s_delay_alu instid0(SALU_CYCLE_1)
	s_xor_b32 s7, exec_lo, s4
	s_cbranch_execz .LBB143_500
; %bb.338:
	v_cmp_gt_i16_e32 vcc_lo, 5, v13
	s_mov_b32 s4, -1
	s_cbranch_vccnz .LBB143_449
; %bb.339:
	v_cmp_gt_i16_e32 vcc_lo, 8, v13
	s_cbranch_vccnz .LBB143_409
; %bb.340:
	v_cmp_gt_i16_e32 vcc_lo, 9, v13
	s_cbranch_vccnz .LBB143_396
; %bb.341:
	v_cmp_lt_i16_e32 vcc_lo, 9, v13
	s_cbranch_vccz .LBB143_383
; %bb.342:
	v_and_b32_e64 v0, 0xff, s25
	s_delay_alu instid0(VALU_DEP_1)
	v_cmp_gt_i16_e32 vcc_lo, 0x80, v0
	s_cbranch_vccnz .LBB143_374
; %bb.343:
	v_cmp_eq_u16_e32 vcc_lo, 0x80, v0
	s_cbranch_vccz .LBB143_376
; %bb.344:
	s_mov_b32 s8, 0
	s_mov_b32 s5, 0x7ff80000
	s_brev_b32 s4, 4
	s_branch .LBB143_377
.LBB143_345:
                                        ; implicit-def: $vgpr0
	s_branch .LBB143_352
.LBB143_346:
	s_mov_b32 s7, -1
                                        ; implicit-def: $sgpr5
	s_branch .LBB143_334
.LBB143_347:
	v_mov_b32_e32 v1, v16
.LBB143_348:
	s_and_b32 s38, s38, 3
	s_delay_alu instid0(SALU_CYCLE_1)
	s_cmp_eq_u32 s38, 0
	s_cbranch_scc1 .LBB143_351
; %bb.349:
	s_lshl_b32 s16, s36, 2
	s_mul_i32 s18, s36, 12
	s_add_u32 s16, s16, s2
	s_addc_u32 s17, s3, 0
	s_add_u32 s16, s16, 0xc4
	s_addc_u32 s17, s17, 0
	;; [unrolled: 2-line block ×3, first 2 shown]
	.p2align	6
.LBB143_350:                            ; =>This Inner Loop Header: Depth=1
	s_clause 0x1
	s_load_b64 s[40:41], s[18:19], 0x4
	s_load_b32 s36, s[18:19], 0xc
	s_load_b32 s39, s[16:17], 0x0
	s_add_u32 s18, s18, 12
	s_addc_u32 s19, s19, 0
	s_add_u32 s16, s16, 4
	s_addc_u32 s17, s17, 0
	s_add_i32 s38, s38, -1
	s_delay_alu instid0(SALU_CYCLE_1) | instskip(SKIP_2) | instid1(VALU_DEP_1)
	s_cmp_lg_u32 s38, 0
	s_waitcnt lgkmcnt(0)
	v_mul_hi_u32 v2, s41, v1
	v_add_nc_u32_e32 v2, v1, v2
	s_delay_alu instid0(VALU_DEP_1) | instskip(NEXT) | instid1(VALU_DEP_1)
	v_lshrrev_b32_e32 v10, s36, v2
	v_mul_lo_u32 v2, v10, s40
	s_delay_alu instid0(VALU_DEP_1) | instskip(NEXT) | instid1(VALU_DEP_1)
	v_sub_nc_u32_e32 v1, v1, v2
	v_mad_u64_u32 v[2:3], null, v1, s39, v[0:1]
	v_mov_b32_e32 v1, v10
	s_delay_alu instid0(VALU_DEP_2)
	v_mov_b32_e32 v0, v2
	s_cbranch_scc1 .LBB143_350
.LBB143_351:
	s_cbranch_execnz .LBB143_354
.LBB143_352:
	s_waitcnt lgkmcnt(0)
	v_mul_hi_u32 v0, s5, v16
	s_and_not1_b32 vcc_lo, exec_lo, s29
	s_delay_alu instid0(VALU_DEP_1) | instskip(NEXT) | instid1(VALU_DEP_1)
	v_add_nc_u32_e32 v0, v16, v0
	v_lshrrev_b32_e32 v1, s6, v0
	s_delay_alu instid0(VALU_DEP_1) | instskip(NEXT) | instid1(VALU_DEP_1)
	v_mul_lo_u32 v0, v1, s4
	v_sub_nc_u32_e32 v0, v16, v0
	s_delay_alu instid0(VALU_DEP_1)
	v_mul_lo_u32 v0, v0, s10
	s_cbranch_vccnz .LBB143_354
; %bb.353:
	v_mul_hi_u32 v2, s12, v1
	s_delay_alu instid0(VALU_DEP_1) | instskip(NEXT) | instid1(VALU_DEP_1)
	v_add_nc_u32_e32 v2, v1, v2
	v_lshrrev_b32_e32 v2, s13, v2
	s_delay_alu instid0(VALU_DEP_1) | instskip(NEXT) | instid1(VALU_DEP_1)
	v_mul_lo_u32 v2, v2, s7
	v_sub_nc_u32_e32 v3, v1, v2
	s_delay_alu instid0(VALU_DEP_1) | instskip(NEXT) | instid1(VALU_DEP_1)
	v_mad_u64_u32 v[1:2], null, v3, s11, v[0:1]
	v_mov_b32_e32 v0, v1
.LBB143_354:
	v_cmp_gt_i16_e32 vcc_lo, 11, v13
	s_waitcnt lgkmcnt(0)
	s_delay_alu instid0(VALU_DEP_2) | instskip(NEXT) | instid1(VALU_DEP_1)
	v_add_co_u32 v10, s17, s8, v0
	v_add_co_ci_u32_e64 v11, null, s9, 0, s17
	s_mov_b32 s16, 0
	s_mov_b32 s17, -1
	s_mov_b32 s18, s34
	s_cbranch_vccnz .LBB143_363
; %bb.355:
	v_cmp_lt_i16_e32 vcc_lo, 25, v13
	s_cbranch_vccz .LBB143_371
; %bb.356:
	v_cmp_lt_i16_e32 vcc_lo, 28, v13
	s_cbranch_vccz .LBB143_372
	;; [unrolled: 3-line block ×4, first 2 shown]
; %bb.359:
	v_cmp_eq_u16_e32 vcc_lo, 46, v13
	s_mov_b32 s17, 0
	s_mov_b32 s18, -1
	s_cbranch_vccz .LBB143_1313
; %bb.360:
	v_and_b32_e64 v0, 0xff, s25
	s_delay_alu instid0(VALU_DEP_1)
	v_cmp_gt_i16_e32 vcc_lo, 0x80, v0
	s_cbranch_vccnz .LBB143_871
; %bb.361:
	v_cmp_eq_u16_e32 vcc_lo, 0x80, v0
	s_cbranch_vccz .LBB143_1306
; %bb.362:
	s_mov_b32 s18, 0
	s_mov_b32 s16, 0x7f800001
	s_branch .LBB143_1307
.LBB143_363:
	s_and_b32 vcc_lo, exec_lo, s17
	s_cbranch_vccz .LBB143_1463
; %bb.364:
	v_cmp_gt_i16_e32 vcc_lo, 5, v13
	s_mov_b32 s16, -1
	s_cbranch_vccnz .LBB143_945
; %bb.365:
	v_cmp_gt_i16_e32 vcc_lo, 8, v13
	s_cbranch_vccnz .LBB143_905
; %bb.366:
	v_cmp_gt_i16_e32 vcc_lo, 9, v13
	s_cbranch_vccnz .LBB143_892
; %bb.367:
	v_cmp_lt_i16_e32 vcc_lo, 9, v13
	s_cbranch_vccz .LBB143_879
; %bb.368:
	v_and_b32_e64 v0, 0xff, s25
	s_delay_alu instid0(VALU_DEP_1)
	v_cmp_gt_i16_e32 vcc_lo, 0x80, v0
	s_cbranch_vccnz .LBB143_564
; %bb.369:
	v_cmp_eq_u16_e32 vcc_lo, 0x80, v0
	s_cbranch_vccz .LBB143_872
; %bb.370:
	s_mov_b32 s19, 0
	s_mov_b32 s17, 0x7ff80000
	s_brev_b32 s16, 4
	s_branch .LBB143_873
.LBB143_371:
	s_mov_b32 s18, s34
	s_branch .LBB143_1365
.LBB143_372:
	s_mov_b32 s18, s34
	s_branch .LBB143_1340
.LBB143_373:
	s_mov_b32 s18, s34
	s_branch .LBB143_1327
.LBB143_374:
	s_mov_b32 s9, -1
	s_mov_b32 s8, 0
                                        ; implicit-def: $sgpr4_sgpr5
	s_branch .LBB143_378
.LBB143_375:
	s_mov_b32 s18, s34
	s_branch .LBB143_1313
.LBB143_376:
	s_mov_b32 s8, -1
                                        ; implicit-def: $sgpr4_sgpr5
.LBB143_377:
	s_mov_b32 s9, 0
.LBB143_378:
	s_delay_alu instid0(SALU_CYCLE_1)
	s_and_b32 vcc_lo, exec_lo, s9
	s_cbranch_vccz .LBB143_380
; %bb.379:
	v_cmp_ne_u16_e64 s8, 0, v0
	s_mov_b64 s[4:5], 0
.LBB143_380:
	s_delay_alu instid0(SALU_CYCLE_1) | instskip(NEXT) | instid1(VALU_DEP_2)
	v_dual_mov_b32 v0, s4 :: v_dual_mov_b32 v1, s5
	s_and_not1_b32 vcc_lo, exec_lo, s8
	s_cbranch_vccnz .LBB143_382
; %bb.381:
	v_dual_mov_b32 v0, v6 :: v_dual_mov_b32 v1, v7
.LBB143_382:
	v_mov_b32_e32 v2, 0
	s_mov_b32 s4, 0
	s_delay_alu instid0(VALU_DEP_1)
	v_mov_b32_e32 v3, v2
	global_store_b128 v[10:11], v[0:3], off
.LBB143_383:
	s_and_b32 vcc_lo, exec_lo, s4
	s_cbranch_vccz .LBB143_395
; %bb.384:
	v_and_b32_e64 v1, 0xff, s25
	s_delay_alu instid0(VALU_DEP_1)
	v_cmp_gt_i16_e32 vcc_lo, 0x80, v1
	s_cbranch_vccnz .LBB143_387
; %bb.385:
	v_cmp_eq_u16_e32 vcc_lo, 0x80, v1
	s_cbranch_vccz .LBB143_388
; %bb.386:
	s_mov_b32 s4, 0
	s_mov_b32 s5, 0x7f800001
	s_branch .LBB143_389
.LBB143_387:
	s_mov_b32 s8, -1
	s_mov_b32 s4, 0
                                        ; implicit-def: $sgpr5
	s_branch .LBB143_390
.LBB143_388:
	s_mov_b32 s4, -1
                                        ; implicit-def: $sgpr5
.LBB143_389:
	s_mov_b32 s8, 0
.LBB143_390:
	v_mov_b32_e32 v0, s5
	s_and_b32 vcc_lo, exec_lo, s8
	s_cbranch_vccz .LBB143_392
; %bb.391:
	v_and_b32_e32 v0, 0xffff, v1
	v_cmp_ne_u16_e64 s4, 0, v1
.LBB143_392:
	s_delay_alu instid0(VALU_DEP_1)
	s_and_not1_b32 vcc_lo, exec_lo, s4
	s_cbranch_vccnz .LBB143_394
; %bb.393:
	v_mov_b32_e32 v0, s26
.LBB143_394:
	v_mov_b32_e32 v1, 0
	global_store_b64 v[10:11], v[0:1], off
.LBB143_395:
	s_mov_b32 s4, 0
.LBB143_396:
	s_delay_alu instid0(SALU_CYCLE_1)
	s_and_not1_b32 vcc_lo, exec_lo, s4
	s_cbranch_vccnz .LBB143_408
; %bb.397:
	v_and_b32_e64 v0, 0xff, s25
	s_delay_alu instid0(VALU_DEP_1)
	v_cmp_gt_i16_e32 vcc_lo, 0x80, v0
	s_cbranch_vccnz .LBB143_400
; %bb.398:
	v_cmp_eq_u16_e32 vcc_lo, 0x80, v0
	s_cbranch_vccz .LBB143_401
; %bb.399:
	s_mov_b32 s4, 0
	s_movk_i32 s5, 0x7e00
	s_branch .LBB143_402
.LBB143_400:
	s_mov_b32 s8, -1
	s_mov_b32 s4, 0
                                        ; implicit-def: $sgpr5
	s_branch .LBB143_403
.LBB143_401:
	s_mov_b32 s4, -1
                                        ; implicit-def: $sgpr5
.LBB143_402:
	s_mov_b32 s8, 0
.LBB143_403:
	v_mov_b32_e32 v1, s5
	s_and_b32 vcc_lo, exec_lo, s8
	s_cbranch_vccz .LBB143_405
; %bb.404:
	v_and_b32_e32 v1, 0xffff, v0
	v_cmp_ne_u16_e64 s4, 0, v0
.LBB143_405:
	s_delay_alu instid0(VALU_DEP_1)
	s_and_not1_b32 vcc_lo, exec_lo, s4
	s_cbranch_vccnz .LBB143_407
; %bb.406:
	v_mov_b32_e32 v1, v15
.LBB143_407:
	global_store_b32 v[10:11], v1, off
.LBB143_408:
	s_mov_b32 s4, 0
.LBB143_409:
	s_delay_alu instid0(SALU_CYCLE_1)
	s_and_not1_b32 vcc_lo, exec_lo, s4
	s_cbranch_vccnz .LBB143_448
; %bb.410:
	v_cmp_gt_i16_e32 vcc_lo, 6, v13
	s_mov_b32 s4, -1
	s_cbranch_vccnz .LBB143_436
; %bb.411:
	v_cmp_lt_i16_e32 vcc_lo, 6, v13
	s_cbranch_vccz .LBB143_423
; %bb.412:
	v_and_b32_e64 v0, 0xff, s25
	s_delay_alu instid0(VALU_DEP_1)
	v_cmp_gt_i16_e32 vcc_lo, 0x80, v0
	s_cbranch_vccnz .LBB143_415
; %bb.413:
	v_cmp_eq_u16_e32 vcc_lo, 0x80, v0
	s_cbranch_vccz .LBB143_416
; %bb.414:
	s_mov_b32 s8, 0
	s_mov_b32 s5, 0x7ff80000
	s_brev_b32 s4, 4
	s_branch .LBB143_417
.LBB143_415:
	s_mov_b32 s9, -1
	s_mov_b32 s8, 0
                                        ; implicit-def: $sgpr4_sgpr5
	s_branch .LBB143_418
.LBB143_416:
	s_mov_b32 s8, -1
                                        ; implicit-def: $sgpr4_sgpr5
.LBB143_417:
	s_mov_b32 s9, 0
.LBB143_418:
	s_delay_alu instid0(SALU_CYCLE_1)
	s_and_b32 vcc_lo, exec_lo, s9
	s_cbranch_vccz .LBB143_420
; %bb.419:
	v_cmp_ne_u16_e64 s8, 0, v0
	s_mov_b64 s[4:5], 0
.LBB143_420:
	s_delay_alu instid0(SALU_CYCLE_1) | instskip(NEXT) | instid1(VALU_DEP_2)
	v_dual_mov_b32 v0, s4 :: v_dual_mov_b32 v1, s5
	s_and_not1_b32 vcc_lo, exec_lo, s8
	s_cbranch_vccnz .LBB143_422
; %bb.421:
	v_dual_mov_b32 v0, v6 :: v_dual_mov_b32 v1, v7
.LBB143_422:
	s_mov_b32 s4, 0
	global_store_b64 v[10:11], v[0:1], off
.LBB143_423:
	s_and_b32 vcc_lo, exec_lo, s4
	s_cbranch_vccz .LBB143_435
; %bb.424:
	v_and_b32_e64 v0, 0xff, s25
	s_delay_alu instid0(VALU_DEP_1)
	v_cmp_gt_i16_e32 vcc_lo, 0x80, v0
	s_cbranch_vccnz .LBB143_427
; %bb.425:
	v_cmp_eq_u16_e32 vcc_lo, 0x80, v0
	s_cbranch_vccz .LBB143_428
; %bb.426:
	s_mov_b32 s5, 0
	s_mov_b32 s4, 0x7f800001
	s_branch .LBB143_429
.LBB143_427:
	s_mov_b32 s8, -1
	s_mov_b32 s5, 0
                                        ; implicit-def: $sgpr4
	s_branch .LBB143_430
.LBB143_428:
	s_mov_b32 s5, -1
                                        ; implicit-def: $sgpr4
.LBB143_429:
	s_mov_b32 s8, 0
.LBB143_430:
	s_delay_alu instid0(SALU_CYCLE_1)
	s_and_b32 vcc_lo, exec_lo, s8
	s_cbranch_vccz .LBB143_432
; %bb.431:
	v_cmp_ne_u16_e64 s5, 0, v0
	s_mov_b32 s4, 0
.LBB143_432:
	s_delay_alu instid0(VALU_DEP_1)
	s_and_not1_b32 vcc_lo, exec_lo, s5
	s_cbranch_vccnz .LBB143_434
; %bb.433:
	s_mov_b32 s4, s26
.LBB143_434:
	s_delay_alu instid0(SALU_CYCLE_1)
	v_mov_b32_e32 v0, s4
	global_store_b32 v[10:11], v0, off
.LBB143_435:
	s_mov_b32 s4, 0
.LBB143_436:
	s_delay_alu instid0(SALU_CYCLE_1)
	s_and_not1_b32 vcc_lo, exec_lo, s4
	s_cbranch_vccnz .LBB143_448
; %bb.437:
	v_and_b32_e64 v0, 0xff, s25
	s_delay_alu instid0(VALU_DEP_1)
	v_cmp_gt_i16_e32 vcc_lo, 0x80, v0
	s_cbranch_vccnz .LBB143_440
; %bb.438:
	v_cmp_eq_u16_e32 vcc_lo, 0x80, v0
	s_cbranch_vccz .LBB143_441
; %bb.439:
	s_mov_b32 s4, 0
	s_movk_i32 s5, 0x7e00
	s_branch .LBB143_442
.LBB143_440:
	s_mov_b32 s8, -1
	s_mov_b32 s4, 0
                                        ; implicit-def: $sgpr5
	s_branch .LBB143_443
.LBB143_441:
	s_mov_b32 s4, -1
                                        ; implicit-def: $sgpr5
.LBB143_442:
	s_mov_b32 s8, 0
.LBB143_443:
	v_mov_b32_e32 v1, s5
	s_and_b32 vcc_lo, exec_lo, s8
	s_cbranch_vccz .LBB143_445
; %bb.444:
	v_cmp_ne_u16_e64 s4, 0, v0
	v_mov_b32_e32 v1, v0
.LBB143_445:
	s_delay_alu instid0(VALU_DEP_2)
	s_and_not1_b32 vcc_lo, exec_lo, s4
	s_cbranch_vccnz .LBB143_447
; %bb.446:
	v_mov_b32_e32 v1, v14
.LBB143_447:
	global_store_b16 v[10:11], v1, off
.LBB143_448:
	s_mov_b32 s4, 0
.LBB143_449:
	s_delay_alu instid0(SALU_CYCLE_1)
	s_and_not1_b32 vcc_lo, exec_lo, s4
	s_cbranch_vccnz .LBB143_500
; %bb.450:
	v_cmp_gt_i16_e32 vcc_lo, 2, v13
	s_mov_b32 s4, -1
	s_cbranch_vccnz .LBB143_481
; %bb.451:
	v_cmp_gt_i16_e32 vcc_lo, 3, v13
	s_cbranch_vccnz .LBB143_471
; %bb.452:
	v_cmp_lt_i16_e32 vcc_lo, 3, v13
	s_cbranch_vccz .LBB143_461
; %bb.453:
	v_and_b32_e64 v0, 0xff, s25
	s_delay_alu instid0(VALU_DEP_1)
	v_cmp_gt_i16_e32 vcc_lo, 0x80, v0
	s_cbranch_vccnz .LBB143_455
; %bb.454:
	v_cmp_ne_u16_e64 s8, 0x80, v0
	s_mov_b32 s9, 0
	s_mov_b64 s[4:5], 0
	s_branch .LBB143_456
.LBB143_455:
	s_mov_b32 s9, -1
	s_mov_b32 s8, 0
                                        ; implicit-def: $sgpr4_sgpr5
.LBB143_456:
	s_and_not1_b32 vcc_lo, exec_lo, s9
	s_cbranch_vccnz .LBB143_458
; %bb.457:
	v_cmp_ne_u16_e64 s8, 0, v0
	s_mov_b64 s[4:5], 0
.LBB143_458:
	s_delay_alu instid0(SALU_CYCLE_1) | instskip(NEXT) | instid1(VALU_DEP_2)
	v_dual_mov_b32 v0, s4 :: v_dual_mov_b32 v1, s5
	s_and_not1_b32 vcc_lo, exec_lo, s8
	s_cbranch_vccnz .LBB143_460
; %bb.459:
	v_dual_mov_b32 v0, v4 :: v_dual_mov_b32 v1, v5
.LBB143_460:
	s_mov_b32 s4, 0
	global_store_b64 v[10:11], v[0:1], off
.LBB143_461:
	s_and_b32 vcc_lo, exec_lo, s4
	s_cbranch_vccz .LBB143_470
; %bb.462:
	v_and_b32_e64 v0, 0xff, s25
	s_delay_alu instid0(VALU_DEP_1)
	v_cmp_gt_i16_e32 vcc_lo, 0x80, v0
	s_cbranch_vccnz .LBB143_464
; %bb.463:
	v_cmp_ne_u16_e64 s4, 0x80, v0
	s_mov_b32 s8, 0
	s_mov_b32 s5, 0
	s_branch .LBB143_465
.LBB143_464:
	s_mov_b32 s8, -1
	s_mov_b32 s4, 0
                                        ; implicit-def: $sgpr5
.LBB143_465:
	s_and_not1_b32 vcc_lo, exec_lo, s8
	s_cbranch_vccnz .LBB143_467
; %bb.466:
	v_cmp_ne_u16_e64 s4, 0, v0
	s_mov_b32 s5, 0
.LBB143_467:
	s_delay_alu instid0(SALU_CYCLE_1) | instskip(NEXT) | instid1(VALU_DEP_2)
	v_mov_b32_e32 v0, s5
	s_and_not1_b32 vcc_lo, exec_lo, s4
	s_cbranch_vccnz .LBB143_469
; %bb.468:
	v_mov_b32_e32 v0, v12
.LBB143_469:
	global_store_b32 v[10:11], v0, off
.LBB143_470:
	s_mov_b32 s4, 0
.LBB143_471:
	s_delay_alu instid0(SALU_CYCLE_1)
	s_and_not1_b32 vcc_lo, exec_lo, s4
	s_cbranch_vccnz .LBB143_480
; %bb.472:
	v_and_b32_e64 v0, 0xff, s25
	s_delay_alu instid0(VALU_DEP_1)
	v_cmp_gt_i16_e32 vcc_lo, 0x80, v0
	s_cbranch_vccnz .LBB143_474
; %bb.473:
	v_cmp_ne_u16_e64 s4, 0x80, v0
	s_mov_b32 s8, 0
	s_mov_b32 s5, 0
	s_branch .LBB143_475
.LBB143_474:
	s_mov_b32 s8, -1
	s_mov_b32 s4, 0
                                        ; implicit-def: $sgpr5
.LBB143_475:
	s_and_not1_b32 vcc_lo, exec_lo, s8
	s_cbranch_vccnz .LBB143_477
; %bb.476:
	v_cmp_ne_u16_e64 s4, 0, v0
	s_mov_b32 s5, 0
.LBB143_477:
	s_delay_alu instid0(SALU_CYCLE_1) | instskip(NEXT) | instid1(VALU_DEP_2)
	v_mov_b32_e32 v0, s5
	s_and_not1_b32 vcc_lo, exec_lo, s4
	s_cbranch_vccnz .LBB143_479
; %bb.478:
	v_mov_b32_e32 v0, v12
.LBB143_479:
	global_store_b16 v[10:11], v0, off
.LBB143_480:
	s_mov_b32 s4, 0
.LBB143_481:
	s_delay_alu instid0(SALU_CYCLE_1)
	s_and_not1_b32 vcc_lo, exec_lo, s4
	s_cbranch_vccnz .LBB143_500
; %bb.482:
	v_cmp_lt_i16_e32 vcc_lo, 0, v13
	s_mov_b32 s4, 0
	s_mov_b32 s5, -1
	s_cbranch_vccz .LBB143_491
; %bb.483:
	v_and_b32_e64 v0, 0xff, s25
	s_delay_alu instid0(VALU_DEP_1)
	v_cmp_gt_i16_e32 vcc_lo, 0x80, v0
	s_cbranch_vccnz .LBB143_485
; %bb.484:
	v_cmp_ne_u16_e64 s4, 0x80, v0
	s_mov_b32 s8, 0
	s_mov_b32 s5, 0
	s_branch .LBB143_486
.LBB143_485:
	s_mov_b32 s8, -1
                                        ; implicit-def: $sgpr5
.LBB143_486:
	s_delay_alu instid0(SALU_CYCLE_1)
	s_and_not1_b32 vcc_lo, exec_lo, s8
	s_cbranch_vccnz .LBB143_488
; %bb.487:
	v_cmp_ne_u16_e64 s4, 0, v0
	s_mov_b32 s5, 0
.LBB143_488:
	s_delay_alu instid0(SALU_CYCLE_1) | instskip(NEXT) | instid1(VALU_DEP_2)
	v_mov_b32_e32 v0, s5
	s_and_not1_b32 vcc_lo, exec_lo, s4
	s_cbranch_vccnz .LBB143_490
; %bb.489:
	v_mov_b32_e32 v0, v12
.LBB143_490:
	s_mov_b32 s5, 0
	global_store_b8 v[10:11], v0, off
.LBB143_491:
	s_and_b32 vcc_lo, exec_lo, s5
	s_cbranch_vccz .LBB143_500
; %bb.492:
	v_and_b32_e64 v0, 0xff, s25
	s_delay_alu instid0(VALU_DEP_1)
	v_cmp_gt_i16_e32 vcc_lo, 0x80, v0
	s_cbranch_vccnz .LBB143_494
; %bb.493:
	v_cmp_ne_u16_e64 s4, 0x80, v0
	s_mov_b32 s8, 0
	s_mov_b32 s5, 0
	s_branch .LBB143_495
.LBB143_494:
	s_mov_b32 s8, -1
	s_mov_b32 s4, 0
                                        ; implicit-def: $sgpr5
.LBB143_495:
	s_and_not1_b32 vcc_lo, exec_lo, s8
	s_cbranch_vccnz .LBB143_497
; %bb.496:
	v_cmp_ne_u16_e64 s4, 0, v0
	s_mov_b32 s5, 0
.LBB143_497:
	s_delay_alu instid0(SALU_CYCLE_1) | instskip(NEXT) | instid1(VALU_DEP_2)
	v_mov_b32_e32 v0, s5
	s_and_not1_b32 vcc_lo, exec_lo, s4
	s_cbranch_vccnz .LBB143_499
; %bb.498:
	v_mov_b32_e32 v0, v4
.LBB143_499:
	global_store_b8 v[10:11], v0, off
.LBB143_500:
	s_or_b32 exec_lo, exec_lo, s7
	s_delay_alu instid0(SALU_CYCLE_1)
	s_and_b32 s8, s6, exec_lo
                                        ; implicit-def: $vgpr1
                                        ; implicit-def: $vgpr16
.LBB143_501:
	s_or_saveexec_b32 s9, s24
	s_mov_b32 s5, 0
                                        ; implicit-def: $vgpr4_vgpr5
                                        ; implicit-def: $vgpr6
                                        ; implicit-def: $sgpr6
	s_xor_b32 exec_lo, exec_lo, s9
	s_cbranch_execz .LBB143_1940
; %bb.502:
	v_cndmask_b32_e64 v2, 0, 1, s23
	s_and_not1_b32 vcc_lo, exec_lo, s23
	s_cbranch_vccnz .LBB143_508
; %bb.503:
	v_mov_b32_e32 v0, 0
	s_cmp_eq_u32 s20, 0
	s_mov_b32 s10, 0
	s_cbranch_scc1 .LBB143_512
; %bb.504:
	s_min_u32 s11, s21, 15
	v_mov_b32_e32 v0, 0
	s_add_i32 s11, s11, 1
	s_cmp_eq_u32 s21, 2
	s_mov_b32 s12, 0
	s_cbranch_scc1 .LBB143_509
; %bb.505:
	v_dual_mov_b32 v0, 0 :: v_dual_mov_b32 v3, v16
	s_add_u32 s4, s2, 0xc4
	s_addc_u32 s5, s3, 0
	s_and_b32 s12, s11, 28
	s_mov_b32 s13, 0
	s_mov_b64 s[6:7], s[2:3]
.LBB143_506:                            ; =>This Inner Loop Header: Depth=1
	s_clause 0x1
	s_load_b256 s[24:31], s[6:7], 0x4
	s_load_b128 s[16:19], s[6:7], 0x24
	s_load_b128 s[36:39], s[4:5], 0x0
	s_add_u32 s6, s6, 48
	s_addc_u32 s7, s7, 0
	s_add_i32 s13, s13, 4
	s_add_u32 s4, s4, 16
	s_addc_u32 s5, s5, 0
	s_cmp_lg_u32 s12, s13
	s_waitcnt lgkmcnt(0)
	v_mul_hi_u32 v4, s25, v3
	s_delay_alu instid0(VALU_DEP_1) | instskip(NEXT) | instid1(VALU_DEP_1)
	v_add_nc_u32_e32 v4, v3, v4
	v_lshrrev_b32_e32 v4, s26, v4
	s_delay_alu instid0(VALU_DEP_1) | instskip(SKIP_1) | instid1(VALU_DEP_2)
	v_mul_hi_u32 v5, s28, v4
	v_mul_lo_u32 v8, v4, s24
	v_add_nc_u32_e32 v5, v4, v5
	s_delay_alu instid0(VALU_DEP_2) | instskip(NEXT) | instid1(VALU_DEP_2)
	v_sub_nc_u32_e32 v8, v3, v8
	v_lshrrev_b32_e32 v5, s29, v5
	s_delay_alu instid0(VALU_DEP_2) | instskip(NEXT) | instid1(VALU_DEP_2)
	v_mul_lo_u32 v8, v8, s36
	v_mul_hi_u32 v6, s31, v5
	v_mul_lo_u32 v9, v5, s27
	s_delay_alu instid0(VALU_DEP_2) | instskip(NEXT) | instid1(VALU_DEP_2)
	v_add_nc_u32_e32 v6, v5, v6
	v_sub_nc_u32_e32 v4, v4, v9
	s_delay_alu instid0(VALU_DEP_2) | instskip(NEXT) | instid1(VALU_DEP_2)
	v_lshrrev_b32_e32 v6, s16, v6
	v_mul_lo_u32 v4, v4, s37
	s_delay_alu instid0(VALU_DEP_2) | instskip(NEXT) | instid1(VALU_DEP_2)
	v_mul_hi_u32 v7, s18, v6
	v_add3_u32 v0, v8, v0, v4
	s_delay_alu instid0(VALU_DEP_2) | instskip(NEXT) | instid1(VALU_DEP_1)
	v_add_nc_u32_e32 v7, v6, v7
	v_lshrrev_b32_e32 v3, s19, v7
	v_mul_lo_u32 v7, v6, s30
	s_delay_alu instid0(VALU_DEP_2) | instskip(NEXT) | instid1(VALU_DEP_2)
	v_mul_lo_u32 v10, v3, s17
	v_sub_nc_u32_e32 v5, v5, v7
	s_delay_alu instid0(VALU_DEP_2) | instskip(NEXT) | instid1(VALU_DEP_2)
	v_sub_nc_u32_e32 v6, v6, v10
	v_mul_lo_u32 v5, v5, s38
	s_delay_alu instid0(VALU_DEP_2) | instskip(NEXT) | instid1(VALU_DEP_1)
	v_mul_lo_u32 v6, v6, s39
	v_add3_u32 v0, v5, v0, v6
	s_cbranch_scc1 .LBB143_506
; %bb.507:
	s_and_b32 s11, s11, 3
	s_delay_alu instid0(SALU_CYCLE_1)
	s_cmp_eq_u32 s11, 0
	s_cbranch_scc0 .LBB143_510
	s_branch .LBB143_512
.LBB143_508:
	s_mov_b32 s10, -1
                                        ; implicit-def: $vgpr0
	s_branch .LBB143_512
.LBB143_509:
	v_mov_b32_e32 v3, v16
	s_and_b32 s11, s11, 3
	s_delay_alu instid0(SALU_CYCLE_1)
	s_cmp_eq_u32 s11, 0
	s_cbranch_scc1 .LBB143_512
.LBB143_510:
	s_lshl_b32 s4, s12, 2
	s_mul_i32 s6, s12, 12
	s_add_u32 s4, s4, s2
	s_addc_u32 s5, 0, s3
	s_add_u32 s4, s4, 0xc4
	s_addc_u32 s5, s5, 0
	;; [unrolled: 2-line block ×3, first 2 shown]
	.p2align	6
.LBB143_511:                            ; =>This Inner Loop Header: Depth=1
	s_clause 0x1
	s_load_b64 s[12:13], s[6:7], 0x4
	s_load_b32 s14, s[6:7], 0xc
	s_add_u32 s6, s6, 12
	s_addc_u32 s7, s7, 0
	s_waitcnt lgkmcnt(0)
	v_mul_hi_u32 v4, s13, v3
	s_load_b32 s13, s[4:5], 0x0
	s_add_u32 s4, s4, 4
	s_addc_u32 s5, s5, 0
	s_add_i32 s11, s11, -1
	s_delay_alu instid0(SALU_CYCLE_1) | instskip(NEXT) | instid1(VALU_DEP_1)
	s_cmp_lg_u32 s11, 0
	v_add_nc_u32_e32 v4, v3, v4
	s_delay_alu instid0(VALU_DEP_1) | instskip(NEXT) | instid1(VALU_DEP_1)
	v_lshrrev_b32_e32 v6, s14, v4
	v_mul_lo_u32 v4, v6, s12
	s_delay_alu instid0(VALU_DEP_1) | instskip(SKIP_1) | instid1(VALU_DEP_1)
	v_sub_nc_u32_e32 v3, v3, v4
	s_waitcnt lgkmcnt(0)
	v_mad_u64_u32 v[4:5], null, v3, s13, v[0:1]
	s_delay_alu instid0(VALU_DEP_1)
	v_dual_mov_b32 v3, v6 :: v_dual_mov_b32 v0, v4
	s_cbranch_scc1 .LBB143_511
.LBB143_512:
	s_and_not1_b32 vcc_lo, exec_lo, s10
	s_cbranch_vccnz .LBB143_515
; %bb.513:
	s_load_b128 s[4:7], s[2:3], 0x4
	s_waitcnt lgkmcnt(0)
	s_load_b32 s7, s[2:3], 0xc4
	s_cmp_lt_u32 s20, 2
	v_mul_hi_u32 v0, s5, v16
	s_delay_alu instid0(VALU_DEP_1) | instskip(NEXT) | instid1(VALU_DEP_1)
	v_add_nc_u32_e32 v0, v16, v0
	v_lshrrev_b32_e32 v3, s6, v0
	s_delay_alu instid0(VALU_DEP_1) | instskip(NEXT) | instid1(VALU_DEP_1)
	v_mul_lo_u32 v0, v3, s4
	v_sub_nc_u32_e32 v0, v16, v0
	s_waitcnt lgkmcnt(0)
	s_delay_alu instid0(VALU_DEP_1)
	v_mul_lo_u32 v0, v0, s7
	s_cbranch_scc1 .LBB143_515
; %bb.514:
	s_load_b128 s[4:7], s[2:3], 0x10
	s_waitcnt lgkmcnt(0)
	s_load_b32 s7, s[2:3], 0xc8
	v_mul_hi_u32 v4, s5, v3
	s_delay_alu instid0(VALU_DEP_1) | instskip(NEXT) | instid1(VALU_DEP_1)
	v_add_nc_u32_e32 v4, v3, v4
	v_lshrrev_b32_e32 v4, s6, v4
	s_delay_alu instid0(VALU_DEP_1) | instskip(NEXT) | instid1(VALU_DEP_1)
	v_mul_lo_u32 v4, v4, s4
	v_sub_nc_u32_e32 v5, v3, v4
	s_waitcnt lgkmcnt(0)
	s_delay_alu instid0(VALU_DEP_1) | instskip(NEXT) | instid1(VALU_DEP_1)
	v_mad_u64_u32 v[3:4], null, v5, s7, v[0:1]
	v_mov_b32_e32 v0, v3
.LBB143_515:
	v_cmp_ne_u32_e32 vcc_lo, 1, v2
	v_add_nc_u32_e32 v3, 0x80, v16
	s_cbranch_vccnz .LBB143_521
; %bb.516:
	v_mov_b32_e32 v6, 0
	s_cmp_eq_u32 s20, 0
	s_mov_b32 s10, 0
	s_cbranch_scc1 .LBB143_525
; %bb.517:
	s_min_u32 s11, s21, 15
	v_mov_b32_e32 v6, 0
	s_add_i32 s11, s11, 1
	s_cmp_eq_u32 s21, 2
	s_mov_b32 s12, 0
	s_cbranch_scc1 .LBB143_522
; %bb.518:
	v_mov_b32_e32 v6, 0
	v_mov_b32_e32 v4, v3
	s_add_u32 s4, s2, 0xc4
	s_addc_u32 s5, s3, 0
	s_and_b32 s12, s11, 28
	s_mov_b32 s13, 0
	s_mov_b64 s[6:7], s[2:3]
.LBB143_519:                            ; =>This Inner Loop Header: Depth=1
	s_clause 0x1
	s_load_b256 s[24:31], s[6:7], 0x4
	s_load_b128 s[16:19], s[6:7], 0x24
	s_load_b128 s[36:39], s[4:5], 0x0
	s_add_u32 s6, s6, 48
	s_addc_u32 s7, s7, 0
	s_add_i32 s13, s13, 4
	s_add_u32 s4, s4, 16
	s_addc_u32 s5, s5, 0
	s_cmp_lg_u32 s12, s13
	s_waitcnt lgkmcnt(0)
	v_mul_hi_u32 v5, s25, v4
	s_delay_alu instid0(VALU_DEP_1) | instskip(NEXT) | instid1(VALU_DEP_1)
	v_add_nc_u32_e32 v5, v4, v5
	v_lshrrev_b32_e32 v5, s26, v5
	s_delay_alu instid0(VALU_DEP_1) | instskip(SKIP_1) | instid1(VALU_DEP_2)
	v_mul_hi_u32 v7, s28, v5
	v_mul_lo_u32 v10, v5, s24
	v_add_nc_u32_e32 v7, v5, v7
	s_delay_alu instid0(VALU_DEP_2) | instskip(NEXT) | instid1(VALU_DEP_2)
	v_sub_nc_u32_e32 v10, v4, v10
	v_lshrrev_b32_e32 v7, s29, v7
	s_delay_alu instid0(VALU_DEP_2) | instskip(NEXT) | instid1(VALU_DEP_2)
	v_mul_lo_u32 v10, v10, s36
	v_mul_hi_u32 v8, s31, v7
	v_mul_lo_u32 v11, v7, s27
	s_delay_alu instid0(VALU_DEP_2) | instskip(NEXT) | instid1(VALU_DEP_2)
	v_add_nc_u32_e32 v8, v7, v8
	v_sub_nc_u32_e32 v5, v5, v11
	s_delay_alu instid0(VALU_DEP_2) | instskip(NEXT) | instid1(VALU_DEP_2)
	v_lshrrev_b32_e32 v8, s16, v8
	v_mul_lo_u32 v5, v5, s37
	s_delay_alu instid0(VALU_DEP_2) | instskip(NEXT) | instid1(VALU_DEP_2)
	v_mul_hi_u32 v9, s18, v8
	v_add3_u32 v5, v10, v6, v5
	s_delay_alu instid0(VALU_DEP_2) | instskip(NEXT) | instid1(VALU_DEP_1)
	v_add_nc_u32_e32 v9, v8, v9
	v_lshrrev_b32_e32 v4, s19, v9
	v_mul_lo_u32 v9, v8, s30
	s_delay_alu instid0(VALU_DEP_2) | instskip(NEXT) | instid1(VALU_DEP_2)
	v_mul_lo_u32 v12, v4, s17
	v_sub_nc_u32_e32 v7, v7, v9
	s_delay_alu instid0(VALU_DEP_2) | instskip(NEXT) | instid1(VALU_DEP_2)
	v_sub_nc_u32_e32 v8, v8, v12
	v_mul_lo_u32 v7, v7, s38
	s_delay_alu instid0(VALU_DEP_2) | instskip(NEXT) | instid1(VALU_DEP_1)
	v_mul_lo_u32 v8, v8, s39
	v_add3_u32 v6, v7, v5, v8
	s_cbranch_scc1 .LBB143_519
; %bb.520:
	s_and_b32 s11, s11, 3
	s_delay_alu instid0(SALU_CYCLE_1)
	s_cmp_eq_u32 s11, 0
	s_cbranch_scc0 .LBB143_523
	s_branch .LBB143_525
.LBB143_521:
	s_mov_b32 s10, -1
                                        ; implicit-def: $vgpr6
	s_branch .LBB143_525
.LBB143_522:
	v_mov_b32_e32 v4, v3
	s_and_b32 s11, s11, 3
	s_delay_alu instid0(SALU_CYCLE_1)
	s_cmp_eq_u32 s11, 0
	s_cbranch_scc1 .LBB143_525
.LBB143_523:
	s_lshl_b32 s4, s12, 2
	s_mul_i32 s6, s12, 12
	s_add_u32 s4, s4, s2
	s_addc_u32 s5, 0, s3
	s_add_u32 s4, s4, 0xc4
	s_addc_u32 s5, s5, 0
	;; [unrolled: 2-line block ×3, first 2 shown]
	.p2align	6
.LBB143_524:                            ; =>This Inner Loop Header: Depth=1
	s_clause 0x1
	s_load_b64 s[12:13], s[6:7], 0x4
	s_load_b32 s14, s[6:7], 0xc
	s_add_u32 s6, s6, 12
	s_addc_u32 s7, s7, 0
	s_waitcnt lgkmcnt(0)
	v_mul_hi_u32 v5, s13, v4
	s_load_b32 s13, s[4:5], 0x0
	s_add_u32 s4, s4, 4
	s_addc_u32 s5, s5, 0
	s_add_i32 s11, s11, -1
	s_delay_alu instid0(SALU_CYCLE_1) | instskip(NEXT) | instid1(VALU_DEP_1)
	s_cmp_lg_u32 s11, 0
	v_add_nc_u32_e32 v5, v4, v5
	s_delay_alu instid0(VALU_DEP_1) | instskip(NEXT) | instid1(VALU_DEP_1)
	v_lshrrev_b32_e32 v5, s14, v5
	v_mul_lo_u32 v7, v5, s12
	s_delay_alu instid0(VALU_DEP_1) | instskip(SKIP_1) | instid1(VALU_DEP_1)
	v_sub_nc_u32_e32 v4, v4, v7
	s_waitcnt lgkmcnt(0)
	v_mad_u64_u32 v[7:8], null, v4, s13, v[6:7]
	v_mov_b32_e32 v4, v5
	s_delay_alu instid0(VALU_DEP_2)
	v_mov_b32_e32 v6, v7
	s_cbranch_scc1 .LBB143_524
.LBB143_525:
	s_and_not1_b32 vcc_lo, exec_lo, s10
	s_cbranch_vccnz .LBB143_528
; %bb.526:
	s_load_b128 s[4:7], s[2:3], 0x4
	s_waitcnt lgkmcnt(0)
	s_load_b32 s7, s[2:3], 0xc4
	s_cmp_lt_u32 s20, 2
	v_mul_hi_u32 v4, s5, v3
	s_delay_alu instid0(VALU_DEP_1) | instskip(NEXT) | instid1(VALU_DEP_1)
	v_add_nc_u32_e32 v4, v3, v4
	v_lshrrev_b32_e32 v4, s6, v4
	s_delay_alu instid0(VALU_DEP_1) | instskip(NEXT) | instid1(VALU_DEP_1)
	v_mul_lo_u32 v5, v4, s4
	v_sub_nc_u32_e32 v3, v3, v5
	s_waitcnt lgkmcnt(0)
	s_delay_alu instid0(VALU_DEP_1)
	v_mul_lo_u32 v6, v3, s7
	s_cbranch_scc1 .LBB143_528
; %bb.527:
	s_load_b128 s[4:7], s[2:3], 0x10
	s_waitcnt lgkmcnt(0)
	s_load_b32 s7, s[2:3], 0xc8
	v_mul_hi_u32 v3, s5, v4
	s_delay_alu instid0(VALU_DEP_1) | instskip(NEXT) | instid1(VALU_DEP_1)
	v_add_nc_u32_e32 v3, v4, v3
	v_lshrrev_b32_e32 v3, s6, v3
	s_delay_alu instid0(VALU_DEP_1) | instskip(NEXT) | instid1(VALU_DEP_1)
	v_mul_lo_u32 v3, v3, s4
	v_sub_nc_u32_e32 v5, v4, v3
	s_waitcnt lgkmcnt(0)
	s_delay_alu instid0(VALU_DEP_1) | instskip(NEXT) | instid1(VALU_DEP_1)
	v_mad_u64_u32 v[3:4], null, v5, s7, v[6:7]
	v_mov_b32_e32 v6, v3
.LBB143_528:
	v_cmp_ne_u32_e32 vcc_lo, 1, v2
	v_add_nc_u32_e32 v3, 0x100, v16
	s_cbranch_vccnz .LBB143_534
; %bb.529:
	v_mov_b32_e32 v5, 0
	s_cmp_eq_u32 s20, 0
	s_mov_b32 s10, 0
	s_cbranch_scc1 .LBB143_538
; %bb.530:
	s_min_u32 s11, s21, 15
	v_mov_b32_e32 v5, 0
	s_add_i32 s11, s11, 1
	s_cmp_eq_u32 s21, 2
	s_mov_b32 s12, 0
	s_cbranch_scc1 .LBB143_535
; %bb.531:
	v_dual_mov_b32 v5, 0 :: v_dual_mov_b32 v4, v3
	s_add_u32 s4, s2, 0xc4
	s_addc_u32 s5, s3, 0
	s_and_b32 s12, s11, 28
	s_mov_b32 s13, 0
	s_mov_b64 s[6:7], s[2:3]
.LBB143_532:                            ; =>This Inner Loop Header: Depth=1
	s_clause 0x1
	s_load_b256 s[24:31], s[6:7], 0x4
	s_load_b128 s[16:19], s[6:7], 0x24
	s_load_b128 s[36:39], s[4:5], 0x0
	s_add_u32 s6, s6, 48
	s_addc_u32 s7, s7, 0
	s_add_i32 s13, s13, 4
	s_add_u32 s4, s4, 16
	s_addc_u32 s5, s5, 0
	s_cmp_lg_u32 s12, s13
	s_waitcnt lgkmcnt(0)
	v_mul_hi_u32 v7, s25, v4
	s_delay_alu instid0(VALU_DEP_1) | instskip(NEXT) | instid1(VALU_DEP_1)
	v_add_nc_u32_e32 v7, v4, v7
	v_lshrrev_b32_e32 v7, s26, v7
	s_delay_alu instid0(VALU_DEP_1) | instskip(SKIP_1) | instid1(VALU_DEP_2)
	v_mul_hi_u32 v8, s28, v7
	v_mul_lo_u32 v11, v7, s24
	v_add_nc_u32_e32 v8, v7, v8
	s_delay_alu instid0(VALU_DEP_2) | instskip(NEXT) | instid1(VALU_DEP_2)
	v_sub_nc_u32_e32 v11, v4, v11
	v_lshrrev_b32_e32 v8, s29, v8
	s_delay_alu instid0(VALU_DEP_2) | instskip(NEXT) | instid1(VALU_DEP_2)
	v_mul_lo_u32 v11, v11, s36
	v_mul_hi_u32 v9, s31, v8
	v_mul_lo_u32 v12, v8, s27
	s_delay_alu instid0(VALU_DEP_2) | instskip(NEXT) | instid1(VALU_DEP_2)
	v_add_nc_u32_e32 v9, v8, v9
	v_sub_nc_u32_e32 v7, v7, v12
	s_delay_alu instid0(VALU_DEP_2) | instskip(NEXT) | instid1(VALU_DEP_2)
	v_lshrrev_b32_e32 v9, s16, v9
	v_mul_lo_u32 v7, v7, s37
	s_delay_alu instid0(VALU_DEP_2) | instskip(NEXT) | instid1(VALU_DEP_2)
	v_mul_hi_u32 v10, s18, v9
	v_add3_u32 v5, v11, v5, v7
	s_delay_alu instid0(VALU_DEP_2) | instskip(NEXT) | instid1(VALU_DEP_1)
	v_add_nc_u32_e32 v10, v9, v10
	v_lshrrev_b32_e32 v4, s19, v10
	v_mul_lo_u32 v10, v9, s30
	s_delay_alu instid0(VALU_DEP_2) | instskip(NEXT) | instid1(VALU_DEP_2)
	v_mul_lo_u32 v13, v4, s17
	v_sub_nc_u32_e32 v8, v8, v10
	s_delay_alu instid0(VALU_DEP_2) | instskip(NEXT) | instid1(VALU_DEP_2)
	v_sub_nc_u32_e32 v9, v9, v13
	v_mul_lo_u32 v8, v8, s38
	s_delay_alu instid0(VALU_DEP_2) | instskip(NEXT) | instid1(VALU_DEP_1)
	v_mul_lo_u32 v9, v9, s39
	v_add3_u32 v5, v8, v5, v9
	s_cbranch_scc1 .LBB143_532
; %bb.533:
	s_and_b32 s11, s11, 3
	s_delay_alu instid0(SALU_CYCLE_1)
	s_cmp_eq_u32 s11, 0
	s_cbranch_scc0 .LBB143_536
	s_branch .LBB143_538
.LBB143_534:
	s_mov_b32 s10, -1
                                        ; implicit-def: $vgpr5
	s_branch .LBB143_538
.LBB143_535:
	v_mov_b32_e32 v4, v3
	s_and_b32 s11, s11, 3
	s_delay_alu instid0(SALU_CYCLE_1)
	s_cmp_eq_u32 s11, 0
	s_cbranch_scc1 .LBB143_538
.LBB143_536:
	s_lshl_b32 s4, s12, 2
	s_mul_i32 s6, s12, 12
	s_add_u32 s4, s4, s2
	s_addc_u32 s5, 0, s3
	s_add_u32 s4, s4, 0xc4
	s_addc_u32 s5, s5, 0
	s_add_u32 s6, s2, s6
	s_addc_u32 s7, 0, s3
	.p2align	6
.LBB143_537:                            ; =>This Inner Loop Header: Depth=1
	s_clause 0x1
	s_load_b64 s[12:13], s[6:7], 0x4
	s_load_b32 s14, s[6:7], 0xc
	s_add_u32 s6, s6, 12
	s_addc_u32 s7, s7, 0
	s_waitcnt lgkmcnt(0)
	v_mul_hi_u32 v7, s13, v4
	s_load_b32 s13, s[4:5], 0x0
	s_add_u32 s4, s4, 4
	s_addc_u32 s5, s5, 0
	s_add_i32 s11, s11, -1
	s_delay_alu instid0(SALU_CYCLE_1) | instskip(NEXT) | instid1(VALU_DEP_1)
	s_cmp_lg_u32 s11, 0
	v_add_nc_u32_e32 v7, v4, v7
	s_delay_alu instid0(VALU_DEP_1) | instskip(NEXT) | instid1(VALU_DEP_1)
	v_lshrrev_b32_e32 v9, s14, v7
	v_mul_lo_u32 v7, v9, s12
	s_delay_alu instid0(VALU_DEP_1) | instskip(SKIP_1) | instid1(VALU_DEP_1)
	v_sub_nc_u32_e32 v4, v4, v7
	s_waitcnt lgkmcnt(0)
	v_mad_u64_u32 v[7:8], null, v4, s13, v[5:6]
	s_delay_alu instid0(VALU_DEP_1)
	v_dual_mov_b32 v4, v9 :: v_dual_mov_b32 v5, v7
	s_cbranch_scc1 .LBB143_537
.LBB143_538:
	s_and_not1_b32 vcc_lo, exec_lo, s10
	s_cbranch_vccnz .LBB143_541
; %bb.539:
	s_load_b128 s[4:7], s[2:3], 0x4
	s_waitcnt lgkmcnt(0)
	s_load_b32 s7, s[2:3], 0xc4
	s_cmp_lt_u32 s20, 2
	v_mul_hi_u32 v4, s5, v3
	s_delay_alu instid0(VALU_DEP_1) | instskip(NEXT) | instid1(VALU_DEP_1)
	v_add_nc_u32_e32 v4, v3, v4
	v_lshrrev_b32_e32 v4, s6, v4
	s_delay_alu instid0(VALU_DEP_1) | instskip(NEXT) | instid1(VALU_DEP_1)
	v_mul_lo_u32 v5, v4, s4
	v_sub_nc_u32_e32 v3, v3, v5
	s_waitcnt lgkmcnt(0)
	s_delay_alu instid0(VALU_DEP_1)
	v_mul_lo_u32 v5, v3, s7
	s_cbranch_scc1 .LBB143_541
; %bb.540:
	s_load_b128 s[4:7], s[2:3], 0x10
	s_waitcnt lgkmcnt(0)
	s_load_b32 s7, s[2:3], 0xc8
	v_mul_hi_u32 v3, s5, v4
	s_delay_alu instid0(VALU_DEP_1) | instskip(NEXT) | instid1(VALU_DEP_1)
	v_add_nc_u32_e32 v3, v4, v3
	v_lshrrev_b32_e32 v3, s6, v3
	s_delay_alu instid0(VALU_DEP_1) | instskip(NEXT) | instid1(VALU_DEP_1)
	v_mul_lo_u32 v3, v3, s4
	v_sub_nc_u32_e32 v7, v4, v3
	s_waitcnt lgkmcnt(0)
	s_delay_alu instid0(VALU_DEP_1) | instskip(NEXT) | instid1(VALU_DEP_1)
	v_mad_u64_u32 v[3:4], null, v7, s7, v[5:6]
	v_mov_b32_e32 v5, v3
.LBB143_541:
	v_cmp_ne_u32_e32 vcc_lo, 1, v2
	s_cbranch_vccnz .LBB143_547
; %bb.542:
	v_mov_b32_e32 v4, 0
	s_cmp_eq_u32 s20, 0
	s_mov_b32 s10, 0
	s_cbranch_scc1 .LBB143_551
; %bb.543:
	s_min_u32 s11, s21, 15
	v_mov_b32_e32 v4, 0
	s_add_i32 s11, s11, 1
	s_cmp_eq_u32 s21, 2
	s_mov_b32 s12, 0
	s_cbranch_scc1 .LBB143_548
; %bb.544:
	v_mov_b32_e32 v4, 0
	v_mov_b32_e32 v2, v1
	s_add_u32 s4, s2, 0xc4
	s_addc_u32 s5, s3, 0
	s_and_b32 s12, s11, 28
	s_mov_b32 s13, 0
	s_mov_b64 s[6:7], s[2:3]
.LBB143_545:                            ; =>This Inner Loop Header: Depth=1
	s_clause 0x1
	s_load_b256 s[24:31], s[6:7], 0x4
	s_load_b128 s[16:19], s[6:7], 0x24
	s_load_b128 s[36:39], s[4:5], 0x0
	s_add_u32 s6, s6, 48
	s_addc_u32 s7, s7, 0
	s_add_i32 s13, s13, 4
	s_add_u32 s4, s4, 16
	s_addc_u32 s5, s5, 0
	s_cmp_lg_u32 s12, s13
	s_waitcnt lgkmcnt(0)
	v_mul_hi_u32 v3, s25, v2
	s_delay_alu instid0(VALU_DEP_1) | instskip(NEXT) | instid1(VALU_DEP_1)
	v_add_nc_u32_e32 v3, v2, v3
	v_lshrrev_b32_e32 v3, s26, v3
	s_delay_alu instid0(VALU_DEP_1) | instskip(SKIP_1) | instid1(VALU_DEP_2)
	v_mul_hi_u32 v7, s28, v3
	v_mul_lo_u32 v10, v3, s24
	v_add_nc_u32_e32 v7, v3, v7
	s_delay_alu instid0(VALU_DEP_2) | instskip(NEXT) | instid1(VALU_DEP_2)
	v_sub_nc_u32_e32 v10, v2, v10
	v_lshrrev_b32_e32 v7, s29, v7
	s_delay_alu instid0(VALU_DEP_2) | instskip(NEXT) | instid1(VALU_DEP_2)
	v_mul_lo_u32 v10, v10, s36
	v_mul_hi_u32 v8, s31, v7
	v_mul_lo_u32 v11, v7, s27
	s_delay_alu instid0(VALU_DEP_2) | instskip(NEXT) | instid1(VALU_DEP_2)
	v_add_nc_u32_e32 v8, v7, v8
	v_sub_nc_u32_e32 v3, v3, v11
	s_delay_alu instid0(VALU_DEP_2) | instskip(NEXT) | instid1(VALU_DEP_2)
	v_lshrrev_b32_e32 v8, s16, v8
	v_mul_lo_u32 v3, v3, s37
	s_delay_alu instid0(VALU_DEP_2) | instskip(NEXT) | instid1(VALU_DEP_2)
	v_mul_hi_u32 v9, s18, v8
	v_add3_u32 v3, v10, v4, v3
	s_delay_alu instid0(VALU_DEP_2) | instskip(NEXT) | instid1(VALU_DEP_1)
	v_add_nc_u32_e32 v9, v8, v9
	v_lshrrev_b32_e32 v2, s19, v9
	v_mul_lo_u32 v9, v8, s30
	s_delay_alu instid0(VALU_DEP_2) | instskip(NEXT) | instid1(VALU_DEP_2)
	v_mul_lo_u32 v12, v2, s17
	v_sub_nc_u32_e32 v7, v7, v9
	s_delay_alu instid0(VALU_DEP_2) | instskip(NEXT) | instid1(VALU_DEP_2)
	v_sub_nc_u32_e32 v8, v8, v12
	v_mul_lo_u32 v7, v7, s38
	s_delay_alu instid0(VALU_DEP_2) | instskip(NEXT) | instid1(VALU_DEP_1)
	v_mul_lo_u32 v8, v8, s39
	v_add3_u32 v4, v7, v3, v8
	s_cbranch_scc1 .LBB143_545
; %bb.546:
	s_and_b32 s11, s11, 3
	s_delay_alu instid0(SALU_CYCLE_1)
	s_cmp_eq_u32 s11, 0
	s_cbranch_scc0 .LBB143_549
	s_branch .LBB143_551
.LBB143_547:
	s_mov_b32 s10, -1
                                        ; implicit-def: $vgpr4
	s_branch .LBB143_551
.LBB143_548:
	v_mov_b32_e32 v2, v1
	s_and_b32 s11, s11, 3
	s_delay_alu instid0(SALU_CYCLE_1)
	s_cmp_eq_u32 s11, 0
	s_cbranch_scc1 .LBB143_551
.LBB143_549:
	s_lshl_b32 s4, s12, 2
	s_mul_i32 s6, s12, 12
	s_add_u32 s4, s4, s2
	s_addc_u32 s5, 0, s3
	s_add_u32 s4, s4, 0xc4
	s_addc_u32 s5, s5, 0
	s_add_u32 s6, s2, s6
	s_addc_u32 s7, 0, s3
	.p2align	6
.LBB143_550:                            ; =>This Inner Loop Header: Depth=1
	s_clause 0x1
	s_load_b64 s[12:13], s[6:7], 0x4
	s_load_b32 s14, s[6:7], 0xc
	s_add_u32 s6, s6, 12
	s_addc_u32 s7, s7, 0
	s_waitcnt lgkmcnt(0)
	v_mul_hi_u32 v3, s13, v2
	s_load_b32 s13, s[4:5], 0x0
	s_add_u32 s4, s4, 4
	s_addc_u32 s5, s5, 0
	s_add_i32 s11, s11, -1
	s_delay_alu instid0(SALU_CYCLE_1) | instskip(NEXT) | instid1(VALU_DEP_1)
	s_cmp_lg_u32 s11, 0
	v_add_nc_u32_e32 v3, v2, v3
	s_delay_alu instid0(VALU_DEP_1) | instskip(NEXT) | instid1(VALU_DEP_1)
	v_lshrrev_b32_e32 v3, s14, v3
	v_mul_lo_u32 v7, v3, s12
	s_delay_alu instid0(VALU_DEP_1) | instskip(SKIP_1) | instid1(VALU_DEP_1)
	v_sub_nc_u32_e32 v2, v2, v7
	s_waitcnt lgkmcnt(0)
	v_mad_u64_u32 v[7:8], null, v2, s13, v[4:5]
	v_mov_b32_e32 v2, v3
	s_delay_alu instid0(VALU_DEP_2)
	v_mov_b32_e32 v4, v7
	s_cbranch_scc1 .LBB143_550
.LBB143_551:
	s_and_not1_b32 vcc_lo, exec_lo, s10
	s_cbranch_vccnz .LBB143_554
; %bb.552:
	s_load_b128 s[4:7], s[2:3], 0x4
	s_waitcnt lgkmcnt(0)
	s_load_b32 s7, s[2:3], 0xc4
	s_cmp_lt_u32 s20, 2
	v_mul_hi_u32 v2, s5, v1
	s_delay_alu instid0(VALU_DEP_1) | instskip(NEXT) | instid1(VALU_DEP_1)
	v_add_nc_u32_e32 v2, v1, v2
	v_lshrrev_b32_e32 v2, s6, v2
	s_delay_alu instid0(VALU_DEP_1) | instskip(NEXT) | instid1(VALU_DEP_1)
	v_mul_lo_u32 v3, v2, s4
	v_sub_nc_u32_e32 v1, v1, v3
	s_waitcnt lgkmcnt(0)
	s_delay_alu instid0(VALU_DEP_1)
	v_mul_lo_u32 v4, v1, s7
	s_cbranch_scc1 .LBB143_554
; %bb.553:
	s_load_b128 s[4:7], s[2:3], 0x10
	s_waitcnt lgkmcnt(0)
	s_load_b32 s7, s[2:3], 0xc8
	v_mul_hi_u32 v1, s5, v2
	s_delay_alu instid0(VALU_DEP_1) | instskip(NEXT) | instid1(VALU_DEP_1)
	v_add_nc_u32_e32 v1, v2, v1
	v_lshrrev_b32_e32 v1, s6, v1
	s_delay_alu instid0(VALU_DEP_1) | instskip(NEXT) | instid1(VALU_DEP_1)
	v_mul_lo_u32 v1, v1, s4
	v_sub_nc_u32_e32 v3, v2, v1
	s_waitcnt lgkmcnt(0)
	s_delay_alu instid0(VALU_DEP_1) | instskip(NEXT) | instid1(VALU_DEP_1)
	v_mad_u64_u32 v[1:2], null, v3, s7, v[4:5]
	v_mov_b32_e32 v4, v1
.LBB143_554:
	s_clause 0x1
	s_load_b32 s6, s[2:3], 0x110
	s_load_b64 s[2:3], s[2:3], 0x108
	s_mov_b32 s5, 0
	s_mov_b32 s7, s8
	s_waitcnt lgkmcnt(0)
	v_lshrrev_b16 v9, 8, s6
	v_add_co_u32 v7, s4, s2, v0
	s_delay_alu instid0(VALU_DEP_1) | instskip(NEXT) | instid1(VALU_DEP_3)
	v_add_co_ci_u32_e64 v8, null, s3, 0, s4
	v_cmp_gt_i16_e32 vcc_lo, 11, v9
	s_mov_b32 s4, -1
	s_cbranch_vccnz .LBB143_722
; %bb.555:
	v_cmp_lt_i16_e32 vcc_lo, 25, v9
	s_mov_b32 s7, -1
	s_mov_b32 s10, 0
	s_mov_b32 s4, 0
	s_cbranch_vccz .LBB143_624
; %bb.556:
	v_cmp_lt_i16_e32 vcc_lo, 28, v9
	s_cbranch_vccz .LBB143_599
; %bb.557:
	v_cmp_lt_i16_e32 vcc_lo, 43, v9
	;; [unrolled: 3-line block ×3, first 2 shown]
	s_cbranch_vccz .LBB143_572
; %bb.559:
	v_cmp_eq_u16_e32 vcc_lo, 46, v9
	s_mov_b32 s4, -1
	s_mov_b32 s7, 0
	s_cbranch_vccz .LBB143_572
; %bb.560:
	v_and_b32_e64 v0, 0xff, s6
	s_delay_alu instid0(VALU_DEP_1)
	v_cmp_gt_i16_e32 vcc_lo, 0x80, v0
	s_cbranch_vccnz .LBB143_563
; %bb.561:
	v_cmp_eq_u16_e32 vcc_lo, 0x80, v0
	s_cbranch_vccz .LBB143_565
; %bb.562:
	s_mov_b32 s4, 0x7f800001
	s_branch .LBB143_566
.LBB143_563:
	s_mov_b32 s11, -1
                                        ; implicit-def: $sgpr4
	s_branch .LBB143_567
.LBB143_564:
	s_mov_b32 s36, -1
	s_mov_b32 s19, 0
                                        ; implicit-def: $sgpr16_sgpr17
	s_branch .LBB143_874
.LBB143_565:
	s_mov_b32 s5, -1
                                        ; implicit-def: $sgpr4
.LBB143_566:
	s_mov_b32 s11, 0
.LBB143_567:
	s_delay_alu instid0(SALU_CYCLE_1)
	s_and_b32 vcc_lo, exec_lo, s11
	s_cbranch_vccz .LBB143_569
; %bb.568:
	v_cmp_ne_u16_e64 s5, 0, v0
	s_mov_b32 s4, 0
.LBB143_569:
	s_delay_alu instid0(VALU_DEP_1)
	s_and_not1_b32 vcc_lo, exec_lo, s5
	s_cbranch_vccnz .LBB143_571
; %bb.570:
	v_lshrrev_b16 v0, 3, s6
	s_and_b32 s4, s6, 7
	s_lshl_b32 s13, s6, 24
	s_clz_i32_u32 s5, s4
	s_delay_alu instid0(SALU_CYCLE_1) | instskip(SKIP_4) | instid1(VALU_DEP_1)
	s_min_u32 s5, s5, 32
	v_readfirstlane_b32 s11, v0
	s_sub_i32 s12, s5, 28
	s_sub_i32 s5, 29, s5
	s_lshl_b32 s12, s6, s12
	s_and_b32 s11, s11, 15
	s_and_b32 s12, s12, 7
	s_cmp_eq_u32 s11, 0
	s_cselect_b32 s5, s5, s11
	s_cselect_b32 s4, s12, s4
	s_lshl_b32 s5, s5, 23
	s_and_b32 s11, s13, 0x80000000
	s_add_i32 s5, s5, 0x3b800000
	s_lshl_b32 s4, s4, 20
	s_or_b32 s5, s11, s5
	s_delay_alu instid0(SALU_CYCLE_1)
	s_or_b32 s4, s5, s4
.LBB143_571:
	s_delay_alu instid0(SALU_CYCLE_1) | instskip(NEXT) | instid1(SALU_CYCLE_1)
	s_bfe_u32 s5, s4, 0x10010
	s_add_i32 s5, s4, s5
	v_cmp_o_f32_e64 s4, s4, s4
	s_addk_i32 s5, 0x7fff
	s_delay_alu instid0(SALU_CYCLE_1) | instskip(NEXT) | instid1(VALU_DEP_1)
	s_lshr_b32 s5, s5, 16
	s_and_b32 s4, s4, exec_lo
	s_cselect_b32 s4, s5, 0x7fc0
	s_mov_b32 s5, -1
	v_mov_b32_e32 v0, s4
	s_mov_b32 s4, 0
	global_store_b32 v[7:8], v0, off
.LBB143_572:
	s_and_b32 vcc_lo, exec_lo, s7
	s_cbranch_vccz .LBB143_585
; %bb.573:
	v_cmp_eq_u16_e32 vcc_lo, 44, v9
	s_mov_b32 s4, -1
	s_cbranch_vccz .LBB143_585
; %bb.574:
	v_and_b32_e64 v0, 0xff, s6
	s_delay_alu instid0(VALU_DEP_1)
	v_cmp_gt_i16_e32 vcc_lo, 0x80, v0
	v_readfirstlane_b32 s5, v0
	s_cbranch_vccnz .LBB143_577
; %bb.575:
	s_delay_alu instid0(VALU_DEP_1) | instskip(NEXT) | instid1(VALU_DEP_1)
	v_cmp_eq_u16_e64 s4, 0x80, s5
	s_and_b32 vcc_lo, exec_lo, s4
	s_cbranch_vccz .LBB143_578
; %bb.576:
	s_mov_b32 s7, 0
	s_mov_b32 s4, 0x7f800001
	s_branch .LBB143_579
.LBB143_577:
	s_mov_b32 s11, -1
	s_mov_b32 s7, 0
                                        ; implicit-def: $sgpr4
	s_branch .LBB143_580
.LBB143_578:
	s_mov_b32 s7, -1
                                        ; implicit-def: $sgpr4
.LBB143_579:
	s_mov_b32 s11, 0
.LBB143_580:
	s_delay_alu instid0(SALU_CYCLE_1)
	s_and_b32 vcc_lo, exec_lo, s11
	s_cbranch_vccz .LBB143_590
; %bb.581:
	v_cmp_ne_u16_e64 s7, s5, 0
	s_and_b32 s4, 0xffff, s5
	s_delay_alu instid0(VALU_DEP_1)
	s_and_not1_b32 vcc_lo, exec_lo, s7
	s_cbranch_vccz .LBB143_591
.LBB143_582:
	v_mov_b32_e32 v0, 0xff
	s_bfe_u32 s5, s4, 0x80017
	s_delay_alu instid0(SALU_CYCLE_1)
	s_cmpk_eq_i32 s5, 0xff
	s_cbranch_scc1 .LBB143_584
.LBB143_583:
	s_lshr_b32 s7, s4, 23
	s_bitcmp1_b32 s4, 22
	s_cselect_b32 s11, -1, 0
	s_and_b32 s4, s4, 0x3fffff
	s_delay_alu instid0(SALU_CYCLE_1) | instskip(NEXT) | instid1(SALU_CYCLE_1)
	s_or_b32 s4, s5, s4
	s_cmp_lg_u32 s4, 0
	s_cselect_b32 s4, -1, 0
	s_delay_alu instid0(SALU_CYCLE_1) | instskip(NEXT) | instid1(SALU_CYCLE_1)
	s_and_b32 s4, s11, s4
	v_cndmask_b32_e64 v0, 0, 1, s4
	s_delay_alu instid0(VALU_DEP_1)
	v_add_nc_u32_e32 v0, s7, v0
.LBB143_584:
	s_mov_b32 s4, 0
	s_mov_b32 s5, -1
	global_store_b8 v[7:8], v0, off
.LBB143_585:
	s_mov_b32 s7, 0
.LBB143_586:
	s_delay_alu instid0(SALU_CYCLE_1)
	s_and_b32 vcc_lo, exec_lo, s7
	s_cbranch_vccz .LBB143_598
; %bb.587:
	v_cmp_eq_u16_e32 vcc_lo, 29, v9
	s_mov_b32 s4, -1
	s_cbranch_vccz .LBB143_598
; %bb.588:
	v_and_b32_e64 v0, 0xff, s6
	s_delay_alu instid0(VALU_DEP_1)
	v_cmp_gt_i16_e32 vcc_lo, 0x80, v0
	s_cbranch_vccnz .LBB143_592
; %bb.589:
	v_cmp_ne_u16_e64 s7, 0x80, v0
	s_mov_b32 s11, 0
	s_mov_b64 s[4:5], 0
	s_branch .LBB143_593
.LBB143_590:
	s_and_not1_b32 vcc_lo, exec_lo, s7
	s_cbranch_vccnz .LBB143_582
.LBB143_591:
	v_lshrrev_b16 v0, 3, s6
	s_and_b32 s4, s6, 7
	s_delay_alu instid0(SALU_CYCLE_1) | instskip(NEXT) | instid1(SALU_CYCLE_1)
	s_clz_i32_u32 s5, s4
	s_min_u32 s5, s5, 32
	s_delay_alu instid0(VALU_DEP_1) | instskip(SKIP_3) | instid1(VALU_DEP_1)
	v_readfirstlane_b32 s7, v0
	s_sub_i32 s11, s5, 28
	s_sub_i32 s5, 29, s5
	s_lshl_b32 s11, s6, s11
	s_and_b32 s7, s7, 15
	s_and_b32 s11, s11, 7
	s_cmp_eq_u32 s7, 0
	s_cselect_b32 s4, s11, s4
	s_cselect_b32 s5, s5, s7
	s_lshl_b32 s4, s4, 20
	s_lshl_b32 s5, s5, 23
	s_delay_alu instid0(SALU_CYCLE_1) | instskip(NEXT) | instid1(SALU_CYCLE_1)
	s_or_b32 s4, s5, s4
	s_add_i32 s4, s4, 0x3b800000
	v_mov_b32_e32 v0, 0xff
	s_bfe_u32 s5, s4, 0x80017
	s_delay_alu instid0(SALU_CYCLE_1)
	s_cmpk_eq_i32 s5, 0xff
	s_cbranch_scc0 .LBB143_583
	s_branch .LBB143_584
.LBB143_592:
	s_mov_b32 s11, -1
	s_mov_b32 s7, 0
                                        ; implicit-def: $sgpr4_sgpr5
.LBB143_593:
	s_and_not1_b32 vcc_lo, exec_lo, s11
	s_cbranch_vccnz .LBB143_595
; %bb.594:
	v_cmp_ne_u16_e64 s7, 0, v0
	s_mov_b64 s[4:5], 0
.LBB143_595:
	s_delay_alu instid0(SALU_CYCLE_1) | instskip(NEXT) | instid1(VALU_DEP_2)
	v_dual_mov_b32 v0, s4 :: v_dual_mov_b32 v1, s5
	s_and_not1_b32 vcc_lo, exec_lo, s7
	s_cbranch_vccnz .LBB143_597
; %bb.596:
	v_lshrrev_b16 v0, 3, s6
	s_and_b32 s4, s6, 7
	s_lshl_b32 s11, s6, 24
	s_clz_i32_u32 s5, s4
	s_delay_alu instid0(SALU_CYCLE_1) | instskip(SKIP_4) | instid1(VALU_DEP_1)
	s_min_u32 s5, s5, 32
	v_readfirstlane_b32 s7, v0
	s_sub_i32 s12, s5, 28
	s_sub_i32 s5, 29, s5
	s_lshl_b32 s12, s6, s12
	s_and_b32 s7, s7, 15
	s_and_b32 s12, s12, 7
	s_cmp_eq_u32 s7, 0
	s_cselect_b32 s5, s5, s7
	s_cselect_b32 s4, s12, s4
	s_lshl_b32 s5, s5, 23
	s_and_b32 s7, s11, 0x80000000
	s_add_i32 s5, s5, 0x3b800000
	s_lshl_b32 s4, s4, 20
	s_or_b32 s5, s7, s5
	s_delay_alu instid0(SALU_CYCLE_1) | instskip(NEXT) | instid1(SALU_CYCLE_1)
	s_or_b32 s4, s5, s4
	v_trunc_f32_e32 v0, s4
	s_delay_alu instid0(VALU_DEP_1) | instskip(NEXT) | instid1(VALU_DEP_1)
	v_mul_f32_e32 v1, 0x2f800000, v0
	v_floor_f32_e32 v1, v1
	s_delay_alu instid0(VALU_DEP_1) | instskip(SKIP_1) | instid1(VALU_DEP_2)
	v_fmamk_f32 v0, v1, 0xcf800000, v0
	v_cvt_u32_f32_e32 v1, v1
	v_cvt_u32_f32_e32 v0, v0
.LBB143_597:
	s_mov_b32 s4, 0
	s_mov_b32 s5, -1
	global_store_b64 v[7:8], v[0:1], off
.LBB143_598:
	s_mov_b32 s7, 0
.LBB143_599:
	s_delay_alu instid0(SALU_CYCLE_1)
	s_and_b32 vcc_lo, exec_lo, s7
	s_cbranch_vccz .LBB143_623
; %bb.600:
	v_cmp_gt_i16_e32 vcc_lo, 27, v9
	s_mov_b32 s5, -1
	s_cbranch_vccnz .LBB143_620
; %bb.601:
	v_cmp_lt_i16_e32 vcc_lo, 27, v9
	s_cbranch_vccz .LBB143_610
; %bb.602:
	v_and_b32_e64 v0, 0xff, s6
	s_delay_alu instid0(VALU_DEP_1)
	v_cmp_gt_i16_e32 vcc_lo, 0x80, v0
	s_cbranch_vccnz .LBB143_604
; %bb.603:
	v_cmp_ne_u16_e64 s5, 0x80, v0
	s_mov_b32 s11, 0
	s_mov_b32 s7, 0
	s_branch .LBB143_605
.LBB143_604:
	s_mov_b32 s11, -1
	s_mov_b32 s5, 0
                                        ; implicit-def: $sgpr7
.LBB143_605:
	s_and_not1_b32 vcc_lo, exec_lo, s11
	s_cbranch_vccnz .LBB143_607
; %bb.606:
	v_cmp_ne_u16_e64 s5, 0, v0
	s_mov_b32 s7, 0
.LBB143_607:
	s_delay_alu instid0(SALU_CYCLE_1) | instskip(NEXT) | instid1(VALU_DEP_2)
	v_mov_b32_e32 v0, s7
	s_and_not1_b32 vcc_lo, exec_lo, s5
	s_cbranch_vccnz .LBB143_609
; %bb.608:
	v_lshrrev_b16 v0, 3, s6
	s_and_b32 s5, s6, 7
	s_lshl_b32 s13, s6, 24
	s_clz_i32_u32 s7, s5
	s_delay_alu instid0(SALU_CYCLE_1) | instskip(SKIP_4) | instid1(VALU_DEP_1)
	s_min_u32 s7, s7, 32
	v_readfirstlane_b32 s11, v0
	s_sub_i32 s12, s7, 28
	s_sub_i32 s7, 29, s7
	s_lshl_b32 s12, s6, s12
	s_and_b32 s11, s11, 15
	s_and_b32 s12, s12, 7
	s_cmp_eq_u32 s11, 0
	s_cselect_b32 s7, s7, s11
	s_cselect_b32 s5, s12, s5
	s_lshl_b32 s7, s7, 23
	s_and_b32 s11, s13, 0x80000000
	s_add_i32 s7, s7, 0x3b800000
	s_lshl_b32 s5, s5, 20
	s_or_b32 s7, s11, s7
	s_delay_alu instid0(SALU_CYCLE_1) | instskip(NEXT) | instid1(SALU_CYCLE_1)
	s_or_b32 s5, s7, s5
	v_cvt_u32_f32_e32 v0, s5
.LBB143_609:
	s_mov_b32 s5, 0
	global_store_b32 v[7:8], v0, off
.LBB143_610:
	s_and_b32 vcc_lo, exec_lo, s5
	s_cbranch_vccz .LBB143_619
; %bb.611:
	v_and_b32_e64 v0, 0xff, s6
	s_delay_alu instid0(VALU_DEP_1)
	v_cmp_gt_i16_e32 vcc_lo, 0x80, v0
	s_cbranch_vccnz .LBB143_613
; %bb.612:
	v_cmp_ne_u16_e64 s5, 0x80, v0
	s_mov_b32 s11, 0
	s_mov_b32 s7, 0
	s_branch .LBB143_614
.LBB143_613:
	s_mov_b32 s11, -1
	s_mov_b32 s5, 0
                                        ; implicit-def: $sgpr7
.LBB143_614:
	s_and_not1_b32 vcc_lo, exec_lo, s11
	s_cbranch_vccnz .LBB143_616
; %bb.615:
	v_cmp_ne_u16_e64 s5, 0, v0
	s_mov_b32 s7, 0
.LBB143_616:
	s_delay_alu instid0(SALU_CYCLE_1) | instskip(NEXT) | instid1(VALU_DEP_2)
	v_mov_b32_e32 v0, s7
	s_and_not1_b32 vcc_lo, exec_lo, s5
	s_cbranch_vccnz .LBB143_618
; %bb.617:
	v_lshrrev_b16 v0, 3, s6
	s_and_b32 s5, s6, 7
	s_lshl_b32 s13, s6, 24
	s_clz_i32_u32 s7, s5
	s_delay_alu instid0(SALU_CYCLE_1) | instskip(SKIP_4) | instid1(VALU_DEP_1)
	s_min_u32 s7, s7, 32
	v_readfirstlane_b32 s11, v0
	s_sub_i32 s12, s7, 28
	s_sub_i32 s7, 29, s7
	s_lshl_b32 s12, s6, s12
	s_and_b32 s11, s11, 15
	s_and_b32 s12, s12, 7
	s_cmp_eq_u32 s11, 0
	s_cselect_b32 s7, s7, s11
	s_cselect_b32 s5, s12, s5
	s_lshl_b32 s7, s7, 23
	s_and_b32 s11, s13, 0x80000000
	s_add_i32 s7, s7, 0x3b800000
	s_lshl_b32 s5, s5, 20
	s_or_b32 s7, s11, s7
	s_delay_alu instid0(SALU_CYCLE_1) | instskip(NEXT) | instid1(SALU_CYCLE_1)
	s_or_b32 s5, s7, s5
	v_cvt_u32_f32_e32 v0, s5
.LBB143_618:
	global_store_b16 v[7:8], v0, off
.LBB143_619:
	s_mov_b32 s5, 0
.LBB143_620:
	s_delay_alu instid0(SALU_CYCLE_1)
	s_and_not1_b32 vcc_lo, exec_lo, s5
	s_cbranch_vccnz .LBB143_622
; %bb.621:
	v_mov_b32_e32 v0, s6
	global_store_b8 v[7:8], v0, off
.LBB143_622:
	s_mov_b32 s5, -1
.LBB143_623:
	s_mov_b32 s7, 0
.LBB143_624:
	s_delay_alu instid0(SALU_CYCLE_1)
	s_and_b32 vcc_lo, exec_lo, s7
	s_cbranch_vccz .LBB143_709
; %bb.625:
	v_cmp_lt_i16_e32 vcc_lo, 22, v9
	s_mov_b32 s7, -1
	s_cbranch_vccz .LBB143_692
; %bb.626:
	v_cmp_gt_i16_e32 vcc_lo, 24, v9
	s_mov_b32 s5, -1
	s_cbranch_vccnz .LBB143_669
; %bb.627:
	v_cmp_lt_i16_e32 vcc_lo, 24, v9
	s_cbranch_vccz .LBB143_646
; %bb.628:
	v_and_b32_e64 v0, 0xff, s6
	s_delay_alu instid0(VALU_DEP_1)
	v_cmp_gt_i16_e32 vcc_lo, 0x80, v0
	s_cbranch_vccnz .LBB143_631
; %bb.629:
	v_cmp_eq_u16_e32 vcc_lo, 0x80, v0
	s_cbranch_vccz .LBB143_632
; %bb.630:
	s_mov_b32 s7, 0
	s_mov_b32 s5, 0x7f800001
	s_branch .LBB143_633
.LBB143_631:
	s_mov_b32 s10, -1
	s_mov_b32 s7, 0
.LBB143_632:
                                        ; implicit-def: $sgpr5
.LBB143_633:
	s_and_b32 vcc_lo, exec_lo, s10
	s_cbranch_vccz .LBB143_636
; %bb.634:
	v_cmp_ne_u16_e64 s7, 0, v0
	s_mov_b32 s5, 0
	s_delay_alu instid0(VALU_DEP_1)
	s_and_not1_b32 vcc_lo, exec_lo, s7
	s_cbranch_vccz .LBB143_637
.LBB143_635:
	v_mov_b32_e32 v1, 0x80
	s_and_b32 s7, s5, 0x7fffffff
	s_delay_alu instid0(SALU_CYCLE_1)
	s_cmp_gt_u32 s7, 0x477fffff
	s_cbranch_scc0 .LBB143_638
	s_branch .LBB143_645
.LBB143_636:
	s_and_not1_b32 vcc_lo, exec_lo, s7
	s_cbranch_vccnz .LBB143_635
.LBB143_637:
	v_lshrrev_b16 v0, 3, s6
	s_and_b32 s5, s6, 7
	s_lshl_b32 s12, s6, 24
	s_clz_i32_u32 s7, s5
	s_delay_alu instid0(SALU_CYCLE_1) | instskip(SKIP_4) | instid1(VALU_DEP_1)
	s_min_u32 s7, s7, 32
	v_readfirstlane_b32 s10, v0
	s_sub_i32 s11, s7, 28
	s_sub_i32 s7, 29, s7
	s_lshl_b32 s11, s6, s11
	s_and_b32 s10, s10, 15
	s_and_b32 s11, s11, 7
	s_cmp_eq_u32 s10, 0
	s_cselect_b32 s7, s7, s10
	s_cselect_b32 s5, s11, s5
	s_lshl_b32 s7, s7, 23
	s_and_b32 s10, s12, 0x80000000
	s_add_i32 s7, s7, 0x3b800000
	s_lshl_b32 s5, s5, 20
	s_or_b32 s7, s10, s7
	s_delay_alu instid0(SALU_CYCLE_1) | instskip(SKIP_2) | instid1(SALU_CYCLE_1)
	s_or_b32 s5, s7, s5
	v_mov_b32_e32 v1, 0x80
	s_and_b32 s7, s5, 0x7fffffff
	s_cmp_gt_u32 s7, 0x477fffff
	s_cbranch_scc1 .LBB143_645
.LBB143_638:
	s_cmp_gt_u32 s7, 0x37ffffff
	s_cbranch_scc0 .LBB143_640
; %bb.639:
	s_bfe_u32 s7, s5, 0x10015
	s_mov_b32 s10, 0
	s_add_i32 s7, s5, s7
	s_delay_alu instid0(SALU_CYCLE_1) | instskip(NEXT) | instid1(SALU_CYCLE_1)
	s_add_i32 s7, s7, 0x88fffff
	s_lshr_b32 s11, s7, 21
	s_mov_b32 s7, -1
	s_branch .LBB143_641
.LBB143_640:
	s_mov_b32 s10, -1
	s_mov_b32 s7, 0
                                        ; implicit-def: $sgpr11
.LBB143_641:
	v_mov_b32_e32 v0, s11
	s_and_not1_b32 vcc_lo, exec_lo, s10
                                        ; implicit-def: $sgpr10
	s_cbranch_vccnz .LBB143_643
; %bb.642:
	v_add_f32_e64 v0, 0x42800000, |s5|
	s_mov_b32 s10, 0
	s_delay_alu instid0(VALU_DEP_1) | instskip(NEXT) | instid1(VALU_DEP_1)
	v_and_b32_e32 v0, 0xff, v0
	v_cmp_ne_u32_e64 s7, 0, v0
.LBB143_643:
	v_mov_b32_e32 v1, s10
	s_delay_alu instid0(VALU_DEP_2)
	s_and_not1_b32 vcc_lo, exec_lo, s7
	s_cbranch_vccnz .LBB143_645
; %bb.644:
	s_lshr_b32 s5, s5, 24
	s_delay_alu instid0(SALU_CYCLE_1) | instskip(NEXT) | instid1(SALU_CYCLE_1)
	s_and_b32 s5, s5, 0x80
	v_or_b32_e32 v1, s5, v0
.LBB143_645:
	s_mov_b32 s5, 0
	global_store_b8 v[7:8], v1, off
.LBB143_646:
	s_and_b32 vcc_lo, exec_lo, s5
	s_cbranch_vccz .LBB143_668
; %bb.647:
	v_and_b32_e64 v0, 0xff, s6
	s_delay_alu instid0(VALU_DEP_1)
	v_cmp_gt_i16_e32 vcc_lo, 0x80, v0
	s_cbranch_vccnz .LBB143_650
; %bb.648:
	v_cmp_eq_u16_e32 vcc_lo, 0x80, v0
	s_cbranch_vccz .LBB143_651
; %bb.649:
	s_mov_b32 s7, 0
	s_mov_b32 s5, 0x7f800001
	s_branch .LBB143_652
.LBB143_650:
	s_mov_b32 s10, -1
	s_mov_b32 s7, 0
                                        ; implicit-def: $sgpr5
	s_branch .LBB143_653
.LBB143_651:
	s_mov_b32 s7, -1
                                        ; implicit-def: $sgpr5
.LBB143_652:
	s_mov_b32 s10, 0
.LBB143_653:
	s_delay_alu instid0(SALU_CYCLE_1)
	s_and_b32 vcc_lo, exec_lo, s10
	s_cbranch_vccz .LBB143_658
; %bb.654:
	v_cmp_ne_u16_e64 s7, 0, v0
	s_mov_b32 s5, 0
	s_delay_alu instid0(VALU_DEP_1)
	s_and_not1_b32 vcc_lo, exec_lo, s7
	s_cbranch_vccz .LBB143_659
.LBB143_655:
	s_and_b32 s7, s5, 0x7fffffff
	s_delay_alu instid0(SALU_CYCLE_1)
	s_cmp_lt_u32 s7, 0x43f00000
	s_cbranch_scc0 .LBB143_660
.LBB143_656:
	s_cmp_gt_u32 s7, 0x3c7fffff
	s_cbranch_scc0 .LBB143_661
; %bb.657:
	s_bfe_u32 s10, s5, 0x10014
	s_delay_alu instid0(SALU_CYCLE_1) | instskip(NEXT) | instid1(SALU_CYCLE_1)
	s_add_i32 s10, s5, s10
	s_add_i32 s10, s10, 0x407ffff
	s_delay_alu instid0(SALU_CYCLE_1)
	s_and_b32 s11, s10, 0xff00000
	s_lshr_b32 s10, s10, 20
	s_cmp_lg_u32 s11, 0x7f00000
	s_cselect_b32 s11, s10, 0x7e
	s_mov_b32 s10, 0
	s_branch .LBB143_662
.LBB143_658:
	s_and_not1_b32 vcc_lo, exec_lo, s7
	s_cbranch_vccnz .LBB143_655
.LBB143_659:
	v_lshrrev_b16 v0, 3, s6
	s_and_b32 s5, s6, 7
	s_lshl_b32 s12, s6, 24
	s_clz_i32_u32 s7, s5
	s_delay_alu instid0(SALU_CYCLE_1) | instskip(SKIP_4) | instid1(VALU_DEP_1)
	s_min_u32 s7, s7, 32
	v_readfirstlane_b32 s10, v0
	s_sub_i32 s11, s7, 28
	s_sub_i32 s7, 29, s7
	s_lshl_b32 s11, s6, s11
	s_and_b32 s10, s10, 15
	s_and_b32 s11, s11, 7
	s_cmp_eq_u32 s10, 0
	s_cselect_b32 s7, s7, s10
	s_cselect_b32 s5, s11, s5
	s_lshl_b32 s7, s7, 23
	s_and_b32 s10, s12, 0x80000000
	s_add_i32 s7, s7, 0x3b800000
	s_lshl_b32 s5, s5, 20
	s_or_b32 s7, s10, s7
	s_delay_alu instid0(SALU_CYCLE_1) | instskip(NEXT) | instid1(SALU_CYCLE_1)
	s_or_b32 s5, s7, s5
	s_and_b32 s7, s5, 0x7fffffff
	s_delay_alu instid0(SALU_CYCLE_1)
	s_cmp_lt_u32 s7, 0x43f00000
	s_cbranch_scc1 .LBB143_656
.LBB143_660:
	s_mov_b32 s10, -1
                                        ; implicit-def: $vgpr0
	s_branch .LBB143_665
.LBB143_661:
	s_mov_b32 s10, -1
                                        ; implicit-def: $sgpr11
.LBB143_662:
	v_mov_b32_e32 v0, s11
	s_and_not1_b32 vcc_lo, exec_lo, s10
	s_cbranch_vccnz .LBB143_664
; %bb.663:
	v_add_f32_e64 v0, 0x46800000, |s5|
.LBB143_664:
	s_mov_b32 s10, 0
.LBB143_665:
	s_delay_alu instid0(SALU_CYCLE_1)
	s_and_not1_b32 vcc_lo, exec_lo, s10
	s_cbranch_vccnz .LBB143_667
; %bb.666:
	s_cmp_gt_u32 s7, 0x7f800000
	s_movk_i32 s7, 0x7f
	s_delay_alu instid0(SALU_CYCLE_1) | instskip(NEXT) | instid1(SALU_CYCLE_1)
	s_cselect_b32 s7, s7, 0x7e
	v_mov_b32_e32 v0, s7
.LBB143_667:
	s_lshr_b32 s5, s5, 24
	s_delay_alu instid0(SALU_CYCLE_1)
	s_and_b32 s5, s5, 0x80
	s_delay_alu instid0(VALU_DEP_1) | instid1(SALU_CYCLE_1)
	v_or_b32_e32 v0, s5, v0
	global_store_b8 v[7:8], v0, off
.LBB143_668:
	s_mov_b32 s5, 0
.LBB143_669:
	s_delay_alu instid0(SALU_CYCLE_1)
	s_and_not1_b32 vcc_lo, exec_lo, s5
	s_cbranch_vccnz .LBB143_691
; %bb.670:
	v_and_b32_e64 v0, 0xff, s6
	s_delay_alu instid0(VALU_DEP_1)
	v_cmp_gt_i16_e32 vcc_lo, 0x80, v0
	s_cbranch_vccnz .LBB143_673
; %bb.671:
	v_cmp_eq_u16_e32 vcc_lo, 0x80, v0
	s_cbranch_vccz .LBB143_674
; %bb.672:
	s_mov_b32 s7, 0
	s_mov_b32 s5, 0x7f800001
	s_branch .LBB143_675
.LBB143_673:
	s_mov_b32 s10, -1
	s_mov_b32 s7, 0
                                        ; implicit-def: $sgpr5
	s_branch .LBB143_676
.LBB143_674:
	s_mov_b32 s7, -1
                                        ; implicit-def: $sgpr5
.LBB143_675:
	s_mov_b32 s10, 0
.LBB143_676:
	s_delay_alu instid0(SALU_CYCLE_1)
	s_and_b32 vcc_lo, exec_lo, s10
	s_cbranch_vccz .LBB143_681
; %bb.677:
	v_cmp_ne_u16_e64 s7, 0, v0
	s_mov_b32 s5, 0
	s_delay_alu instid0(VALU_DEP_1)
	s_and_not1_b32 vcc_lo, exec_lo, s7
	s_cbranch_vccz .LBB143_682
.LBB143_678:
	s_and_b32 s7, s5, 0x7fffffff
	s_delay_alu instid0(SALU_CYCLE_1)
	s_cmp_lt_u32 s7, 0x47800000
	s_cbranch_scc0 .LBB143_683
.LBB143_679:
	s_cmp_gt_u32 s7, 0x387fffff
	s_cbranch_scc0 .LBB143_684
; %bb.680:
	s_bfe_u32 s10, s5, 0x10015
	s_delay_alu instid0(SALU_CYCLE_1) | instskip(NEXT) | instid1(SALU_CYCLE_1)
	s_add_i32 s10, s5, s10
	s_add_i32 s10, s10, 0x80fffff
	s_delay_alu instid0(SALU_CYCLE_1)
	s_lshr_b32 s11, s10, 21
	s_mov_b32 s10, 0
	s_branch .LBB143_685
.LBB143_681:
	s_and_not1_b32 vcc_lo, exec_lo, s7
	s_cbranch_vccnz .LBB143_678
.LBB143_682:
	v_lshrrev_b16 v0, 3, s6
	s_and_b32 s5, s6, 7
	s_lshl_b32 s12, s6, 24
	s_clz_i32_u32 s7, s5
	s_delay_alu instid0(SALU_CYCLE_1) | instskip(SKIP_4) | instid1(VALU_DEP_1)
	s_min_u32 s7, s7, 32
	v_readfirstlane_b32 s10, v0
	s_sub_i32 s11, s7, 28
	s_sub_i32 s7, 29, s7
	s_lshl_b32 s11, s6, s11
	s_and_b32 s10, s10, 15
	s_and_b32 s11, s11, 7
	s_cmp_eq_u32 s10, 0
	s_cselect_b32 s7, s7, s10
	s_cselect_b32 s5, s11, s5
	s_lshl_b32 s7, s7, 23
	s_and_b32 s10, s12, 0x80000000
	s_add_i32 s7, s7, 0x3b800000
	s_lshl_b32 s5, s5, 20
	s_or_b32 s7, s10, s7
	s_delay_alu instid0(SALU_CYCLE_1) | instskip(NEXT) | instid1(SALU_CYCLE_1)
	s_or_b32 s5, s7, s5
	s_and_b32 s7, s5, 0x7fffffff
	s_delay_alu instid0(SALU_CYCLE_1)
	s_cmp_lt_u32 s7, 0x47800000
	s_cbranch_scc1 .LBB143_679
.LBB143_683:
	s_mov_b32 s10, -1
                                        ; implicit-def: $vgpr0
	s_branch .LBB143_688
.LBB143_684:
	s_mov_b32 s10, -1
                                        ; implicit-def: $sgpr11
.LBB143_685:
	v_mov_b32_e32 v0, s11
	s_and_not1_b32 vcc_lo, exec_lo, s10
	s_cbranch_vccnz .LBB143_687
; %bb.686:
	v_add_f32_e64 v0, 0x43000000, |s5|
.LBB143_687:
	s_mov_b32 s10, 0
.LBB143_688:
	s_delay_alu instid0(SALU_CYCLE_1)
	s_and_not1_b32 vcc_lo, exec_lo, s10
	s_cbranch_vccnz .LBB143_690
; %bb.689:
	s_cmp_gt_u32 s7, 0x7f800000
	s_movk_i32 s7, 0x7f
	s_delay_alu instid0(SALU_CYCLE_1) | instskip(NEXT) | instid1(SALU_CYCLE_1)
	s_cselect_b32 s7, s7, 0x7c
	v_mov_b32_e32 v0, s7
.LBB143_690:
	s_lshr_b32 s5, s5, 24
	s_delay_alu instid0(SALU_CYCLE_1)
	s_and_b32 s5, s5, 0x80
	s_delay_alu instid0(VALU_DEP_1) | instid1(SALU_CYCLE_1)
	v_or_b32_e32 v0, s5, v0
	global_store_b8 v[7:8], v0, off
.LBB143_691:
	s_mov_b32 s7, 0
	s_mov_b32 s5, -1
.LBB143_692:
	s_and_not1_b32 vcc_lo, exec_lo, s7
	s_mov_b32 s10, 0
	s_cbranch_vccnz .LBB143_709
; %bb.693:
	v_cmp_lt_i16_e32 vcc_lo, 14, v9
	s_mov_b32 s7, -1
	s_cbranch_vccz .LBB143_707
; %bb.694:
	v_cmp_eq_u16_e32 vcc_lo, 15, v9
	s_mov_b32 s4, -1
	s_cbranch_vccz .LBB143_706
; %bb.695:
	v_and_b32_e64 v0, 0xff, s6
	s_delay_alu instid0(VALU_DEP_1)
	v_cmp_gt_i16_e32 vcc_lo, 0x80, v0
	s_cbranch_vccnz .LBB143_698
; %bb.696:
	v_cmp_eq_u16_e32 vcc_lo, 0x80, v0
	s_cbranch_vccz .LBB143_699
; %bb.697:
	s_mov_b32 s5, 0
	s_mov_b32 s4, 0x7f800001
	s_branch .LBB143_700
.LBB143_698:
	s_mov_b32 s5, 0
                                        ; implicit-def: $sgpr4
	s_branch .LBB143_701
.LBB143_699:
	s_mov_b32 s5, -1
                                        ; implicit-def: $sgpr4
.LBB143_700:
	s_mov_b32 s7, 0
.LBB143_701:
	s_delay_alu instid0(SALU_CYCLE_1)
	s_and_b32 vcc_lo, exec_lo, s7
	s_cbranch_vccz .LBB143_703
; %bb.702:
	v_cmp_ne_u16_e64 s5, 0, v0
	s_mov_b32 s4, 0
.LBB143_703:
	s_delay_alu instid0(VALU_DEP_1)
	s_and_not1_b32 vcc_lo, exec_lo, s5
	s_cbranch_vccnz .LBB143_705
; %bb.704:
	v_lshrrev_b16 v0, 3, s6
	s_and_b32 s4, s6, 7
	s_lshl_b32 s11, s6, 24
	s_clz_i32_u32 s5, s4
	s_delay_alu instid0(SALU_CYCLE_1) | instskip(SKIP_4) | instid1(VALU_DEP_1)
	s_min_u32 s5, s5, 32
	v_readfirstlane_b32 s7, v0
	s_sub_i32 s10, s5, 28
	s_sub_i32 s5, 29, s5
	s_lshl_b32 s10, s6, s10
	s_and_b32 s7, s7, 15
	s_and_b32 s10, s10, 7
	s_cmp_eq_u32 s7, 0
	s_cselect_b32 s5, s5, s7
	s_cselect_b32 s4, s10, s4
	s_lshl_b32 s5, s5, 23
	s_and_b32 s7, s11, 0x80000000
	s_add_i32 s5, s5, 0x3b800000
	s_lshl_b32 s4, s4, 20
	s_or_b32 s5, s7, s5
	s_delay_alu instid0(SALU_CYCLE_1)
	s_or_b32 s4, s5, s4
.LBB143_705:
	s_delay_alu instid0(SALU_CYCLE_1) | instskip(NEXT) | instid1(SALU_CYCLE_1)
	s_bfe_u32 s5, s4, 0x10010
	s_add_i32 s5, s4, s5
	v_cmp_o_f32_e64 s4, s4, s4
	s_addk_i32 s5, 0x7fff
	s_delay_alu instid0(SALU_CYCLE_1) | instskip(NEXT) | instid1(VALU_DEP_1)
	s_lshr_b32 s5, s5, 16
	s_and_b32 s4, s4, exec_lo
	s_cselect_b32 s4, s5, 0x7fc0
	s_mov_b32 s5, -1
	v_mov_b32_e32 v0, s4
	s_mov_b32 s4, 0
	global_store_b16 v[7:8], v0, off
.LBB143_706:
	s_mov_b32 s7, 0
.LBB143_707:
	s_delay_alu instid0(SALU_CYCLE_1)
	s_and_b32 vcc_lo, exec_lo, s7
	s_mov_b32 s10, 0
	s_cbranch_vccz .LBB143_709
; %bb.708:
	v_cmp_ne_u16_e64 s4, 11, v9
	s_mov_b32 s10, -1
.LBB143_709:
	s_delay_alu instid0(VALU_DEP_1)
	s_and_b32 vcc_lo, exec_lo, s4
	s_mov_b32 s7, s8
	s_cbranch_vccnz .LBB143_730
; %bb.710:
	s_and_not1_b32 vcc_lo, exec_lo, s10
	s_cbranch_vccnz .LBB143_721
.LBB143_711:
	v_and_b32_e64 v0, 0xff, s6
	s_delay_alu instid0(VALU_DEP_1)
	v_cmp_gt_i16_e32 vcc_lo, 0x80, v0
	s_cbranch_vccnz .LBB143_714
; %bb.712:
	v_cmp_eq_u16_e32 vcc_lo, 0x80, v0
	s_cbranch_vccz .LBB143_715
; %bb.713:
	s_mov_b32 s5, 0
	s_mov_b32 s4, -1
	s_branch .LBB143_716
.LBB143_714:
	s_mov_b32 s5, 0
                                        ; implicit-def: $sgpr4
	s_cbranch_execnz .LBB143_717
	s_branch .LBB143_718
.LBB143_715:
	s_mov_b32 s5, -1
                                        ; implicit-def: $sgpr4
.LBB143_716:
	s_branch .LBB143_718
.LBB143_717:
	v_cmp_ne_u16_e64 s5, 0, v0
	s_mov_b32 s4, 0
.LBB143_718:
	s_delay_alu instid0(VALU_DEP_1)
	s_and_not1_b32 vcc_lo, exec_lo, s5
	s_cbranch_vccnz .LBB143_720
; %bb.719:
	v_lshrrev_b16 v0, 3, s6
	s_and_b32 s4, s6, 7
	s_delay_alu instid0(SALU_CYCLE_1) | instskip(NEXT) | instid1(SALU_CYCLE_1)
	s_clz_i32_u32 s5, s4
	s_min_u32 s5, s5, 32
	s_delay_alu instid0(VALU_DEP_1) | instskip(SKIP_3) | instid1(VALU_DEP_1)
	v_readfirstlane_b32 s10, v0
	s_sub_i32 s11, s5, 28
	s_sub_i32 s5, 29, s5
	s_lshl_b32 s11, s6, s11
	s_and_b32 s10, s10, 15
	s_and_b32 s11, s11, 7
	s_cmp_eq_u32 s10, 0
	s_cselect_b32 s5, s5, s10
	s_cselect_b32 s4, s11, s4
	s_lshl_b32 s5, s5, 23
	s_lshl_b32 s4, s4, 20
	s_add_i32 s5, s5, 0x3b800000
	s_delay_alu instid0(SALU_CYCLE_1) | instskip(NEXT) | instid1(SALU_CYCLE_1)
	s_and_b32 s5, s5, 0x7f800000
	s_or_b32 s4, s5, s4
	s_delay_alu instid0(SALU_CYCLE_1)
	s_cmp_lg_u32 s4, 0
	s_cselect_b32 s4, -1, 0
.LBB143_720:
	s_delay_alu instid0(SALU_CYCLE_1)
	v_cndmask_b32_e64 v0, 0, 1, s4
	s_mov_b32 s5, -1
	global_store_b8 v[7:8], v0, off
.LBB143_721:
	s_mov_b32 s4, 0
.LBB143_722:
	s_delay_alu instid0(SALU_CYCLE_1)
	s_and_b32 vcc_lo, exec_lo, s4
	s_cbranch_vccz .LBB143_860
; %bb.723:
	v_cmp_gt_i16_e32 vcc_lo, 5, v9
	s_mov_b32 s4, -1
	s_cbranch_vccnz .LBB143_808
; %bb.724:
	v_cmp_gt_i16_e32 vcc_lo, 8, v9
	s_cbranch_vccnz .LBB143_768
; %bb.725:
	v_cmp_gt_i16_e32 vcc_lo, 9, v9
	s_cbranch_vccnz .LBB143_755
; %bb.726:
	v_cmp_lt_i16_e32 vcc_lo, 9, v9
	s_cbranch_vccz .LBB143_742
; %bb.727:
	v_and_b32_e64 v0, 0xff, s6
	s_delay_alu instid0(VALU_DEP_1)
	v_cmp_gt_i16_e32 vcc_lo, 0x80, v0
	s_cbranch_vccnz .LBB143_732
; %bb.728:
	v_cmp_eq_u16_e32 vcc_lo, 0x80, v0
	s_cbranch_vccz .LBB143_735
; %bb.729:
	s_mov_b32 s10, 0
	s_mov_b32 s5, 0x7ff80000
	s_brev_b32 s4, 4
	s_branch .LBB143_736
.LBB143_730:
	s_cbranch_execnz .LBB143_733
; %bb.731:
	s_or_b32 s7, s8, exec_lo
	s_cbranch_execz .LBB143_711
	s_branch .LBB143_721
.LBB143_732:
	s_mov_b32 s11, -1
	s_mov_b32 s10, 0
                                        ; implicit-def: $sgpr4_sgpr5
	s_branch .LBB143_737
.LBB143_733:
	s_trap 2
	s_sendmsg_rtn_b32 s0, sendmsg(MSG_RTN_GET_DOORBELL)
	s_mov_b32 ttmp2, m0
	s_waitcnt lgkmcnt(0)
	s_and_b32 s0, s0, 0x3ff
	s_delay_alu instid0(SALU_CYCLE_1) | instskip(NEXT) | instid1(SALU_CYCLE_1)
	s_bitset1_b32 s0, 10
	s_mov_b32 m0, s0
	s_sendmsg sendmsg(MSG_INTERRUPT)
	s_mov_b32 m0, ttmp2
.LBB143_734:                            ; =>This Inner Loop Header: Depth=1
	s_sethalt 5
	s_branch .LBB143_734
.LBB143_735:
	s_mov_b32 s10, -1
                                        ; implicit-def: $sgpr4_sgpr5
.LBB143_736:
	s_mov_b32 s11, 0
.LBB143_737:
	s_delay_alu instid0(SALU_CYCLE_1)
	s_and_b32 vcc_lo, exec_lo, s11
	s_cbranch_vccz .LBB143_739
; %bb.738:
	v_cmp_ne_u16_e64 s10, 0, v0
	s_mov_b64 s[4:5], 0
.LBB143_739:
	s_delay_alu instid0(SALU_CYCLE_1) | instskip(NEXT) | instid1(VALU_DEP_2)
	v_dual_mov_b32 v0, s4 :: v_dual_mov_b32 v1, s5
	s_and_not1_b32 vcc_lo, exec_lo, s10
	s_cbranch_vccnz .LBB143_741
; %bb.740:
	v_lshrrev_b16 v0, 3, s6
	s_and_b32 s4, s6, 7
	s_lshl_b32 s12, s6, 24
	s_clz_i32_u32 s5, s4
	s_delay_alu instid0(SALU_CYCLE_1) | instskip(SKIP_4) | instid1(VALU_DEP_1)
	s_min_u32 s5, s5, 32
	v_readfirstlane_b32 s10, v0
	s_sub_i32 s11, s5, 28
	s_sub_i32 s5, 29, s5
	s_lshl_b32 s11, s6, s11
	s_and_b32 s10, s10, 15
	s_and_b32 s11, s11, 7
	s_cmp_eq_u32 s10, 0
	s_cselect_b32 s5, s5, s10
	s_cselect_b32 s4, s11, s4
	s_lshl_b32 s5, s5, 23
	s_and_b32 s10, s12, 0x80000000
	s_add_i32 s5, s5, 0x3b800000
	s_lshl_b32 s4, s4, 20
	s_or_b32 s5, s10, s5
	s_delay_alu instid0(SALU_CYCLE_1) | instskip(NEXT) | instid1(SALU_CYCLE_1)
	s_or_b32 s4, s5, s4
	v_cvt_f64_f32_e32 v[0:1], s4
.LBB143_741:
	v_mov_b32_e32 v2, 0
	s_mov_b32 s4, 0
	s_delay_alu instid0(VALU_DEP_1)
	v_mov_b32_e32 v3, v2
	global_store_b128 v[7:8], v[0:3], off
.LBB143_742:
	s_and_b32 vcc_lo, exec_lo, s4
	s_cbranch_vccz .LBB143_754
; %bb.743:
	v_and_b32_e64 v1, 0xff, s6
	s_delay_alu instid0(VALU_DEP_1)
	v_cmp_gt_i16_e32 vcc_lo, 0x80, v1
	s_cbranch_vccnz .LBB143_746
; %bb.744:
	v_cmp_eq_u16_e32 vcc_lo, 0x80, v1
	s_cbranch_vccz .LBB143_747
; %bb.745:
	s_mov_b32 s4, 0
	s_mov_b32 s5, 0x7f800001
	s_branch .LBB143_748
.LBB143_746:
	s_mov_b32 s10, -1
	s_mov_b32 s4, 0
                                        ; implicit-def: $sgpr5
	s_branch .LBB143_749
.LBB143_747:
	s_mov_b32 s4, -1
                                        ; implicit-def: $sgpr5
.LBB143_748:
	s_mov_b32 s10, 0
.LBB143_749:
	v_mov_b32_e32 v0, s5
	s_and_b32 vcc_lo, exec_lo, s10
	s_cbranch_vccz .LBB143_751
; %bb.750:
	v_and_b32_e32 v0, 0xffff, v1
	v_cmp_ne_u16_e64 s4, 0, v1
.LBB143_751:
	s_delay_alu instid0(VALU_DEP_1)
	s_and_not1_b32 vcc_lo, exec_lo, s4
	s_cbranch_vccnz .LBB143_753
; %bb.752:
	v_lshrrev_b16 v0, 3, s6
	s_and_b32 s4, s6, 7
	s_lshl_b32 s12, s6, 24
	s_clz_i32_u32 s5, s4
	s_delay_alu instid0(SALU_CYCLE_1) | instskip(SKIP_4) | instid1(VALU_DEP_1)
	s_min_u32 s5, s5, 32
	v_readfirstlane_b32 s10, v0
	s_sub_i32 s11, s5, 28
	s_sub_i32 s5, 29, s5
	s_lshl_b32 s11, s6, s11
	s_and_b32 s10, s10, 15
	s_and_b32 s11, s11, 7
	s_cmp_eq_u32 s10, 0
	s_cselect_b32 s5, s5, s10
	s_cselect_b32 s4, s11, s4
	s_lshl_b32 s5, s5, 23
	s_and_b32 s10, s12, 0x80000000
	s_add_i32 s5, s5, 0x3b800000
	s_lshl_b32 s4, s4, 20
	s_or_b32 s5, s10, s5
	s_delay_alu instid0(SALU_CYCLE_1) | instskip(NEXT) | instid1(SALU_CYCLE_1)
	s_or_b32 s4, s5, s4
	v_mov_b32_e32 v0, s4
.LBB143_753:
	v_mov_b32_e32 v1, 0
	global_store_b64 v[7:8], v[0:1], off
.LBB143_754:
	s_mov_b32 s4, 0
.LBB143_755:
	s_delay_alu instid0(SALU_CYCLE_1)
	s_and_not1_b32 vcc_lo, exec_lo, s4
	s_cbranch_vccnz .LBB143_767
; %bb.756:
	v_and_b32_e64 v0, 0xff, s6
	s_delay_alu instid0(VALU_DEP_1)
	v_cmp_gt_i16_e32 vcc_lo, 0x80, v0
	s_cbranch_vccnz .LBB143_759
; %bb.757:
	v_cmp_eq_u16_e32 vcc_lo, 0x80, v0
	s_cbranch_vccz .LBB143_760
; %bb.758:
	s_mov_b32 s4, 0
	s_movk_i32 s5, 0x7e00
	s_branch .LBB143_761
.LBB143_759:
	s_mov_b32 s10, -1
	s_mov_b32 s4, 0
                                        ; implicit-def: $sgpr5
	s_branch .LBB143_762
.LBB143_760:
	s_mov_b32 s4, -1
                                        ; implicit-def: $sgpr5
.LBB143_761:
	s_mov_b32 s10, 0
.LBB143_762:
	v_mov_b32_e32 v1, s5
	s_and_b32 vcc_lo, exec_lo, s10
	s_cbranch_vccz .LBB143_764
; %bb.763:
	v_and_b32_e32 v1, 0xffff, v0
	v_cmp_ne_u16_e64 s4, 0, v0
.LBB143_764:
	s_delay_alu instid0(VALU_DEP_1)
	s_and_not1_b32 vcc_lo, exec_lo, s4
	s_cbranch_vccnz .LBB143_766
; %bb.765:
	v_lshrrev_b16 v0, 3, s6
	s_and_b32 s4, s6, 7
	s_lshl_b32 s12, s6, 24
	s_clz_i32_u32 s5, s4
	s_delay_alu instid0(SALU_CYCLE_1) | instskip(SKIP_4) | instid1(VALU_DEP_1)
	s_min_u32 s5, s5, 32
	v_readfirstlane_b32 s10, v0
	s_sub_i32 s11, s5, 28
	s_sub_i32 s5, 29, s5
	s_lshl_b32 s11, s6, s11
	s_and_b32 s10, s10, 15
	s_and_b32 s11, s11, 7
	s_cmp_eq_u32 s10, 0
	s_cselect_b32 s5, s5, s10
	s_cselect_b32 s4, s11, s4
	s_lshl_b32 s5, s5, 23
	s_and_b32 s10, s12, 0x80000000
	s_add_i32 s5, s5, 0x3b800000
	s_lshl_b32 s4, s4, 20
	s_or_b32 s5, s10, s5
	s_delay_alu instid0(SALU_CYCLE_1) | instskip(NEXT) | instid1(SALU_CYCLE_1)
	s_or_b32 s4, s5, s4
	v_cvt_f16_f32_e32 v0, s4
	s_delay_alu instid0(VALU_DEP_1)
	v_and_b32_e32 v1, 0xffff, v0
.LBB143_766:
	global_store_b32 v[7:8], v1, off
.LBB143_767:
	s_mov_b32 s4, 0
.LBB143_768:
	s_delay_alu instid0(SALU_CYCLE_1)
	s_and_not1_b32 vcc_lo, exec_lo, s4
	s_cbranch_vccnz .LBB143_807
; %bb.769:
	v_cmp_gt_i16_e32 vcc_lo, 6, v9
	s_mov_b32 s4, -1
	s_cbranch_vccnz .LBB143_795
; %bb.770:
	v_cmp_lt_i16_e32 vcc_lo, 6, v9
	s_cbranch_vccz .LBB143_782
; %bb.771:
	v_and_b32_e64 v0, 0xff, s6
	s_delay_alu instid0(VALU_DEP_1)
	v_cmp_gt_i16_e32 vcc_lo, 0x80, v0
	s_cbranch_vccnz .LBB143_774
; %bb.772:
	v_cmp_eq_u16_e32 vcc_lo, 0x80, v0
	s_cbranch_vccz .LBB143_775
; %bb.773:
	s_mov_b32 s10, 0
	s_mov_b32 s5, 0x7ff80000
	s_brev_b32 s4, 4
	s_branch .LBB143_776
.LBB143_774:
	s_mov_b32 s11, -1
	s_mov_b32 s10, 0
                                        ; implicit-def: $sgpr4_sgpr5
	s_branch .LBB143_777
.LBB143_775:
	s_mov_b32 s10, -1
                                        ; implicit-def: $sgpr4_sgpr5
.LBB143_776:
	s_mov_b32 s11, 0
.LBB143_777:
	s_delay_alu instid0(SALU_CYCLE_1)
	s_and_b32 vcc_lo, exec_lo, s11
	s_cbranch_vccz .LBB143_779
; %bb.778:
	v_cmp_ne_u16_e64 s10, 0, v0
	s_mov_b64 s[4:5], 0
.LBB143_779:
	s_delay_alu instid0(SALU_CYCLE_1) | instskip(NEXT) | instid1(VALU_DEP_2)
	v_dual_mov_b32 v0, s4 :: v_dual_mov_b32 v1, s5
	s_and_not1_b32 vcc_lo, exec_lo, s10
	s_cbranch_vccnz .LBB143_781
; %bb.780:
	v_lshrrev_b16 v0, 3, s6
	s_and_b32 s4, s6, 7
	s_lshl_b32 s12, s6, 24
	s_clz_i32_u32 s5, s4
	s_delay_alu instid0(SALU_CYCLE_1) | instskip(SKIP_4) | instid1(VALU_DEP_1)
	s_min_u32 s5, s5, 32
	v_readfirstlane_b32 s10, v0
	s_sub_i32 s11, s5, 28
	s_sub_i32 s5, 29, s5
	s_lshl_b32 s11, s6, s11
	s_and_b32 s10, s10, 15
	s_and_b32 s11, s11, 7
	s_cmp_eq_u32 s10, 0
	s_cselect_b32 s5, s5, s10
	s_cselect_b32 s4, s11, s4
	s_lshl_b32 s5, s5, 23
	s_and_b32 s10, s12, 0x80000000
	s_add_i32 s5, s5, 0x3b800000
	s_lshl_b32 s4, s4, 20
	s_or_b32 s5, s10, s5
	s_delay_alu instid0(SALU_CYCLE_1) | instskip(NEXT) | instid1(SALU_CYCLE_1)
	s_or_b32 s4, s5, s4
	v_cvt_f64_f32_e32 v[0:1], s4
.LBB143_781:
	s_mov_b32 s4, 0
	global_store_b64 v[7:8], v[0:1], off
.LBB143_782:
	s_and_b32 vcc_lo, exec_lo, s4
	s_cbranch_vccz .LBB143_794
; %bb.783:
	v_and_b32_e64 v0, 0xff, s6
	s_delay_alu instid0(VALU_DEP_1)
	v_cmp_gt_i16_e32 vcc_lo, 0x80, v0
	s_cbranch_vccnz .LBB143_786
; %bb.784:
	v_cmp_eq_u16_e32 vcc_lo, 0x80, v0
	s_cbranch_vccz .LBB143_787
; %bb.785:
	s_mov_b32 s4, 0
	s_mov_b32 s5, 0x7f800001
	s_branch .LBB143_788
.LBB143_786:
	s_mov_b32 s10, -1
	s_mov_b32 s4, 0
                                        ; implicit-def: $sgpr5
	s_branch .LBB143_789
.LBB143_787:
	s_mov_b32 s4, -1
                                        ; implicit-def: $sgpr5
.LBB143_788:
	s_mov_b32 s10, 0
.LBB143_789:
	v_mov_b32_e32 v1, s5
	s_and_b32 vcc_lo, exec_lo, s10
	s_cbranch_vccz .LBB143_791
; %bb.790:
	v_and_b32_e32 v1, 0xffff, v0
	v_cmp_ne_u16_e64 s4, 0, v0
.LBB143_791:
	s_delay_alu instid0(VALU_DEP_1)
	s_and_not1_b32 vcc_lo, exec_lo, s4
	s_cbranch_vccnz .LBB143_793
; %bb.792:
	v_lshrrev_b16 v0, 3, s6
	s_and_b32 s4, s6, 7
	s_lshl_b32 s12, s6, 24
	s_clz_i32_u32 s5, s4
	s_delay_alu instid0(SALU_CYCLE_1) | instskip(SKIP_4) | instid1(VALU_DEP_1)
	s_min_u32 s5, s5, 32
	v_readfirstlane_b32 s10, v0
	s_sub_i32 s11, s5, 28
	s_sub_i32 s5, 29, s5
	s_lshl_b32 s11, s6, s11
	s_and_b32 s10, s10, 15
	s_and_b32 s11, s11, 7
	s_cmp_eq_u32 s10, 0
	s_cselect_b32 s5, s5, s10
	s_cselect_b32 s4, s11, s4
	s_lshl_b32 s5, s5, 23
	s_and_b32 s10, s12, 0x80000000
	s_add_i32 s5, s5, 0x3b800000
	s_lshl_b32 s4, s4, 20
	s_or_b32 s5, s10, s5
	s_delay_alu instid0(SALU_CYCLE_1) | instskip(NEXT) | instid1(SALU_CYCLE_1)
	s_or_b32 s4, s5, s4
	v_mov_b32_e32 v1, s4
.LBB143_793:
	global_store_b32 v[7:8], v1, off
.LBB143_794:
	s_mov_b32 s4, 0
.LBB143_795:
	s_delay_alu instid0(SALU_CYCLE_1)
	s_and_not1_b32 vcc_lo, exec_lo, s4
	s_cbranch_vccnz .LBB143_807
; %bb.796:
	v_and_b32_e64 v0, 0xff, s6
	s_delay_alu instid0(VALU_DEP_1)
	v_cmp_gt_i16_e32 vcc_lo, 0x80, v0
	s_cbranch_vccnz .LBB143_799
; %bb.797:
	v_cmp_eq_u16_e32 vcc_lo, 0x80, v0
	s_cbranch_vccz .LBB143_800
; %bb.798:
	s_mov_b32 s4, 0
	s_movk_i32 s5, 0x7e00
	s_branch .LBB143_801
.LBB143_799:
	s_mov_b32 s10, -1
	s_mov_b32 s4, 0
                                        ; implicit-def: $sgpr5
	s_branch .LBB143_802
.LBB143_800:
	s_mov_b32 s4, -1
                                        ; implicit-def: $sgpr5
.LBB143_801:
	s_mov_b32 s10, 0
.LBB143_802:
	v_mov_b32_e32 v1, s5
	s_and_b32 vcc_lo, exec_lo, s10
	s_cbranch_vccz .LBB143_804
; %bb.803:
	v_cmp_ne_u16_e64 s4, 0, v0
	v_mov_b32_e32 v1, v0
.LBB143_804:
	s_delay_alu instid0(VALU_DEP_2)
	s_and_not1_b32 vcc_lo, exec_lo, s4
	s_cbranch_vccnz .LBB143_806
; %bb.805:
	v_lshrrev_b16 v0, 3, s6
	s_and_b32 s4, s6, 7
	s_lshl_b32 s12, s6, 24
	s_clz_i32_u32 s5, s4
	s_delay_alu instid0(SALU_CYCLE_1) | instskip(SKIP_4) | instid1(VALU_DEP_1)
	s_min_u32 s5, s5, 32
	v_readfirstlane_b32 s10, v0
	s_sub_i32 s11, s5, 28
	s_sub_i32 s5, 29, s5
	s_lshl_b32 s11, s6, s11
	s_and_b32 s10, s10, 15
	s_and_b32 s11, s11, 7
	s_cmp_eq_u32 s10, 0
	s_cselect_b32 s5, s5, s10
	s_cselect_b32 s4, s11, s4
	s_lshl_b32 s5, s5, 23
	s_and_b32 s10, s12, 0x80000000
	s_add_i32 s5, s5, 0x3b800000
	s_lshl_b32 s4, s4, 20
	s_or_b32 s5, s10, s5
	s_delay_alu instid0(SALU_CYCLE_1) | instskip(NEXT) | instid1(SALU_CYCLE_1)
	s_or_b32 s4, s5, s4
	v_cvt_f16_f32_e32 v1, s4
.LBB143_806:
	global_store_b16 v[7:8], v1, off
.LBB143_807:
	s_mov_b32 s4, 0
.LBB143_808:
	s_delay_alu instid0(SALU_CYCLE_1)
	s_and_not1_b32 vcc_lo, exec_lo, s4
	s_cbranch_vccnz .LBB143_859
; %bb.809:
	v_cmp_gt_i16_e32 vcc_lo, 2, v9
	s_mov_b32 s4, -1
	s_cbranch_vccnz .LBB143_840
; %bb.810:
	v_cmp_gt_i16_e32 vcc_lo, 3, v9
	s_cbranch_vccnz .LBB143_830
; %bb.811:
	v_cmp_lt_i16_e32 vcc_lo, 3, v9
	s_cbranch_vccz .LBB143_820
; %bb.812:
	v_and_b32_e64 v0, 0xff, s6
	s_delay_alu instid0(VALU_DEP_1)
	v_cmp_gt_i16_e32 vcc_lo, 0x80, v0
	s_cbranch_vccnz .LBB143_814
; %bb.813:
	v_cmp_ne_u16_e64 s10, 0x80, v0
	s_mov_b32 s11, 0
	s_mov_b64 s[4:5], 0
	s_branch .LBB143_815
.LBB143_814:
	s_mov_b32 s11, -1
	s_mov_b32 s10, 0
                                        ; implicit-def: $sgpr4_sgpr5
.LBB143_815:
	s_and_not1_b32 vcc_lo, exec_lo, s11
	s_cbranch_vccnz .LBB143_817
; %bb.816:
	v_cmp_ne_u16_e64 s10, 0, v0
	s_mov_b64 s[4:5], 0
.LBB143_817:
	s_delay_alu instid0(SALU_CYCLE_1) | instskip(NEXT) | instid1(VALU_DEP_2)
	v_dual_mov_b32 v0, s4 :: v_dual_mov_b32 v1, s5
	s_and_not1_b32 vcc_lo, exec_lo, s10
	s_cbranch_vccnz .LBB143_819
; %bb.818:
	v_lshrrev_b16 v0, 3, s6
	s_and_b32 s4, s6, 7
	s_lshl_b32 s11, s6, 24
	s_clz_i32_u32 s5, s4
	s_delay_alu instid0(SALU_CYCLE_1) | instskip(SKIP_4) | instid1(VALU_DEP_1)
	s_min_u32 s5, s5, 32
	v_readfirstlane_b32 s10, v0
	s_sub_i32 s12, s5, 28
	s_sub_i32 s5, 29, s5
	s_lshl_b32 s12, s6, s12
	s_and_b32 s10, s10, 15
	s_and_b32 s12, s12, 7
	s_cmp_eq_u32 s10, 0
	s_cselect_b32 s5, s5, s10
	s_cselect_b32 s4, s12, s4
	s_lshl_b32 s5, s5, 23
	s_and_b32 s10, s11, 0x80000000
	s_add_i32 s5, s5, 0x3b800000
	s_lshl_b32 s4, s4, 20
	s_or_b32 s5, s10, s5
	s_delay_alu instid0(SALU_CYCLE_1) | instskip(NEXT) | instid1(SALU_CYCLE_1)
	s_or_b32 s4, s5, s4
	v_trunc_f32_e32 v0, s4
	s_delay_alu instid0(VALU_DEP_1) | instskip(SKIP_1) | instid1(VALU_DEP_2)
	v_mul_f32_e64 v1, 0x2f800000, |v0|
	v_ashrrev_i32_e32 v3, 31, v0
	v_floor_f32_e32 v1, v1
	s_delay_alu instid0(VALU_DEP_1) | instskip(SKIP_1) | instid1(VALU_DEP_2)
	v_fma_f32 v2, 0xcf800000, v1, |v0|
	v_cvt_u32_f32_e32 v1, v1
	v_cvt_u32_f32_e32 v0, v2
	s_delay_alu instid0(VALU_DEP_2) | instskip(NEXT) | instid1(VALU_DEP_2)
	v_xor_b32_e32 v1, v1, v3
	v_xor_b32_e32 v0, v0, v3
	s_delay_alu instid0(VALU_DEP_1) | instskip(NEXT) | instid1(VALU_DEP_3)
	v_sub_co_u32 v0, vcc_lo, v0, v3
	v_sub_co_ci_u32_e32 v1, vcc_lo, v1, v3, vcc_lo
.LBB143_819:
	s_mov_b32 s4, 0
	global_store_b64 v[7:8], v[0:1], off
.LBB143_820:
	s_and_b32 vcc_lo, exec_lo, s4
	s_cbranch_vccz .LBB143_829
; %bb.821:
	v_and_b32_e64 v0, 0xff, s6
	s_delay_alu instid0(VALU_DEP_1)
	v_cmp_gt_i16_e32 vcc_lo, 0x80, v0
	s_cbranch_vccnz .LBB143_823
; %bb.822:
	v_cmp_ne_u16_e64 s4, 0x80, v0
	s_mov_b32 s10, 0
	s_mov_b32 s5, 0
	s_branch .LBB143_824
.LBB143_823:
	s_mov_b32 s10, -1
	s_mov_b32 s4, 0
                                        ; implicit-def: $sgpr5
.LBB143_824:
	s_and_not1_b32 vcc_lo, exec_lo, s10
	s_cbranch_vccnz .LBB143_826
; %bb.825:
	v_cmp_ne_u16_e64 s4, 0, v0
	s_mov_b32 s5, 0
.LBB143_826:
	s_delay_alu instid0(SALU_CYCLE_1) | instskip(NEXT) | instid1(VALU_DEP_2)
	v_mov_b32_e32 v0, s5
	s_and_not1_b32 vcc_lo, exec_lo, s4
	s_cbranch_vccnz .LBB143_828
; %bb.827:
	v_lshrrev_b16 v0, 3, s6
	s_and_b32 s4, s6, 7
	s_lshl_b32 s12, s6, 24
	s_clz_i32_u32 s5, s4
	s_delay_alu instid0(SALU_CYCLE_1) | instskip(SKIP_4) | instid1(VALU_DEP_1)
	s_min_u32 s5, s5, 32
	v_readfirstlane_b32 s10, v0
	s_sub_i32 s11, s5, 28
	s_sub_i32 s5, 29, s5
	s_lshl_b32 s11, s6, s11
	s_and_b32 s10, s10, 15
	s_and_b32 s11, s11, 7
	s_cmp_eq_u32 s10, 0
	s_cselect_b32 s5, s5, s10
	s_cselect_b32 s4, s11, s4
	s_lshl_b32 s5, s5, 23
	s_and_b32 s10, s12, 0x80000000
	s_add_i32 s5, s5, 0x3b800000
	s_lshl_b32 s4, s4, 20
	s_or_b32 s5, s10, s5
	s_delay_alu instid0(SALU_CYCLE_1) | instskip(NEXT) | instid1(SALU_CYCLE_1)
	s_or_b32 s4, s5, s4
	v_cvt_i32_f32_e32 v0, s4
.LBB143_828:
	global_store_b32 v[7:8], v0, off
.LBB143_829:
	s_mov_b32 s4, 0
.LBB143_830:
	s_delay_alu instid0(SALU_CYCLE_1)
	s_and_not1_b32 vcc_lo, exec_lo, s4
	s_cbranch_vccnz .LBB143_839
; %bb.831:
	v_and_b32_e64 v0, 0xff, s6
	s_delay_alu instid0(VALU_DEP_1)
	v_cmp_gt_i16_e32 vcc_lo, 0x80, v0
	s_cbranch_vccnz .LBB143_833
; %bb.832:
	v_cmp_ne_u16_e64 s4, 0x80, v0
	s_mov_b32 s10, 0
	s_mov_b32 s5, 0
	s_branch .LBB143_834
.LBB143_833:
	s_mov_b32 s10, -1
	s_mov_b32 s4, 0
                                        ; implicit-def: $sgpr5
.LBB143_834:
	s_and_not1_b32 vcc_lo, exec_lo, s10
	s_cbranch_vccnz .LBB143_836
; %bb.835:
	v_cmp_ne_u16_e64 s4, 0, v0
	s_mov_b32 s5, 0
.LBB143_836:
	s_delay_alu instid0(SALU_CYCLE_1) | instskip(NEXT) | instid1(VALU_DEP_2)
	v_mov_b32_e32 v0, s5
	s_and_not1_b32 vcc_lo, exec_lo, s4
	s_cbranch_vccnz .LBB143_838
; %bb.837:
	v_lshrrev_b16 v0, 3, s6
	s_and_b32 s4, s6, 7
	s_lshl_b32 s12, s6, 24
	s_clz_i32_u32 s5, s4
	s_delay_alu instid0(SALU_CYCLE_1) | instskip(SKIP_4) | instid1(VALU_DEP_1)
	s_min_u32 s5, s5, 32
	v_readfirstlane_b32 s10, v0
	s_sub_i32 s11, s5, 28
	s_sub_i32 s5, 29, s5
	s_lshl_b32 s11, s6, s11
	s_and_b32 s10, s10, 15
	s_and_b32 s11, s11, 7
	s_cmp_eq_u32 s10, 0
	s_cselect_b32 s5, s5, s10
	s_cselect_b32 s4, s11, s4
	s_lshl_b32 s5, s5, 23
	s_and_b32 s10, s12, 0x80000000
	s_add_i32 s5, s5, 0x3b800000
	s_lshl_b32 s4, s4, 20
	s_or_b32 s5, s10, s5
	s_delay_alu instid0(SALU_CYCLE_1) | instskip(NEXT) | instid1(SALU_CYCLE_1)
	s_or_b32 s4, s5, s4
	v_cvt_i32_f32_e32 v0, s4
.LBB143_838:
	global_store_b16 v[7:8], v0, off
.LBB143_839:
	s_mov_b32 s4, 0
.LBB143_840:
	s_delay_alu instid0(SALU_CYCLE_1)
	s_and_not1_b32 vcc_lo, exec_lo, s4
	s_cbranch_vccnz .LBB143_859
; %bb.841:
	v_cmp_lt_i16_e32 vcc_lo, 0, v9
	s_mov_b32 s4, 0
	s_mov_b32 s5, -1
	s_cbranch_vccz .LBB143_850
; %bb.842:
	v_and_b32_e64 v0, 0xff, s6
	s_delay_alu instid0(VALU_DEP_1)
	v_cmp_gt_i16_e32 vcc_lo, 0x80, v0
	s_cbranch_vccnz .LBB143_844
; %bb.843:
	v_cmp_ne_u16_e64 s4, 0x80, v0
	s_mov_b32 s10, 0
	s_mov_b32 s5, 0
	s_branch .LBB143_845
.LBB143_844:
	s_mov_b32 s10, -1
                                        ; implicit-def: $sgpr5
.LBB143_845:
	s_delay_alu instid0(SALU_CYCLE_1)
	s_and_not1_b32 vcc_lo, exec_lo, s10
	s_cbranch_vccnz .LBB143_847
; %bb.846:
	v_cmp_ne_u16_e64 s4, 0, v0
	s_mov_b32 s5, 0
.LBB143_847:
	s_delay_alu instid0(SALU_CYCLE_1) | instskip(NEXT) | instid1(VALU_DEP_2)
	v_mov_b32_e32 v0, s5
	s_and_not1_b32 vcc_lo, exec_lo, s4
	s_cbranch_vccnz .LBB143_849
; %bb.848:
	v_lshrrev_b16 v0, 3, s6
	s_and_b32 s4, s6, 7
	s_lshl_b32 s12, s6, 24
	s_clz_i32_u32 s5, s4
	s_delay_alu instid0(SALU_CYCLE_1) | instskip(SKIP_4) | instid1(VALU_DEP_1)
	s_min_u32 s5, s5, 32
	v_readfirstlane_b32 s10, v0
	s_sub_i32 s11, s5, 28
	s_sub_i32 s5, 29, s5
	s_lshl_b32 s11, s6, s11
	s_and_b32 s10, s10, 15
	s_and_b32 s11, s11, 7
	s_cmp_eq_u32 s10, 0
	s_cselect_b32 s5, s5, s10
	s_cselect_b32 s4, s11, s4
	s_lshl_b32 s5, s5, 23
	s_and_b32 s10, s12, 0x80000000
	s_add_i32 s5, s5, 0x3b800000
	s_lshl_b32 s4, s4, 20
	s_or_b32 s5, s10, s5
	s_delay_alu instid0(SALU_CYCLE_1) | instskip(NEXT) | instid1(SALU_CYCLE_1)
	s_or_b32 s4, s5, s4
	v_cvt_i32_f32_e32 v0, s4
.LBB143_849:
	s_mov_b32 s5, 0
	global_store_b8 v[7:8], v0, off
.LBB143_850:
	s_and_b32 vcc_lo, exec_lo, s5
	s_cbranch_vccz .LBB143_859
; %bb.851:
	v_and_b32_e64 v0, 0xff, s6
	s_delay_alu instid0(VALU_DEP_1)
	v_cmp_gt_i16_e32 vcc_lo, 0x80, v0
	s_cbranch_vccnz .LBB143_853
; %bb.852:
	v_cmp_ne_u16_e64 s4, 0x80, v0
	s_mov_b32 s10, 0
	s_mov_b32 s5, 0
	s_branch .LBB143_854
.LBB143_853:
	s_mov_b32 s10, -1
	s_mov_b32 s4, 0
                                        ; implicit-def: $sgpr5
.LBB143_854:
	s_and_not1_b32 vcc_lo, exec_lo, s10
	s_cbranch_vccnz .LBB143_856
; %bb.855:
	v_cmp_ne_u16_e64 s4, 0, v0
	s_mov_b32 s5, 0
.LBB143_856:
	s_delay_alu instid0(SALU_CYCLE_1) | instskip(NEXT) | instid1(VALU_DEP_2)
	v_mov_b32_e32 v0, s5
	s_and_not1_b32 vcc_lo, exec_lo, s4
	s_cbranch_vccnz .LBB143_858
; %bb.857:
	v_lshrrev_b16 v0, 3, s6
	s_and_b32 s4, s6, 7
	s_lshl_b32 s11, s6, 24
	s_clz_i32_u32 s5, s4
	s_delay_alu instid0(SALU_CYCLE_1) | instskip(SKIP_4) | instid1(VALU_DEP_1)
	s_min_u32 s5, s5, 32
	v_readfirstlane_b32 s10, v0
	s_sub_i32 s12, s5, 28
	s_sub_i32 s5, 29, s5
	s_lshl_b32 s12, s6, s12
	s_and_b32 s10, s10, 15
	s_and_b32 s12, s12, 7
	s_cmp_eq_u32 s10, 0
	s_cselect_b32 s5, s5, s10
	s_cselect_b32 s4, s12, s4
	s_lshl_b32 s5, s5, 23
	s_and_b32 s10, s11, 0x80000000
	s_add_i32 s5, s5, 0x3b800000
	s_lshl_b32 s4, s4, 20
	s_or_b32 s5, s10, s5
	s_delay_alu instid0(SALU_CYCLE_1) | instskip(NEXT) | instid1(SALU_CYCLE_1)
	s_or_b32 s4, s5, s4
	v_trunc_f32_e32 v0, s4
	s_delay_alu instid0(VALU_DEP_1) | instskip(NEXT) | instid1(VALU_DEP_1)
	v_mul_f32_e64 v1, 0x2f800000, |v0|
	v_floor_f32_e32 v1, v1
	s_delay_alu instid0(VALU_DEP_1) | instskip(SKIP_1) | instid1(VALU_DEP_2)
	v_fma_f32 v1, 0xcf800000, v1, |v0|
	v_ashrrev_i32_e32 v0, 31, v0
	v_cvt_u32_f32_e32 v1, v1
	s_delay_alu instid0(VALU_DEP_1) | instskip(NEXT) | instid1(VALU_DEP_1)
	v_xor_b32_e32 v1, v1, v0
	v_sub_nc_u32_e32 v0, v1, v0
.LBB143_858:
	global_store_b8 v[7:8], v0, off
.LBB143_859:
	s_mov_b32 s5, -1
.LBB143_860:
	s_delay_alu instid0(SALU_CYCLE_1)
	s_and_not1_b32 vcc_lo, exec_lo, s5
	s_cbranch_vccnz .LBB143_1938
; %bb.861:
	v_cmp_gt_i16_e32 vcc_lo, 11, v9
	v_add_co_u32 v6, s4, s2, v6
	s_delay_alu instid0(VALU_DEP_1)
	v_add_co_ci_u32_e64 v7, null, s3, 0, s4
	s_mov_b32 s5, 0
	s_mov_b32 s4, -1
	s_cbranch_vccnz .LBB143_1157
; %bb.862:
	v_cmp_lt_i16_e32 vcc_lo, 25, v9
	s_mov_b32 s11, -1
	s_mov_b32 s10, 0
	s_mov_b32 s4, 0
	s_cbranch_vccz .LBB143_1057
; %bb.863:
	v_cmp_lt_i16_e32 vcc_lo, 28, v9
	s_cbranch_vccz .LBB143_1032
; %bb.864:
	v_cmp_lt_i16_e32 vcc_lo, 43, v9
	;; [unrolled: 3-line block ×3, first 2 shown]
	s_cbranch_vccz .LBB143_1005
; %bb.866:
	v_cmp_eq_u16_e32 vcc_lo, 46, v9
	s_mov_b32 s4, -1
	s_mov_b32 s11, 0
	s_cbranch_vccz .LBB143_1005
; %bb.867:
	v_and_b32_e64 v0, 0xff, s6
	s_delay_alu instid0(VALU_DEP_1)
	v_cmp_gt_i16_e32 vcc_lo, 0x80, v0
	s_cbranch_vccnz .LBB143_870
; %bb.868:
	v_cmp_eq_u16_e32 vcc_lo, 0x80, v0
	s_cbranch_vccz .LBB143_998
; %bb.869:
	s_mov_b32 s4, 0x7f800001
	s_branch .LBB143_999
.LBB143_870:
	s_mov_b32 s12, -1
                                        ; implicit-def: $sgpr4
	s_branch .LBB143_1000
.LBB143_871:
	s_mov_b32 s19, -1
	s_mov_b32 s18, 0
                                        ; implicit-def: $sgpr16
	s_branch .LBB143_1308
.LBB143_872:
	s_mov_b32 s19, -1
                                        ; implicit-def: $sgpr16_sgpr17
.LBB143_873:
	s_mov_b32 s36, 0
.LBB143_874:
	s_delay_alu instid0(SALU_CYCLE_1)
	s_and_b32 vcc_lo, exec_lo, s36
	s_cbranch_vccz .LBB143_876
; %bb.875:
	v_cmp_ne_u16_e64 s19, 0, v0
	s_mov_b64 s[16:17], 0
.LBB143_876:
	s_delay_alu instid0(SALU_CYCLE_1) | instskip(NEXT) | instid1(VALU_DEP_2)
	v_dual_mov_b32 v0, s16 :: v_dual_mov_b32 v1, s17
	s_and_not1_b32 vcc_lo, exec_lo, s19
	s_cbranch_vccnz .LBB143_878
; %bb.877:
	v_dual_mov_b32 v0, v6 :: v_dual_mov_b32 v1, v7
.LBB143_878:
	v_mov_b32_e32 v2, 0
	s_mov_b32 s16, 0
	s_delay_alu instid0(VALU_DEP_1)
	v_mov_b32_e32 v3, v2
	global_store_b128 v[10:11], v[0:3], off
.LBB143_879:
	s_and_b32 vcc_lo, exec_lo, s16
	s_cbranch_vccz .LBB143_891
; %bb.880:
	v_and_b32_e64 v1, 0xff, s25
	s_delay_alu instid0(VALU_DEP_1)
	v_cmp_gt_i16_e32 vcc_lo, 0x80, v1
	s_cbranch_vccnz .LBB143_883
; %bb.881:
	v_cmp_eq_u16_e32 vcc_lo, 0x80, v1
	s_cbranch_vccz .LBB143_884
; %bb.882:
	s_mov_b32 s16, 0
	s_mov_b32 s17, 0x7f800001
	s_branch .LBB143_885
.LBB143_883:
	s_mov_b32 s19, -1
	s_mov_b32 s16, 0
                                        ; implicit-def: $sgpr17
	s_branch .LBB143_886
.LBB143_884:
	s_mov_b32 s16, -1
                                        ; implicit-def: $sgpr17
.LBB143_885:
	s_mov_b32 s19, 0
.LBB143_886:
	v_mov_b32_e32 v0, s17
	s_and_b32 vcc_lo, exec_lo, s19
	s_cbranch_vccz .LBB143_888
; %bb.887:
	v_and_b32_e32 v0, 0xffff, v1
	v_cmp_ne_u16_e64 s16, 0, v1
.LBB143_888:
	s_delay_alu instid0(VALU_DEP_1)
	s_and_not1_b32 vcc_lo, exec_lo, s16
	s_cbranch_vccnz .LBB143_890
; %bb.889:
	v_mov_b32_e32 v0, s26
.LBB143_890:
	v_mov_b32_e32 v1, 0
	global_store_b64 v[10:11], v[0:1], off
.LBB143_891:
	s_mov_b32 s16, 0
.LBB143_892:
	s_delay_alu instid0(SALU_CYCLE_1)
	s_and_not1_b32 vcc_lo, exec_lo, s16
	s_cbranch_vccnz .LBB143_904
; %bb.893:
	v_and_b32_e64 v0, 0xff, s25
	s_delay_alu instid0(VALU_DEP_1)
	v_cmp_gt_i16_e32 vcc_lo, 0x80, v0
	s_cbranch_vccnz .LBB143_896
; %bb.894:
	v_cmp_eq_u16_e32 vcc_lo, 0x80, v0
	s_cbranch_vccz .LBB143_897
; %bb.895:
	s_mov_b32 s16, 0
	s_movk_i32 s17, 0x7e00
	s_branch .LBB143_898
.LBB143_896:
	s_mov_b32 s19, -1
	s_mov_b32 s16, 0
                                        ; implicit-def: $sgpr17
	s_branch .LBB143_899
.LBB143_897:
	s_mov_b32 s16, -1
                                        ; implicit-def: $sgpr17
.LBB143_898:
	s_mov_b32 s19, 0
.LBB143_899:
	v_mov_b32_e32 v1, s17
	s_and_b32 vcc_lo, exec_lo, s19
	s_cbranch_vccz .LBB143_901
; %bb.900:
	v_and_b32_e32 v1, 0xffff, v0
	v_cmp_ne_u16_e64 s16, 0, v0
.LBB143_901:
	s_delay_alu instid0(VALU_DEP_1)
	s_and_not1_b32 vcc_lo, exec_lo, s16
	s_cbranch_vccnz .LBB143_903
; %bb.902:
	v_mov_b32_e32 v1, v15
.LBB143_903:
	global_store_b32 v[10:11], v1, off
.LBB143_904:
	s_mov_b32 s16, 0
.LBB143_905:
	s_delay_alu instid0(SALU_CYCLE_1)
	s_and_not1_b32 vcc_lo, exec_lo, s16
	s_cbranch_vccnz .LBB143_944
; %bb.906:
	v_cmp_gt_i16_e32 vcc_lo, 6, v13
	s_mov_b32 s16, -1
	s_cbranch_vccnz .LBB143_932
; %bb.907:
	v_cmp_lt_i16_e32 vcc_lo, 6, v13
	s_cbranch_vccz .LBB143_919
; %bb.908:
	v_and_b32_e64 v0, 0xff, s25
	s_delay_alu instid0(VALU_DEP_1)
	v_cmp_gt_i16_e32 vcc_lo, 0x80, v0
	s_cbranch_vccnz .LBB143_911
; %bb.909:
	v_cmp_eq_u16_e32 vcc_lo, 0x80, v0
	s_cbranch_vccz .LBB143_912
; %bb.910:
	s_mov_b32 s19, 0
	s_mov_b32 s17, 0x7ff80000
	s_brev_b32 s16, 4
	s_branch .LBB143_913
.LBB143_911:
	s_mov_b32 s36, -1
	s_mov_b32 s19, 0
                                        ; implicit-def: $sgpr16_sgpr17
	s_branch .LBB143_914
.LBB143_912:
	s_mov_b32 s19, -1
                                        ; implicit-def: $sgpr16_sgpr17
.LBB143_913:
	s_mov_b32 s36, 0
.LBB143_914:
	s_delay_alu instid0(SALU_CYCLE_1)
	s_and_b32 vcc_lo, exec_lo, s36
	s_cbranch_vccz .LBB143_916
; %bb.915:
	v_cmp_ne_u16_e64 s19, 0, v0
	s_mov_b64 s[16:17], 0
.LBB143_916:
	s_delay_alu instid0(SALU_CYCLE_1) | instskip(NEXT) | instid1(VALU_DEP_2)
	v_dual_mov_b32 v0, s16 :: v_dual_mov_b32 v1, s17
	s_and_not1_b32 vcc_lo, exec_lo, s19
	s_cbranch_vccnz .LBB143_918
; %bb.917:
	v_dual_mov_b32 v0, v6 :: v_dual_mov_b32 v1, v7
.LBB143_918:
	s_mov_b32 s16, 0
	global_store_b64 v[10:11], v[0:1], off
.LBB143_919:
	s_and_b32 vcc_lo, exec_lo, s16
	s_cbranch_vccz .LBB143_931
; %bb.920:
	v_and_b32_e64 v0, 0xff, s25
	s_delay_alu instid0(VALU_DEP_1)
	v_cmp_gt_i16_e32 vcc_lo, 0x80, v0
	s_cbranch_vccnz .LBB143_923
; %bb.921:
	v_cmp_eq_u16_e32 vcc_lo, 0x80, v0
	s_cbranch_vccz .LBB143_924
; %bb.922:
	s_mov_b32 s17, 0
	s_mov_b32 s16, 0x7f800001
	s_branch .LBB143_925
.LBB143_923:
	s_mov_b32 s19, -1
	s_mov_b32 s17, 0
                                        ; implicit-def: $sgpr16
	s_branch .LBB143_926
.LBB143_924:
	s_mov_b32 s17, -1
                                        ; implicit-def: $sgpr16
.LBB143_925:
	s_mov_b32 s19, 0
.LBB143_926:
	s_delay_alu instid0(SALU_CYCLE_1)
	s_and_b32 vcc_lo, exec_lo, s19
	s_cbranch_vccz .LBB143_928
; %bb.927:
	v_cmp_ne_u16_e64 s17, 0, v0
	s_mov_b32 s16, 0
.LBB143_928:
	s_delay_alu instid0(VALU_DEP_1)
	s_and_not1_b32 vcc_lo, exec_lo, s17
	s_cbranch_vccnz .LBB143_930
; %bb.929:
	s_mov_b32 s16, s26
.LBB143_930:
	s_delay_alu instid0(SALU_CYCLE_1)
	v_mov_b32_e32 v0, s16
	global_store_b32 v[10:11], v0, off
.LBB143_931:
	s_mov_b32 s16, 0
.LBB143_932:
	s_delay_alu instid0(SALU_CYCLE_1)
	s_and_not1_b32 vcc_lo, exec_lo, s16
	s_cbranch_vccnz .LBB143_944
; %bb.933:
	v_and_b32_e64 v0, 0xff, s25
	s_delay_alu instid0(VALU_DEP_1)
	v_cmp_gt_i16_e32 vcc_lo, 0x80, v0
	s_cbranch_vccnz .LBB143_936
; %bb.934:
	v_cmp_eq_u16_e32 vcc_lo, 0x80, v0
	s_cbranch_vccz .LBB143_937
; %bb.935:
	s_mov_b32 s16, 0
	s_movk_i32 s17, 0x7e00
	s_branch .LBB143_938
.LBB143_936:
	s_mov_b32 s19, -1
	s_mov_b32 s16, 0
                                        ; implicit-def: $sgpr17
	s_branch .LBB143_939
.LBB143_937:
	s_mov_b32 s16, -1
                                        ; implicit-def: $sgpr17
.LBB143_938:
	s_mov_b32 s19, 0
.LBB143_939:
	v_mov_b32_e32 v1, s17
	s_and_b32 vcc_lo, exec_lo, s19
	s_cbranch_vccz .LBB143_941
; %bb.940:
	v_cmp_ne_u16_e64 s16, 0, v0
	v_mov_b32_e32 v1, v0
.LBB143_941:
	s_delay_alu instid0(VALU_DEP_2)
	s_and_not1_b32 vcc_lo, exec_lo, s16
	s_cbranch_vccnz .LBB143_943
; %bb.942:
	v_mov_b32_e32 v1, v14
.LBB143_943:
	global_store_b16 v[10:11], v1, off
.LBB143_944:
	s_mov_b32 s16, 0
.LBB143_945:
	s_delay_alu instid0(SALU_CYCLE_1)
	s_and_not1_b32 vcc_lo, exec_lo, s16
	s_cbranch_vccnz .LBB143_996
; %bb.946:
	v_cmp_gt_i16_e32 vcc_lo, 2, v13
	s_mov_b32 s16, -1
	s_cbranch_vccnz .LBB143_977
; %bb.947:
	v_cmp_gt_i16_e32 vcc_lo, 3, v13
	s_cbranch_vccnz .LBB143_967
; %bb.948:
	v_cmp_lt_i16_e32 vcc_lo, 3, v13
	s_cbranch_vccz .LBB143_957
; %bb.949:
	v_and_b32_e64 v0, 0xff, s25
	s_delay_alu instid0(VALU_DEP_1)
	v_cmp_gt_i16_e32 vcc_lo, 0x80, v0
	s_cbranch_vccnz .LBB143_951
; %bb.950:
	v_cmp_ne_u16_e64 s19, 0x80, v0
	s_mov_b32 s36, 0
	s_mov_b64 s[16:17], 0
	s_branch .LBB143_952
.LBB143_951:
	s_mov_b32 s36, -1
	s_mov_b32 s19, 0
                                        ; implicit-def: $sgpr16_sgpr17
.LBB143_952:
	s_and_not1_b32 vcc_lo, exec_lo, s36
	s_cbranch_vccnz .LBB143_954
; %bb.953:
	v_cmp_ne_u16_e64 s19, 0, v0
	s_mov_b64 s[16:17], 0
.LBB143_954:
	s_delay_alu instid0(SALU_CYCLE_1) | instskip(NEXT) | instid1(VALU_DEP_2)
	v_dual_mov_b32 v0, s16 :: v_dual_mov_b32 v1, s17
	s_and_not1_b32 vcc_lo, exec_lo, s19
	s_cbranch_vccnz .LBB143_956
; %bb.955:
	v_dual_mov_b32 v0, v4 :: v_dual_mov_b32 v1, v5
.LBB143_956:
	s_mov_b32 s16, 0
	global_store_b64 v[10:11], v[0:1], off
.LBB143_957:
	s_and_b32 vcc_lo, exec_lo, s16
	s_cbranch_vccz .LBB143_966
; %bb.958:
	v_and_b32_e64 v0, 0xff, s25
	s_delay_alu instid0(VALU_DEP_1)
	v_cmp_gt_i16_e32 vcc_lo, 0x80, v0
	s_cbranch_vccnz .LBB143_960
; %bb.959:
	v_cmp_ne_u16_e64 s16, 0x80, v0
	s_mov_b32 s19, 0
	s_mov_b32 s17, 0
	s_branch .LBB143_961
.LBB143_960:
	s_mov_b32 s19, -1
	s_mov_b32 s16, 0
                                        ; implicit-def: $sgpr17
.LBB143_961:
	s_and_not1_b32 vcc_lo, exec_lo, s19
	s_cbranch_vccnz .LBB143_963
; %bb.962:
	v_cmp_ne_u16_e64 s16, 0, v0
	s_mov_b32 s17, 0
.LBB143_963:
	s_delay_alu instid0(SALU_CYCLE_1) | instskip(NEXT) | instid1(VALU_DEP_2)
	v_mov_b32_e32 v0, s17
	s_and_not1_b32 vcc_lo, exec_lo, s16
	s_cbranch_vccnz .LBB143_965
; %bb.964:
	v_mov_b32_e32 v0, v12
.LBB143_965:
	global_store_b32 v[10:11], v0, off
.LBB143_966:
	s_mov_b32 s16, 0
.LBB143_967:
	s_delay_alu instid0(SALU_CYCLE_1)
	s_and_not1_b32 vcc_lo, exec_lo, s16
	s_cbranch_vccnz .LBB143_976
; %bb.968:
	v_and_b32_e64 v0, 0xff, s25
	s_delay_alu instid0(VALU_DEP_1)
	v_cmp_gt_i16_e32 vcc_lo, 0x80, v0
	s_cbranch_vccnz .LBB143_970
; %bb.969:
	v_cmp_ne_u16_e64 s16, 0x80, v0
	s_mov_b32 s19, 0
	s_mov_b32 s17, 0
	s_branch .LBB143_971
.LBB143_970:
	s_mov_b32 s19, -1
	s_mov_b32 s16, 0
                                        ; implicit-def: $sgpr17
.LBB143_971:
	s_and_not1_b32 vcc_lo, exec_lo, s19
	s_cbranch_vccnz .LBB143_973
; %bb.972:
	v_cmp_ne_u16_e64 s16, 0, v0
	s_mov_b32 s17, 0
.LBB143_973:
	s_delay_alu instid0(SALU_CYCLE_1) | instskip(NEXT) | instid1(VALU_DEP_2)
	v_mov_b32_e32 v0, s17
	s_and_not1_b32 vcc_lo, exec_lo, s16
	s_cbranch_vccnz .LBB143_975
; %bb.974:
	v_mov_b32_e32 v0, v12
.LBB143_975:
	global_store_b16 v[10:11], v0, off
.LBB143_976:
	s_mov_b32 s16, 0
.LBB143_977:
	s_delay_alu instid0(SALU_CYCLE_1)
	s_and_not1_b32 vcc_lo, exec_lo, s16
	s_cbranch_vccnz .LBB143_996
; %bb.978:
	v_cmp_lt_i16_e32 vcc_lo, 0, v13
	s_mov_b32 s16, 0
	s_mov_b32 s17, -1
	s_cbranch_vccz .LBB143_987
; %bb.979:
	v_and_b32_e64 v0, 0xff, s25
	s_delay_alu instid0(VALU_DEP_1)
	v_cmp_gt_i16_e32 vcc_lo, 0x80, v0
	s_cbranch_vccnz .LBB143_981
; %bb.980:
	v_cmp_ne_u16_e64 s16, 0x80, v0
	s_mov_b32 s19, 0
	s_mov_b32 s17, 0
	s_branch .LBB143_982
.LBB143_981:
	s_mov_b32 s19, -1
                                        ; implicit-def: $sgpr17
.LBB143_982:
	s_delay_alu instid0(SALU_CYCLE_1)
	s_and_not1_b32 vcc_lo, exec_lo, s19
	s_cbranch_vccnz .LBB143_984
; %bb.983:
	v_cmp_ne_u16_e64 s16, 0, v0
	s_mov_b32 s17, 0
.LBB143_984:
	s_delay_alu instid0(SALU_CYCLE_1) | instskip(NEXT) | instid1(VALU_DEP_2)
	v_mov_b32_e32 v0, s17
	s_and_not1_b32 vcc_lo, exec_lo, s16
	s_cbranch_vccnz .LBB143_986
; %bb.985:
	v_mov_b32_e32 v0, v12
.LBB143_986:
	s_mov_b32 s17, 0
	global_store_b8 v[10:11], v0, off
.LBB143_987:
	s_and_b32 vcc_lo, exec_lo, s17
	s_cbranch_vccz .LBB143_996
; %bb.988:
	v_and_b32_e64 v0, 0xff, s25
	s_delay_alu instid0(VALU_DEP_1)
	v_cmp_gt_i16_e32 vcc_lo, 0x80, v0
	s_cbranch_vccnz .LBB143_990
; %bb.989:
	v_cmp_ne_u16_e64 s16, 0x80, v0
	s_mov_b32 s19, 0
	s_mov_b32 s17, 0
	s_branch .LBB143_991
.LBB143_990:
	s_mov_b32 s19, -1
	s_mov_b32 s16, 0
                                        ; implicit-def: $sgpr17
.LBB143_991:
	s_and_not1_b32 vcc_lo, exec_lo, s19
	s_cbranch_vccnz .LBB143_993
; %bb.992:
	v_cmp_ne_u16_e64 s16, 0, v0
	s_mov_b32 s17, 0
.LBB143_993:
	s_delay_alu instid0(SALU_CYCLE_1) | instskip(NEXT) | instid1(VALU_DEP_2)
	v_mov_b32_e32 v0, s17
	s_and_not1_b32 vcc_lo, exec_lo, s16
	s_cbranch_vccnz .LBB143_995
; %bb.994:
	v_mov_b32_e32 v0, v4
.LBB143_995:
	global_store_b8 v[10:11], v0, off
.LBB143_996:
	s_branch .LBB143_1464
.LBB143_997:
	s_mov_b32 s16, 0
                                        ; implicit-def: $vgpr16
	s_branch .LBB143_1465
.LBB143_998:
	s_mov_b32 s5, -1
                                        ; implicit-def: $sgpr4
.LBB143_999:
	s_mov_b32 s12, 0
.LBB143_1000:
	s_delay_alu instid0(SALU_CYCLE_1)
	s_and_b32 vcc_lo, exec_lo, s12
	s_cbranch_vccz .LBB143_1002
; %bb.1001:
	v_cmp_ne_u16_e64 s5, 0, v0
	s_mov_b32 s4, 0
.LBB143_1002:
	s_delay_alu instid0(VALU_DEP_1)
	s_and_not1_b32 vcc_lo, exec_lo, s5
	s_cbranch_vccnz .LBB143_1004
; %bb.1003:
	v_lshrrev_b16 v0, 3, s6
	s_and_b32 s4, s6, 7
	s_lshl_b32 s14, s6, 24
	s_clz_i32_u32 s5, s4
	s_delay_alu instid0(SALU_CYCLE_1) | instskip(SKIP_4) | instid1(VALU_DEP_1)
	s_min_u32 s5, s5, 32
	v_readfirstlane_b32 s12, v0
	s_sub_i32 s13, s5, 28
	s_sub_i32 s5, 29, s5
	s_lshl_b32 s13, s6, s13
	s_and_b32 s12, s12, 15
	s_and_b32 s13, s13, 7
	s_cmp_eq_u32 s12, 0
	s_cselect_b32 s5, s5, s12
	s_cselect_b32 s4, s13, s4
	s_lshl_b32 s5, s5, 23
	s_and_b32 s12, s14, 0x80000000
	s_add_i32 s5, s5, 0x3b800000
	s_lshl_b32 s4, s4, 20
	s_or_b32 s5, s12, s5
	s_delay_alu instid0(SALU_CYCLE_1)
	s_or_b32 s4, s5, s4
.LBB143_1004:
	s_delay_alu instid0(SALU_CYCLE_1) | instskip(NEXT) | instid1(SALU_CYCLE_1)
	s_bfe_u32 s5, s4, 0x10010
	s_add_i32 s5, s4, s5
	v_cmp_o_f32_e64 s4, s4, s4
	s_addk_i32 s5, 0x7fff
	s_delay_alu instid0(SALU_CYCLE_1) | instskip(NEXT) | instid1(VALU_DEP_1)
	s_lshr_b32 s5, s5, 16
	s_and_b32 s4, s4, exec_lo
	s_cselect_b32 s4, s5, 0x7fc0
	s_mov_b32 s5, -1
	v_mov_b32_e32 v0, s4
	s_mov_b32 s4, 0
	global_store_b32 v[6:7], v0, off
.LBB143_1005:
	s_and_b32 vcc_lo, exec_lo, s11
	s_cbranch_vccz .LBB143_1018
; %bb.1006:
	v_cmp_eq_u16_e32 vcc_lo, 44, v9
	s_mov_b32 s4, -1
	s_cbranch_vccz .LBB143_1018
; %bb.1007:
	v_and_b32_e64 v0, 0xff, s6
	s_delay_alu instid0(VALU_DEP_1)
	v_cmp_gt_i16_e32 vcc_lo, 0x80, v0
	v_readfirstlane_b32 s5, v0
	s_cbranch_vccnz .LBB143_1010
; %bb.1008:
	s_delay_alu instid0(VALU_DEP_1) | instskip(NEXT) | instid1(VALU_DEP_1)
	v_cmp_eq_u16_e64 s4, 0x80, s5
	s_and_b32 vcc_lo, exec_lo, s4
	s_cbranch_vccz .LBB143_1011
; %bb.1009:
	s_mov_b32 s11, 0
	s_mov_b32 s4, 0x7f800001
	s_branch .LBB143_1012
.LBB143_1010:
	s_mov_b32 s12, -1
	s_mov_b32 s11, 0
                                        ; implicit-def: $sgpr4
	s_branch .LBB143_1013
.LBB143_1011:
	s_mov_b32 s11, -1
                                        ; implicit-def: $sgpr4
.LBB143_1012:
	s_mov_b32 s12, 0
.LBB143_1013:
	s_delay_alu instid0(SALU_CYCLE_1)
	s_and_b32 vcc_lo, exec_lo, s12
	s_cbranch_vccz .LBB143_1023
; %bb.1014:
	v_cmp_ne_u16_e64 s11, s5, 0
	s_and_b32 s4, 0xffff, s5
	s_delay_alu instid0(VALU_DEP_1)
	s_and_not1_b32 vcc_lo, exec_lo, s11
	s_cbranch_vccz .LBB143_1024
.LBB143_1015:
	v_mov_b32_e32 v0, 0xff
	s_bfe_u32 s5, s4, 0x80017
	s_delay_alu instid0(SALU_CYCLE_1)
	s_cmpk_eq_i32 s5, 0xff
	s_cbranch_scc1 .LBB143_1017
.LBB143_1016:
	s_lshr_b32 s11, s4, 23
	s_bitcmp1_b32 s4, 22
	s_cselect_b32 s12, -1, 0
	s_and_b32 s4, s4, 0x3fffff
	s_delay_alu instid0(SALU_CYCLE_1) | instskip(NEXT) | instid1(SALU_CYCLE_1)
	s_or_b32 s4, s5, s4
	s_cmp_lg_u32 s4, 0
	s_cselect_b32 s4, -1, 0
	s_delay_alu instid0(SALU_CYCLE_1) | instskip(NEXT) | instid1(SALU_CYCLE_1)
	s_and_b32 s4, s12, s4
	v_cndmask_b32_e64 v0, 0, 1, s4
	s_delay_alu instid0(VALU_DEP_1)
	v_add_nc_u32_e32 v0, s11, v0
.LBB143_1017:
	s_mov_b32 s4, 0
	s_mov_b32 s5, -1
	global_store_b8 v[6:7], v0, off
.LBB143_1018:
	s_mov_b32 s11, 0
.LBB143_1019:
	s_delay_alu instid0(SALU_CYCLE_1)
	s_and_b32 vcc_lo, exec_lo, s11
	s_cbranch_vccz .LBB143_1031
; %bb.1020:
	v_cmp_eq_u16_e32 vcc_lo, 29, v9
	s_mov_b32 s4, -1
	s_cbranch_vccz .LBB143_1031
; %bb.1021:
	v_and_b32_e64 v0, 0xff, s6
	s_delay_alu instid0(VALU_DEP_1)
	v_cmp_gt_i16_e32 vcc_lo, 0x80, v0
	s_cbranch_vccnz .LBB143_1025
; %bb.1022:
	v_cmp_ne_u16_e64 s11, 0x80, v0
	s_mov_b32 s12, 0
	s_mov_b64 s[4:5], 0
	s_branch .LBB143_1026
.LBB143_1023:
	s_and_not1_b32 vcc_lo, exec_lo, s11
	s_cbranch_vccnz .LBB143_1015
.LBB143_1024:
	v_lshrrev_b16 v0, 3, s6
	s_and_b32 s4, s6, 7
	s_delay_alu instid0(SALU_CYCLE_1) | instskip(NEXT) | instid1(SALU_CYCLE_1)
	s_clz_i32_u32 s5, s4
	s_min_u32 s5, s5, 32
	s_delay_alu instid0(VALU_DEP_1) | instskip(SKIP_3) | instid1(VALU_DEP_1)
	v_readfirstlane_b32 s11, v0
	s_sub_i32 s12, s5, 28
	s_sub_i32 s5, 29, s5
	s_lshl_b32 s12, s6, s12
	s_and_b32 s11, s11, 15
	s_and_b32 s12, s12, 7
	s_cmp_eq_u32 s11, 0
	s_cselect_b32 s4, s12, s4
	s_cselect_b32 s5, s5, s11
	s_lshl_b32 s4, s4, 20
	s_lshl_b32 s5, s5, 23
	s_delay_alu instid0(SALU_CYCLE_1) | instskip(NEXT) | instid1(SALU_CYCLE_1)
	s_or_b32 s4, s5, s4
	s_add_i32 s4, s4, 0x3b800000
	v_mov_b32_e32 v0, 0xff
	s_bfe_u32 s5, s4, 0x80017
	s_delay_alu instid0(SALU_CYCLE_1)
	s_cmpk_eq_i32 s5, 0xff
	s_cbranch_scc0 .LBB143_1016
	s_branch .LBB143_1017
.LBB143_1025:
	s_mov_b32 s12, -1
	s_mov_b32 s11, 0
                                        ; implicit-def: $sgpr4_sgpr5
.LBB143_1026:
	s_and_not1_b32 vcc_lo, exec_lo, s12
	s_cbranch_vccnz .LBB143_1028
; %bb.1027:
	v_cmp_ne_u16_e64 s11, 0, v0
	s_mov_b64 s[4:5], 0
.LBB143_1028:
	s_delay_alu instid0(SALU_CYCLE_1) | instskip(NEXT) | instid1(VALU_DEP_2)
	v_dual_mov_b32 v0, s4 :: v_dual_mov_b32 v1, s5
	s_and_not1_b32 vcc_lo, exec_lo, s11
	s_cbranch_vccnz .LBB143_1030
; %bb.1029:
	v_lshrrev_b16 v0, 3, s6
	s_and_b32 s4, s6, 7
	s_lshl_b32 s12, s6, 24
	s_clz_i32_u32 s5, s4
	s_delay_alu instid0(SALU_CYCLE_1) | instskip(SKIP_4) | instid1(VALU_DEP_1)
	s_min_u32 s5, s5, 32
	v_readfirstlane_b32 s11, v0
	s_sub_i32 s13, s5, 28
	s_sub_i32 s5, 29, s5
	s_lshl_b32 s13, s6, s13
	s_and_b32 s11, s11, 15
	s_and_b32 s13, s13, 7
	s_cmp_eq_u32 s11, 0
	s_cselect_b32 s5, s5, s11
	s_cselect_b32 s4, s13, s4
	s_lshl_b32 s5, s5, 23
	s_and_b32 s11, s12, 0x80000000
	s_add_i32 s5, s5, 0x3b800000
	s_lshl_b32 s4, s4, 20
	s_or_b32 s5, s11, s5
	s_delay_alu instid0(SALU_CYCLE_1) | instskip(NEXT) | instid1(SALU_CYCLE_1)
	s_or_b32 s4, s5, s4
	v_trunc_f32_e32 v0, s4
	s_delay_alu instid0(VALU_DEP_1) | instskip(NEXT) | instid1(VALU_DEP_1)
	v_mul_f32_e32 v1, 0x2f800000, v0
	v_floor_f32_e32 v1, v1
	s_delay_alu instid0(VALU_DEP_1) | instskip(SKIP_1) | instid1(VALU_DEP_2)
	v_fmamk_f32 v0, v1, 0xcf800000, v0
	v_cvt_u32_f32_e32 v1, v1
	v_cvt_u32_f32_e32 v0, v0
.LBB143_1030:
	s_mov_b32 s4, 0
	s_mov_b32 s5, -1
	global_store_b64 v[6:7], v[0:1], off
.LBB143_1031:
	s_mov_b32 s11, 0
.LBB143_1032:
	s_delay_alu instid0(SALU_CYCLE_1)
	s_and_b32 vcc_lo, exec_lo, s11
	s_cbranch_vccz .LBB143_1056
; %bb.1033:
	v_cmp_gt_i16_e32 vcc_lo, 27, v9
	s_mov_b32 s5, -1
	s_cbranch_vccnz .LBB143_1053
; %bb.1034:
	v_cmp_lt_i16_e32 vcc_lo, 27, v9
	s_cbranch_vccz .LBB143_1043
; %bb.1035:
	v_and_b32_e64 v0, 0xff, s6
	s_delay_alu instid0(VALU_DEP_1)
	v_cmp_gt_i16_e32 vcc_lo, 0x80, v0
	s_cbranch_vccnz .LBB143_1037
; %bb.1036:
	v_cmp_ne_u16_e64 s5, 0x80, v0
	s_mov_b32 s12, 0
	s_mov_b32 s11, 0
	s_branch .LBB143_1038
.LBB143_1037:
	s_mov_b32 s12, -1
	s_mov_b32 s5, 0
                                        ; implicit-def: $sgpr11
.LBB143_1038:
	s_and_not1_b32 vcc_lo, exec_lo, s12
	s_cbranch_vccnz .LBB143_1040
; %bb.1039:
	v_cmp_ne_u16_e64 s5, 0, v0
	s_mov_b32 s11, 0
.LBB143_1040:
	s_delay_alu instid0(SALU_CYCLE_1) | instskip(NEXT) | instid1(VALU_DEP_2)
	v_mov_b32_e32 v0, s11
	s_and_not1_b32 vcc_lo, exec_lo, s5
	s_cbranch_vccnz .LBB143_1042
; %bb.1041:
	v_lshrrev_b16 v0, 3, s6
	s_and_b32 s5, s6, 7
	s_lshl_b32 s14, s6, 24
	s_clz_i32_u32 s11, s5
	s_delay_alu instid0(SALU_CYCLE_1) | instskip(SKIP_4) | instid1(VALU_DEP_1)
	s_min_u32 s11, s11, 32
	v_readfirstlane_b32 s12, v0
	s_sub_i32 s13, s11, 28
	s_sub_i32 s11, 29, s11
	s_lshl_b32 s13, s6, s13
	s_and_b32 s12, s12, 15
	s_and_b32 s13, s13, 7
	s_cmp_eq_u32 s12, 0
	s_cselect_b32 s11, s11, s12
	s_cselect_b32 s5, s13, s5
	s_lshl_b32 s11, s11, 23
	s_and_b32 s12, s14, 0x80000000
	s_add_i32 s11, s11, 0x3b800000
	s_lshl_b32 s5, s5, 20
	s_or_b32 s11, s12, s11
	s_delay_alu instid0(SALU_CYCLE_1) | instskip(NEXT) | instid1(SALU_CYCLE_1)
	s_or_b32 s5, s11, s5
	v_cvt_u32_f32_e32 v0, s5
.LBB143_1042:
	s_mov_b32 s5, 0
	global_store_b32 v[6:7], v0, off
.LBB143_1043:
	s_and_b32 vcc_lo, exec_lo, s5
	s_cbranch_vccz .LBB143_1052
; %bb.1044:
	v_and_b32_e64 v0, 0xff, s6
	s_delay_alu instid0(VALU_DEP_1)
	v_cmp_gt_i16_e32 vcc_lo, 0x80, v0
	s_cbranch_vccnz .LBB143_1046
; %bb.1045:
	v_cmp_ne_u16_e64 s5, 0x80, v0
	s_mov_b32 s12, 0
	s_mov_b32 s11, 0
	s_branch .LBB143_1047
.LBB143_1046:
	s_mov_b32 s12, -1
	s_mov_b32 s5, 0
                                        ; implicit-def: $sgpr11
.LBB143_1047:
	s_and_not1_b32 vcc_lo, exec_lo, s12
	s_cbranch_vccnz .LBB143_1049
; %bb.1048:
	v_cmp_ne_u16_e64 s5, 0, v0
	s_mov_b32 s11, 0
.LBB143_1049:
	s_delay_alu instid0(SALU_CYCLE_1) | instskip(NEXT) | instid1(VALU_DEP_2)
	v_mov_b32_e32 v0, s11
	s_and_not1_b32 vcc_lo, exec_lo, s5
	s_cbranch_vccnz .LBB143_1051
; %bb.1050:
	v_lshrrev_b16 v0, 3, s6
	s_and_b32 s5, s6, 7
	s_lshl_b32 s14, s6, 24
	s_clz_i32_u32 s11, s5
	s_delay_alu instid0(SALU_CYCLE_1) | instskip(SKIP_4) | instid1(VALU_DEP_1)
	s_min_u32 s11, s11, 32
	v_readfirstlane_b32 s12, v0
	s_sub_i32 s13, s11, 28
	s_sub_i32 s11, 29, s11
	s_lshl_b32 s13, s6, s13
	s_and_b32 s12, s12, 15
	s_and_b32 s13, s13, 7
	s_cmp_eq_u32 s12, 0
	s_cselect_b32 s11, s11, s12
	s_cselect_b32 s5, s13, s5
	s_lshl_b32 s11, s11, 23
	s_and_b32 s12, s14, 0x80000000
	s_add_i32 s11, s11, 0x3b800000
	s_lshl_b32 s5, s5, 20
	s_or_b32 s11, s12, s11
	s_delay_alu instid0(SALU_CYCLE_1) | instskip(NEXT) | instid1(SALU_CYCLE_1)
	s_or_b32 s5, s11, s5
	v_cvt_u32_f32_e32 v0, s5
.LBB143_1051:
	global_store_b16 v[6:7], v0, off
.LBB143_1052:
	s_mov_b32 s5, 0
.LBB143_1053:
	s_delay_alu instid0(SALU_CYCLE_1)
	s_and_not1_b32 vcc_lo, exec_lo, s5
	s_cbranch_vccnz .LBB143_1055
; %bb.1054:
	v_mov_b32_e32 v0, s6
	global_store_b8 v[6:7], v0, off
.LBB143_1055:
	s_mov_b32 s5, -1
.LBB143_1056:
	s_mov_b32 s11, 0
.LBB143_1057:
	s_delay_alu instid0(SALU_CYCLE_1)
	s_and_b32 vcc_lo, exec_lo, s11
	s_cbranch_vccz .LBB143_1143
; %bb.1058:
	v_cmp_lt_i16_e32 vcc_lo, 22, v9
	s_mov_b32 s10, -1
	s_cbranch_vccz .LBB143_1126
; %bb.1059:
	v_cmp_gt_i16_e32 vcc_lo, 24, v9
	s_mov_b32 s5, -1
	s_cbranch_vccnz .LBB143_1103
; %bb.1060:
	v_cmp_lt_i16_e32 vcc_lo, 24, v9
	s_cbranch_vccz .LBB143_1080
; %bb.1061:
	v_and_b32_e64 v0, 0xff, s6
	s_delay_alu instid0(VALU_DEP_1)
	v_cmp_gt_i16_e32 vcc_lo, 0x80, v0
	s_cbranch_vccnz .LBB143_1064
; %bb.1062:
	v_cmp_eq_u16_e32 vcc_lo, 0x80, v0
	s_cbranch_vccz .LBB143_1065
; %bb.1063:
	s_mov_b32 s10, 0
	s_mov_b32 s5, 0x7f800001
	s_branch .LBB143_1066
.LBB143_1064:
	s_mov_b32 s11, -1
	s_mov_b32 s10, 0
                                        ; implicit-def: $sgpr5
	s_branch .LBB143_1067
.LBB143_1065:
                                        ; implicit-def: $sgpr5
.LBB143_1066:
	s_mov_b32 s11, 0
.LBB143_1067:
	s_delay_alu instid0(SALU_CYCLE_1)
	s_and_b32 vcc_lo, exec_lo, s11
	s_cbranch_vccz .LBB143_1070
; %bb.1068:
	v_cmp_ne_u16_e64 s10, 0, v0
	s_mov_b32 s5, 0
	s_delay_alu instid0(VALU_DEP_1)
	s_and_not1_b32 vcc_lo, exec_lo, s10
	s_cbranch_vccz .LBB143_1071
.LBB143_1069:
	v_mov_b32_e32 v1, 0x80
	s_and_b32 s10, s5, 0x7fffffff
	s_delay_alu instid0(SALU_CYCLE_1)
	s_cmp_gt_u32 s10, 0x477fffff
	s_cbranch_scc0 .LBB143_1072
	s_branch .LBB143_1079
.LBB143_1070:
	s_and_not1_b32 vcc_lo, exec_lo, s10
	s_cbranch_vccnz .LBB143_1069
.LBB143_1071:
	v_lshrrev_b16 v0, 3, s6
	s_and_b32 s5, s6, 7
	s_lshl_b32 s13, s6, 24
	s_clz_i32_u32 s10, s5
	s_delay_alu instid0(SALU_CYCLE_1) | instskip(SKIP_4) | instid1(VALU_DEP_1)
	s_min_u32 s10, s10, 32
	v_readfirstlane_b32 s11, v0
	s_sub_i32 s12, s10, 28
	s_sub_i32 s10, 29, s10
	s_lshl_b32 s12, s6, s12
	s_and_b32 s11, s11, 15
	s_and_b32 s12, s12, 7
	s_cmp_eq_u32 s11, 0
	s_cselect_b32 s10, s10, s11
	s_cselect_b32 s5, s12, s5
	s_lshl_b32 s10, s10, 23
	s_and_b32 s11, s13, 0x80000000
	s_add_i32 s10, s10, 0x3b800000
	s_lshl_b32 s5, s5, 20
	s_or_b32 s10, s11, s10
	s_delay_alu instid0(SALU_CYCLE_1) | instskip(SKIP_2) | instid1(SALU_CYCLE_1)
	s_or_b32 s5, s10, s5
	v_mov_b32_e32 v1, 0x80
	s_and_b32 s10, s5, 0x7fffffff
	s_cmp_gt_u32 s10, 0x477fffff
	s_cbranch_scc1 .LBB143_1079
.LBB143_1072:
	s_cmp_gt_u32 s10, 0x37ffffff
	s_cbranch_scc0 .LBB143_1074
; %bb.1073:
	s_bfe_u32 s10, s5, 0x10015
	s_mov_b32 s11, 0
	s_add_i32 s10, s5, s10
	s_delay_alu instid0(SALU_CYCLE_1) | instskip(NEXT) | instid1(SALU_CYCLE_1)
	s_add_i32 s10, s10, 0x88fffff
	s_lshr_b32 s12, s10, 21
	s_mov_b32 s10, -1
	s_branch .LBB143_1075
.LBB143_1074:
	s_mov_b32 s11, -1
	s_mov_b32 s10, 0
                                        ; implicit-def: $sgpr12
.LBB143_1075:
	v_mov_b32_e32 v0, s12
	s_and_not1_b32 vcc_lo, exec_lo, s11
                                        ; implicit-def: $sgpr11
	s_cbranch_vccnz .LBB143_1077
; %bb.1076:
	v_add_f32_e64 v0, 0x42800000, |s5|
	s_mov_b32 s11, 0
	s_delay_alu instid0(VALU_DEP_1) | instskip(NEXT) | instid1(VALU_DEP_1)
	v_and_b32_e32 v0, 0xff, v0
	v_cmp_ne_u32_e64 s10, 0, v0
.LBB143_1077:
	v_mov_b32_e32 v1, s11
	s_delay_alu instid0(VALU_DEP_2)
	s_and_not1_b32 vcc_lo, exec_lo, s10
	s_cbranch_vccnz .LBB143_1079
; %bb.1078:
	s_lshr_b32 s5, s5, 24
	s_delay_alu instid0(SALU_CYCLE_1) | instskip(NEXT) | instid1(SALU_CYCLE_1)
	s_and_b32 s5, s5, 0x80
	v_or_b32_e32 v1, s5, v0
.LBB143_1079:
	s_mov_b32 s5, 0
	global_store_b8 v[6:7], v1, off
.LBB143_1080:
	s_and_b32 vcc_lo, exec_lo, s5
	s_cbranch_vccz .LBB143_1102
; %bb.1081:
	v_and_b32_e64 v0, 0xff, s6
	s_delay_alu instid0(VALU_DEP_1)
	v_cmp_gt_i16_e32 vcc_lo, 0x80, v0
	s_cbranch_vccnz .LBB143_1084
; %bb.1082:
	v_cmp_eq_u16_e32 vcc_lo, 0x80, v0
	s_cbranch_vccz .LBB143_1085
; %bb.1083:
	s_mov_b32 s10, 0
	s_mov_b32 s5, 0x7f800001
	s_branch .LBB143_1086
.LBB143_1084:
	s_mov_b32 s11, -1
	s_mov_b32 s10, 0
                                        ; implicit-def: $sgpr5
	s_branch .LBB143_1087
.LBB143_1085:
	s_mov_b32 s10, -1
                                        ; implicit-def: $sgpr5
.LBB143_1086:
	s_mov_b32 s11, 0
.LBB143_1087:
	s_delay_alu instid0(SALU_CYCLE_1)
	s_and_b32 vcc_lo, exec_lo, s11
	s_cbranch_vccz .LBB143_1092
; %bb.1088:
	v_cmp_ne_u16_e64 s10, 0, v0
	s_mov_b32 s5, 0
	s_delay_alu instid0(VALU_DEP_1)
	s_and_not1_b32 vcc_lo, exec_lo, s10
	s_cbranch_vccz .LBB143_1093
.LBB143_1089:
	s_and_b32 s10, s5, 0x7fffffff
	s_delay_alu instid0(SALU_CYCLE_1)
	s_cmp_lt_u32 s10, 0x43f00000
	s_cbranch_scc0 .LBB143_1094
.LBB143_1090:
	s_cmp_gt_u32 s10, 0x3c7fffff
	s_cbranch_scc0 .LBB143_1095
; %bb.1091:
	s_bfe_u32 s11, s5, 0x10014
	s_delay_alu instid0(SALU_CYCLE_1) | instskip(NEXT) | instid1(SALU_CYCLE_1)
	s_add_i32 s11, s5, s11
	s_add_i32 s11, s11, 0x407ffff
	s_delay_alu instid0(SALU_CYCLE_1)
	s_and_b32 s12, s11, 0xff00000
	s_lshr_b32 s11, s11, 20
	s_cmp_lg_u32 s12, 0x7f00000
	s_cselect_b32 s12, s11, 0x7e
	s_mov_b32 s11, 0
	s_branch .LBB143_1096
.LBB143_1092:
	s_and_not1_b32 vcc_lo, exec_lo, s10
	s_cbranch_vccnz .LBB143_1089
.LBB143_1093:
	v_lshrrev_b16 v0, 3, s6
	s_and_b32 s5, s6, 7
	s_lshl_b32 s13, s6, 24
	s_clz_i32_u32 s10, s5
	s_delay_alu instid0(SALU_CYCLE_1) | instskip(SKIP_4) | instid1(VALU_DEP_1)
	s_min_u32 s10, s10, 32
	v_readfirstlane_b32 s11, v0
	s_sub_i32 s12, s10, 28
	s_sub_i32 s10, 29, s10
	s_lshl_b32 s12, s6, s12
	s_and_b32 s11, s11, 15
	s_and_b32 s12, s12, 7
	s_cmp_eq_u32 s11, 0
	s_cselect_b32 s10, s10, s11
	s_cselect_b32 s5, s12, s5
	s_lshl_b32 s10, s10, 23
	s_and_b32 s11, s13, 0x80000000
	s_add_i32 s10, s10, 0x3b800000
	s_lshl_b32 s5, s5, 20
	s_or_b32 s10, s11, s10
	s_delay_alu instid0(SALU_CYCLE_1) | instskip(NEXT) | instid1(SALU_CYCLE_1)
	s_or_b32 s5, s10, s5
	s_and_b32 s10, s5, 0x7fffffff
	s_delay_alu instid0(SALU_CYCLE_1)
	s_cmp_lt_u32 s10, 0x43f00000
	s_cbranch_scc1 .LBB143_1090
.LBB143_1094:
	s_mov_b32 s11, -1
                                        ; implicit-def: $vgpr0
	s_branch .LBB143_1099
.LBB143_1095:
	s_mov_b32 s11, -1
                                        ; implicit-def: $sgpr12
.LBB143_1096:
	v_mov_b32_e32 v0, s12
	s_and_not1_b32 vcc_lo, exec_lo, s11
	s_cbranch_vccnz .LBB143_1098
; %bb.1097:
	v_add_f32_e64 v0, 0x46800000, |s5|
.LBB143_1098:
	s_mov_b32 s11, 0
.LBB143_1099:
	s_delay_alu instid0(SALU_CYCLE_1)
	s_and_not1_b32 vcc_lo, exec_lo, s11
	s_cbranch_vccnz .LBB143_1101
; %bb.1100:
	s_cmp_gt_u32 s10, 0x7f800000
	s_movk_i32 s10, 0x7f
	s_delay_alu instid0(SALU_CYCLE_1) | instskip(NEXT) | instid1(SALU_CYCLE_1)
	s_cselect_b32 s10, s10, 0x7e
	v_mov_b32_e32 v0, s10
.LBB143_1101:
	s_lshr_b32 s5, s5, 24
	s_delay_alu instid0(SALU_CYCLE_1)
	s_and_b32 s5, s5, 0x80
	s_delay_alu instid0(VALU_DEP_1) | instid1(SALU_CYCLE_1)
	v_or_b32_e32 v0, s5, v0
	global_store_b8 v[6:7], v0, off
.LBB143_1102:
	s_mov_b32 s5, 0
.LBB143_1103:
	s_delay_alu instid0(SALU_CYCLE_1)
	s_and_not1_b32 vcc_lo, exec_lo, s5
	s_cbranch_vccnz .LBB143_1125
; %bb.1104:
	v_and_b32_e64 v0, 0xff, s6
	s_delay_alu instid0(VALU_DEP_1)
	v_cmp_gt_i16_e32 vcc_lo, 0x80, v0
	s_cbranch_vccnz .LBB143_1107
; %bb.1105:
	v_cmp_eq_u16_e32 vcc_lo, 0x80, v0
	s_cbranch_vccz .LBB143_1108
; %bb.1106:
	s_mov_b32 s10, 0
	s_mov_b32 s5, 0x7f800001
	s_branch .LBB143_1109
.LBB143_1107:
	s_mov_b32 s11, -1
	s_mov_b32 s10, 0
                                        ; implicit-def: $sgpr5
	s_branch .LBB143_1110
.LBB143_1108:
	s_mov_b32 s10, -1
                                        ; implicit-def: $sgpr5
.LBB143_1109:
	s_mov_b32 s11, 0
.LBB143_1110:
	s_delay_alu instid0(SALU_CYCLE_1)
	s_and_b32 vcc_lo, exec_lo, s11
	s_cbranch_vccz .LBB143_1115
; %bb.1111:
	v_cmp_ne_u16_e64 s10, 0, v0
	s_mov_b32 s5, 0
	s_delay_alu instid0(VALU_DEP_1)
	s_and_not1_b32 vcc_lo, exec_lo, s10
	s_cbranch_vccz .LBB143_1116
.LBB143_1112:
	s_and_b32 s10, s5, 0x7fffffff
	s_delay_alu instid0(SALU_CYCLE_1)
	s_cmp_lt_u32 s10, 0x47800000
	s_cbranch_scc0 .LBB143_1117
.LBB143_1113:
	s_cmp_gt_u32 s10, 0x387fffff
	s_cbranch_scc0 .LBB143_1118
; %bb.1114:
	s_bfe_u32 s11, s5, 0x10015
	s_delay_alu instid0(SALU_CYCLE_1) | instskip(NEXT) | instid1(SALU_CYCLE_1)
	s_add_i32 s11, s5, s11
	s_add_i32 s11, s11, 0x80fffff
	s_delay_alu instid0(SALU_CYCLE_1)
	s_lshr_b32 s12, s11, 21
	s_mov_b32 s11, 0
	s_branch .LBB143_1119
.LBB143_1115:
	s_and_not1_b32 vcc_lo, exec_lo, s10
	s_cbranch_vccnz .LBB143_1112
.LBB143_1116:
	v_lshrrev_b16 v0, 3, s6
	s_and_b32 s5, s6, 7
	s_lshl_b32 s13, s6, 24
	s_clz_i32_u32 s10, s5
	s_delay_alu instid0(SALU_CYCLE_1) | instskip(SKIP_4) | instid1(VALU_DEP_1)
	s_min_u32 s10, s10, 32
	v_readfirstlane_b32 s11, v0
	s_sub_i32 s12, s10, 28
	s_sub_i32 s10, 29, s10
	s_lshl_b32 s12, s6, s12
	s_and_b32 s11, s11, 15
	s_and_b32 s12, s12, 7
	s_cmp_eq_u32 s11, 0
	s_cselect_b32 s10, s10, s11
	s_cselect_b32 s5, s12, s5
	s_lshl_b32 s10, s10, 23
	s_and_b32 s11, s13, 0x80000000
	s_add_i32 s10, s10, 0x3b800000
	s_lshl_b32 s5, s5, 20
	s_or_b32 s10, s11, s10
	s_delay_alu instid0(SALU_CYCLE_1) | instskip(NEXT) | instid1(SALU_CYCLE_1)
	s_or_b32 s5, s10, s5
	s_and_b32 s10, s5, 0x7fffffff
	s_delay_alu instid0(SALU_CYCLE_1)
	s_cmp_lt_u32 s10, 0x47800000
	s_cbranch_scc1 .LBB143_1113
.LBB143_1117:
	s_mov_b32 s11, -1
                                        ; implicit-def: $vgpr0
	s_branch .LBB143_1122
.LBB143_1118:
	s_mov_b32 s11, -1
                                        ; implicit-def: $sgpr12
.LBB143_1119:
	v_mov_b32_e32 v0, s12
	s_and_not1_b32 vcc_lo, exec_lo, s11
	s_cbranch_vccnz .LBB143_1121
; %bb.1120:
	v_add_f32_e64 v0, 0x43000000, |s5|
.LBB143_1121:
	s_mov_b32 s11, 0
.LBB143_1122:
	s_delay_alu instid0(SALU_CYCLE_1)
	s_and_not1_b32 vcc_lo, exec_lo, s11
	s_cbranch_vccnz .LBB143_1124
; %bb.1123:
	s_cmp_gt_u32 s10, 0x7f800000
	s_movk_i32 s10, 0x7f
	s_delay_alu instid0(SALU_CYCLE_1) | instskip(NEXT) | instid1(SALU_CYCLE_1)
	s_cselect_b32 s10, s10, 0x7c
	v_mov_b32_e32 v0, s10
.LBB143_1124:
	s_lshr_b32 s5, s5, 24
	s_delay_alu instid0(SALU_CYCLE_1)
	s_and_b32 s5, s5, 0x80
	s_delay_alu instid0(VALU_DEP_1) | instid1(SALU_CYCLE_1)
	v_or_b32_e32 v0, s5, v0
	global_store_b8 v[6:7], v0, off
.LBB143_1125:
	s_mov_b32 s10, 0
	s_mov_b32 s5, -1
.LBB143_1126:
	s_and_not1_b32 vcc_lo, exec_lo, s10
	s_mov_b32 s10, 0
	s_cbranch_vccnz .LBB143_1143
; %bb.1127:
	v_cmp_lt_i16_e32 vcc_lo, 14, v9
	s_mov_b32 s10, -1
	s_cbranch_vccz .LBB143_1141
; %bb.1128:
	v_cmp_eq_u16_e32 vcc_lo, 15, v9
	s_mov_b32 s4, -1
	s_cbranch_vccz .LBB143_1140
; %bb.1129:
	v_and_b32_e64 v0, 0xff, s6
	s_delay_alu instid0(VALU_DEP_1)
	v_cmp_gt_i16_e32 vcc_lo, 0x80, v0
	s_cbranch_vccnz .LBB143_1132
; %bb.1130:
	v_cmp_eq_u16_e32 vcc_lo, 0x80, v0
	s_cbranch_vccz .LBB143_1133
; %bb.1131:
	s_mov_b32 s5, 0
	s_mov_b32 s4, 0x7f800001
	s_branch .LBB143_1134
.LBB143_1132:
	s_mov_b32 s5, 0
                                        ; implicit-def: $sgpr4
	s_branch .LBB143_1135
.LBB143_1133:
	s_mov_b32 s5, -1
                                        ; implicit-def: $sgpr4
.LBB143_1134:
	s_mov_b32 s10, 0
.LBB143_1135:
	s_delay_alu instid0(SALU_CYCLE_1)
	s_and_b32 vcc_lo, exec_lo, s10
	s_cbranch_vccz .LBB143_1137
; %bb.1136:
	v_cmp_ne_u16_e64 s5, 0, v0
	s_mov_b32 s4, 0
.LBB143_1137:
	s_delay_alu instid0(VALU_DEP_1)
	s_and_not1_b32 vcc_lo, exec_lo, s5
	s_cbranch_vccnz .LBB143_1139
; %bb.1138:
	v_lshrrev_b16 v0, 3, s6
	s_and_b32 s4, s6, 7
	s_lshl_b32 s12, s6, 24
	s_clz_i32_u32 s5, s4
	s_delay_alu instid0(SALU_CYCLE_1) | instskip(SKIP_4) | instid1(VALU_DEP_1)
	s_min_u32 s5, s5, 32
	v_readfirstlane_b32 s10, v0
	s_sub_i32 s11, s5, 28
	s_sub_i32 s5, 29, s5
	s_lshl_b32 s11, s6, s11
	s_and_b32 s10, s10, 15
	s_and_b32 s11, s11, 7
	s_cmp_eq_u32 s10, 0
	s_cselect_b32 s5, s5, s10
	s_cselect_b32 s4, s11, s4
	s_lshl_b32 s5, s5, 23
	s_and_b32 s10, s12, 0x80000000
	s_add_i32 s5, s5, 0x3b800000
	s_lshl_b32 s4, s4, 20
	s_or_b32 s5, s10, s5
	s_delay_alu instid0(SALU_CYCLE_1)
	s_or_b32 s4, s5, s4
.LBB143_1139:
	s_delay_alu instid0(SALU_CYCLE_1) | instskip(NEXT) | instid1(SALU_CYCLE_1)
	s_bfe_u32 s5, s4, 0x10010
	s_add_i32 s5, s4, s5
	v_cmp_o_f32_e64 s4, s4, s4
	s_addk_i32 s5, 0x7fff
	s_delay_alu instid0(SALU_CYCLE_1) | instskip(NEXT) | instid1(VALU_DEP_1)
	s_lshr_b32 s5, s5, 16
	s_and_b32 s4, s4, exec_lo
	s_cselect_b32 s4, s5, 0x7fc0
	s_mov_b32 s5, -1
	v_mov_b32_e32 v0, s4
	s_mov_b32 s4, 0
	global_store_b16 v[6:7], v0, off
.LBB143_1140:
	s_mov_b32 s10, 0
.LBB143_1141:
	s_delay_alu instid0(SALU_CYCLE_1)
	s_and_b32 vcc_lo, exec_lo, s10
	s_mov_b32 s10, 0
	s_cbranch_vccz .LBB143_1143
; %bb.1142:
	v_cmp_ne_u16_e64 s4, 11, v9
	s_mov_b32 s10, -1
.LBB143_1143:
	s_delay_alu instid0(VALU_DEP_1)
	s_and_b32 vcc_lo, exec_lo, s4
	s_cbranch_vccnz .LBB143_1165
; %bb.1144:
	s_and_not1_b32 vcc_lo, exec_lo, s10
	s_cbranch_vccnz .LBB143_1156
.LBB143_1145:
	v_and_b32_e64 v0, 0xff, s6
	s_delay_alu instid0(VALU_DEP_1)
	v_cmp_gt_i16_e32 vcc_lo, 0x80, v0
	s_cbranch_vccnz .LBB143_1148
; %bb.1146:
	v_cmp_eq_u16_e32 vcc_lo, 0x80, v0
	s_cbranch_vccz .LBB143_1149
; %bb.1147:
	s_mov_b32 s5, 0
	s_mov_b32 s4, -1
	s_branch .LBB143_1150
.LBB143_1148:
	s_mov_b32 s10, -1
	s_mov_b32 s5, 0
                                        ; implicit-def: $sgpr4
	s_branch .LBB143_1151
.LBB143_1149:
	s_mov_b32 s5, -1
                                        ; implicit-def: $sgpr4
.LBB143_1150:
	s_mov_b32 s10, 0
.LBB143_1151:
	s_delay_alu instid0(SALU_CYCLE_1)
	s_and_b32 vcc_lo, exec_lo, s10
	s_cbranch_vccz .LBB143_1153
; %bb.1152:
	v_cmp_ne_u16_e64 s5, 0, v0
	s_mov_b32 s4, 0
.LBB143_1153:
	s_delay_alu instid0(VALU_DEP_1)
	s_and_not1_b32 vcc_lo, exec_lo, s5
	s_cbranch_vccnz .LBB143_1155
; %bb.1154:
	v_lshrrev_b16 v0, 3, s6
	s_and_b32 s4, s6, 7
	s_delay_alu instid0(SALU_CYCLE_1) | instskip(NEXT) | instid1(SALU_CYCLE_1)
	s_clz_i32_u32 s5, s4
	s_min_u32 s5, s5, 32
	s_delay_alu instid0(VALU_DEP_1) | instskip(SKIP_3) | instid1(VALU_DEP_1)
	v_readfirstlane_b32 s10, v0
	s_sub_i32 s11, s5, 28
	s_sub_i32 s5, 29, s5
	s_lshl_b32 s11, s6, s11
	s_and_b32 s10, s10, 15
	s_and_b32 s11, s11, 7
	s_cmp_eq_u32 s10, 0
	s_cselect_b32 s5, s5, s10
	s_cselect_b32 s4, s11, s4
	s_lshl_b32 s5, s5, 23
	s_lshl_b32 s4, s4, 20
	s_add_i32 s5, s5, 0x3b800000
	s_delay_alu instid0(SALU_CYCLE_1) | instskip(NEXT) | instid1(SALU_CYCLE_1)
	s_and_b32 s5, s5, 0x7f800000
	s_or_b32 s4, s5, s4
	s_delay_alu instid0(SALU_CYCLE_1)
	s_cmp_lg_u32 s4, 0
	s_cselect_b32 s4, -1, 0
.LBB143_1155:
	s_delay_alu instid0(SALU_CYCLE_1)
	v_cndmask_b32_e64 v0, 0, 1, s4
	s_mov_b32 s5, -1
	global_store_b8 v[6:7], v0, off
.LBB143_1156:
	s_mov_b32 s4, 0
.LBB143_1157:
	s_delay_alu instid0(SALU_CYCLE_1)
	s_and_b32 vcc_lo, exec_lo, s4
	s_cbranch_vccz .LBB143_1295
; %bb.1158:
	v_cmp_gt_i16_e32 vcc_lo, 5, v9
	s_mov_b32 s4, -1
	s_cbranch_vccnz .LBB143_1243
; %bb.1159:
	v_cmp_gt_i16_e32 vcc_lo, 8, v9
	s_cbranch_vccnz .LBB143_1203
; %bb.1160:
	v_cmp_gt_i16_e32 vcc_lo, 9, v9
	s_cbranch_vccnz .LBB143_1190
; %bb.1161:
	v_cmp_lt_i16_e32 vcc_lo, 9, v9
	s_cbranch_vccz .LBB143_1177
; %bb.1162:
	v_and_b32_e64 v0, 0xff, s6
	s_delay_alu instid0(VALU_DEP_1)
	v_cmp_gt_i16_e32 vcc_lo, 0x80, v0
	s_cbranch_vccnz .LBB143_1167
; %bb.1163:
	v_cmp_eq_u16_e32 vcc_lo, 0x80, v0
	s_cbranch_vccz .LBB143_1170
; %bb.1164:
	s_mov_b32 s10, 0
	s_mov_b32 s5, 0x7ff80000
	s_brev_b32 s4, 4
	s_branch .LBB143_1171
.LBB143_1165:
	s_cbranch_execnz .LBB143_1168
; %bb.1166:
	s_or_b32 s7, s7, exec_lo
	s_cbranch_execz .LBB143_1145
	s_branch .LBB143_1156
.LBB143_1167:
	s_mov_b32 s11, -1
	s_mov_b32 s10, 0
                                        ; implicit-def: $sgpr4_sgpr5
	s_branch .LBB143_1172
.LBB143_1168:
	s_trap 2
	s_sendmsg_rtn_b32 s0, sendmsg(MSG_RTN_GET_DOORBELL)
	s_mov_b32 ttmp2, m0
	s_waitcnt lgkmcnt(0)
	s_and_b32 s0, s0, 0x3ff
	s_delay_alu instid0(SALU_CYCLE_1) | instskip(NEXT) | instid1(SALU_CYCLE_1)
	s_bitset1_b32 s0, 10
	s_mov_b32 m0, s0
	s_sendmsg sendmsg(MSG_INTERRUPT)
	s_mov_b32 m0, ttmp2
.LBB143_1169:                           ; =>This Inner Loop Header: Depth=1
	s_sethalt 5
	s_branch .LBB143_1169
.LBB143_1170:
	s_mov_b32 s10, -1
                                        ; implicit-def: $sgpr4_sgpr5
.LBB143_1171:
	s_mov_b32 s11, 0
.LBB143_1172:
	s_delay_alu instid0(SALU_CYCLE_1)
	s_and_b32 vcc_lo, exec_lo, s11
	s_cbranch_vccz .LBB143_1174
; %bb.1173:
	v_cmp_ne_u16_e64 s10, 0, v0
	s_mov_b64 s[4:5], 0
.LBB143_1174:
	s_delay_alu instid0(SALU_CYCLE_1) | instskip(NEXT) | instid1(VALU_DEP_2)
	v_dual_mov_b32 v0, s4 :: v_dual_mov_b32 v1, s5
	s_and_not1_b32 vcc_lo, exec_lo, s10
	s_cbranch_vccnz .LBB143_1176
; %bb.1175:
	v_lshrrev_b16 v0, 3, s6
	s_and_b32 s4, s6, 7
	s_lshl_b32 s12, s6, 24
	s_clz_i32_u32 s5, s4
	s_delay_alu instid0(SALU_CYCLE_1) | instskip(SKIP_4) | instid1(VALU_DEP_1)
	s_min_u32 s5, s5, 32
	v_readfirstlane_b32 s10, v0
	s_sub_i32 s11, s5, 28
	s_sub_i32 s5, 29, s5
	s_lshl_b32 s11, s6, s11
	s_and_b32 s10, s10, 15
	s_and_b32 s11, s11, 7
	s_cmp_eq_u32 s10, 0
	s_cselect_b32 s5, s5, s10
	s_cselect_b32 s4, s11, s4
	s_lshl_b32 s5, s5, 23
	s_and_b32 s10, s12, 0x80000000
	s_add_i32 s5, s5, 0x3b800000
	s_lshl_b32 s4, s4, 20
	s_or_b32 s5, s10, s5
	s_delay_alu instid0(SALU_CYCLE_1) | instskip(NEXT) | instid1(SALU_CYCLE_1)
	s_or_b32 s4, s5, s4
	v_cvt_f64_f32_e32 v[0:1], s4
.LBB143_1176:
	v_mov_b32_e32 v2, 0
	s_mov_b32 s4, 0
	s_delay_alu instid0(VALU_DEP_1)
	v_mov_b32_e32 v3, v2
	global_store_b128 v[6:7], v[0:3], off
.LBB143_1177:
	s_and_b32 vcc_lo, exec_lo, s4
	s_cbranch_vccz .LBB143_1189
; %bb.1178:
	v_and_b32_e64 v1, 0xff, s6
	s_delay_alu instid0(VALU_DEP_1)
	v_cmp_gt_i16_e32 vcc_lo, 0x80, v1
	s_cbranch_vccnz .LBB143_1181
; %bb.1179:
	v_cmp_eq_u16_e32 vcc_lo, 0x80, v1
	s_cbranch_vccz .LBB143_1182
; %bb.1180:
	s_mov_b32 s4, 0
	s_mov_b32 s5, 0x7f800001
	s_branch .LBB143_1183
.LBB143_1181:
	s_mov_b32 s10, -1
	s_mov_b32 s4, 0
                                        ; implicit-def: $sgpr5
	s_branch .LBB143_1184
.LBB143_1182:
	s_mov_b32 s4, -1
                                        ; implicit-def: $sgpr5
.LBB143_1183:
	s_mov_b32 s10, 0
.LBB143_1184:
	v_mov_b32_e32 v0, s5
	s_and_b32 vcc_lo, exec_lo, s10
	s_cbranch_vccz .LBB143_1186
; %bb.1185:
	v_and_b32_e32 v0, 0xffff, v1
	v_cmp_ne_u16_e64 s4, 0, v1
.LBB143_1186:
	s_delay_alu instid0(VALU_DEP_1)
	s_and_not1_b32 vcc_lo, exec_lo, s4
	s_cbranch_vccnz .LBB143_1188
; %bb.1187:
	v_lshrrev_b16 v0, 3, s6
	s_and_b32 s4, s6, 7
	s_lshl_b32 s12, s6, 24
	s_clz_i32_u32 s5, s4
	s_delay_alu instid0(SALU_CYCLE_1) | instskip(SKIP_4) | instid1(VALU_DEP_1)
	s_min_u32 s5, s5, 32
	v_readfirstlane_b32 s10, v0
	s_sub_i32 s11, s5, 28
	s_sub_i32 s5, 29, s5
	s_lshl_b32 s11, s6, s11
	s_and_b32 s10, s10, 15
	s_and_b32 s11, s11, 7
	s_cmp_eq_u32 s10, 0
	s_cselect_b32 s5, s5, s10
	s_cselect_b32 s4, s11, s4
	s_lshl_b32 s5, s5, 23
	s_and_b32 s10, s12, 0x80000000
	s_add_i32 s5, s5, 0x3b800000
	s_lshl_b32 s4, s4, 20
	s_or_b32 s5, s10, s5
	s_delay_alu instid0(SALU_CYCLE_1) | instskip(NEXT) | instid1(SALU_CYCLE_1)
	s_or_b32 s4, s5, s4
	v_mov_b32_e32 v0, s4
.LBB143_1188:
	v_mov_b32_e32 v1, 0
	global_store_b64 v[6:7], v[0:1], off
.LBB143_1189:
	s_mov_b32 s4, 0
.LBB143_1190:
	s_delay_alu instid0(SALU_CYCLE_1)
	s_and_not1_b32 vcc_lo, exec_lo, s4
	s_cbranch_vccnz .LBB143_1202
; %bb.1191:
	v_and_b32_e64 v0, 0xff, s6
	s_delay_alu instid0(VALU_DEP_1)
	v_cmp_gt_i16_e32 vcc_lo, 0x80, v0
	s_cbranch_vccnz .LBB143_1194
; %bb.1192:
	v_cmp_eq_u16_e32 vcc_lo, 0x80, v0
	s_cbranch_vccz .LBB143_1195
; %bb.1193:
	s_mov_b32 s4, 0
	s_movk_i32 s5, 0x7e00
	s_branch .LBB143_1196
.LBB143_1194:
	s_mov_b32 s10, -1
	s_mov_b32 s4, 0
                                        ; implicit-def: $sgpr5
	s_branch .LBB143_1197
.LBB143_1195:
	s_mov_b32 s4, -1
                                        ; implicit-def: $sgpr5
.LBB143_1196:
	s_mov_b32 s10, 0
.LBB143_1197:
	v_mov_b32_e32 v1, s5
	s_and_b32 vcc_lo, exec_lo, s10
	s_cbranch_vccz .LBB143_1199
; %bb.1198:
	v_and_b32_e32 v1, 0xffff, v0
	v_cmp_ne_u16_e64 s4, 0, v0
.LBB143_1199:
	s_delay_alu instid0(VALU_DEP_1)
	s_and_not1_b32 vcc_lo, exec_lo, s4
	s_cbranch_vccnz .LBB143_1201
; %bb.1200:
	v_lshrrev_b16 v0, 3, s6
	s_and_b32 s4, s6, 7
	s_lshl_b32 s12, s6, 24
	s_clz_i32_u32 s5, s4
	s_delay_alu instid0(SALU_CYCLE_1) | instskip(SKIP_4) | instid1(VALU_DEP_1)
	s_min_u32 s5, s5, 32
	v_readfirstlane_b32 s10, v0
	s_sub_i32 s11, s5, 28
	s_sub_i32 s5, 29, s5
	s_lshl_b32 s11, s6, s11
	s_and_b32 s10, s10, 15
	s_and_b32 s11, s11, 7
	s_cmp_eq_u32 s10, 0
	s_cselect_b32 s5, s5, s10
	s_cselect_b32 s4, s11, s4
	s_lshl_b32 s5, s5, 23
	s_and_b32 s10, s12, 0x80000000
	s_add_i32 s5, s5, 0x3b800000
	s_lshl_b32 s4, s4, 20
	s_or_b32 s5, s10, s5
	s_delay_alu instid0(SALU_CYCLE_1) | instskip(NEXT) | instid1(SALU_CYCLE_1)
	s_or_b32 s4, s5, s4
	v_cvt_f16_f32_e32 v0, s4
	s_delay_alu instid0(VALU_DEP_1)
	v_and_b32_e32 v1, 0xffff, v0
.LBB143_1201:
	global_store_b32 v[6:7], v1, off
.LBB143_1202:
	s_mov_b32 s4, 0
.LBB143_1203:
	s_delay_alu instid0(SALU_CYCLE_1)
	s_and_not1_b32 vcc_lo, exec_lo, s4
	s_cbranch_vccnz .LBB143_1242
; %bb.1204:
	v_cmp_gt_i16_e32 vcc_lo, 6, v9
	s_mov_b32 s4, -1
	s_cbranch_vccnz .LBB143_1230
; %bb.1205:
	v_cmp_lt_i16_e32 vcc_lo, 6, v9
	s_cbranch_vccz .LBB143_1217
; %bb.1206:
	v_and_b32_e64 v0, 0xff, s6
	s_delay_alu instid0(VALU_DEP_1)
	v_cmp_gt_i16_e32 vcc_lo, 0x80, v0
	s_cbranch_vccnz .LBB143_1209
; %bb.1207:
	v_cmp_eq_u16_e32 vcc_lo, 0x80, v0
	s_cbranch_vccz .LBB143_1210
; %bb.1208:
	s_mov_b32 s10, 0
	s_mov_b32 s5, 0x7ff80000
	s_brev_b32 s4, 4
	s_branch .LBB143_1211
.LBB143_1209:
	s_mov_b32 s11, -1
	s_mov_b32 s10, 0
                                        ; implicit-def: $sgpr4_sgpr5
	s_branch .LBB143_1212
.LBB143_1210:
	s_mov_b32 s10, -1
                                        ; implicit-def: $sgpr4_sgpr5
.LBB143_1211:
	s_mov_b32 s11, 0
.LBB143_1212:
	s_delay_alu instid0(SALU_CYCLE_1)
	s_and_b32 vcc_lo, exec_lo, s11
	s_cbranch_vccz .LBB143_1214
; %bb.1213:
	v_cmp_ne_u16_e64 s10, 0, v0
	s_mov_b64 s[4:5], 0
.LBB143_1214:
	s_delay_alu instid0(SALU_CYCLE_1) | instskip(NEXT) | instid1(VALU_DEP_2)
	v_dual_mov_b32 v0, s4 :: v_dual_mov_b32 v1, s5
	s_and_not1_b32 vcc_lo, exec_lo, s10
	s_cbranch_vccnz .LBB143_1216
; %bb.1215:
	v_lshrrev_b16 v0, 3, s6
	s_and_b32 s4, s6, 7
	s_lshl_b32 s12, s6, 24
	s_clz_i32_u32 s5, s4
	s_delay_alu instid0(SALU_CYCLE_1) | instskip(SKIP_4) | instid1(VALU_DEP_1)
	s_min_u32 s5, s5, 32
	v_readfirstlane_b32 s10, v0
	s_sub_i32 s11, s5, 28
	s_sub_i32 s5, 29, s5
	s_lshl_b32 s11, s6, s11
	s_and_b32 s10, s10, 15
	s_and_b32 s11, s11, 7
	s_cmp_eq_u32 s10, 0
	s_cselect_b32 s5, s5, s10
	s_cselect_b32 s4, s11, s4
	s_lshl_b32 s5, s5, 23
	s_and_b32 s10, s12, 0x80000000
	s_add_i32 s5, s5, 0x3b800000
	s_lshl_b32 s4, s4, 20
	s_or_b32 s5, s10, s5
	s_delay_alu instid0(SALU_CYCLE_1) | instskip(NEXT) | instid1(SALU_CYCLE_1)
	s_or_b32 s4, s5, s4
	v_cvt_f64_f32_e32 v[0:1], s4
.LBB143_1216:
	s_mov_b32 s4, 0
	global_store_b64 v[6:7], v[0:1], off
.LBB143_1217:
	s_and_b32 vcc_lo, exec_lo, s4
	s_cbranch_vccz .LBB143_1229
; %bb.1218:
	v_and_b32_e64 v0, 0xff, s6
	s_delay_alu instid0(VALU_DEP_1)
	v_cmp_gt_i16_e32 vcc_lo, 0x80, v0
	s_cbranch_vccnz .LBB143_1221
; %bb.1219:
	v_cmp_eq_u16_e32 vcc_lo, 0x80, v0
	s_cbranch_vccz .LBB143_1222
; %bb.1220:
	s_mov_b32 s4, 0
	s_mov_b32 s5, 0x7f800001
	s_branch .LBB143_1223
.LBB143_1221:
	s_mov_b32 s10, -1
	s_mov_b32 s4, 0
                                        ; implicit-def: $sgpr5
	s_branch .LBB143_1224
.LBB143_1222:
	s_mov_b32 s4, -1
                                        ; implicit-def: $sgpr5
.LBB143_1223:
	s_mov_b32 s10, 0
.LBB143_1224:
	v_mov_b32_e32 v1, s5
	s_and_b32 vcc_lo, exec_lo, s10
	s_cbranch_vccz .LBB143_1226
; %bb.1225:
	v_and_b32_e32 v1, 0xffff, v0
	v_cmp_ne_u16_e64 s4, 0, v0
.LBB143_1226:
	s_delay_alu instid0(VALU_DEP_1)
	s_and_not1_b32 vcc_lo, exec_lo, s4
	s_cbranch_vccnz .LBB143_1228
; %bb.1227:
	v_lshrrev_b16 v0, 3, s6
	s_and_b32 s4, s6, 7
	s_lshl_b32 s12, s6, 24
	s_clz_i32_u32 s5, s4
	s_delay_alu instid0(SALU_CYCLE_1) | instskip(SKIP_4) | instid1(VALU_DEP_1)
	s_min_u32 s5, s5, 32
	v_readfirstlane_b32 s10, v0
	s_sub_i32 s11, s5, 28
	s_sub_i32 s5, 29, s5
	s_lshl_b32 s11, s6, s11
	s_and_b32 s10, s10, 15
	s_and_b32 s11, s11, 7
	s_cmp_eq_u32 s10, 0
	s_cselect_b32 s5, s5, s10
	s_cselect_b32 s4, s11, s4
	s_lshl_b32 s5, s5, 23
	s_and_b32 s10, s12, 0x80000000
	s_add_i32 s5, s5, 0x3b800000
	s_lshl_b32 s4, s4, 20
	s_or_b32 s5, s10, s5
	s_delay_alu instid0(SALU_CYCLE_1) | instskip(NEXT) | instid1(SALU_CYCLE_1)
	s_or_b32 s4, s5, s4
	v_mov_b32_e32 v1, s4
.LBB143_1228:
	global_store_b32 v[6:7], v1, off
.LBB143_1229:
	s_mov_b32 s4, 0
.LBB143_1230:
	s_delay_alu instid0(SALU_CYCLE_1)
	s_and_not1_b32 vcc_lo, exec_lo, s4
	s_cbranch_vccnz .LBB143_1242
; %bb.1231:
	v_and_b32_e64 v0, 0xff, s6
	s_delay_alu instid0(VALU_DEP_1)
	v_cmp_gt_i16_e32 vcc_lo, 0x80, v0
	s_cbranch_vccnz .LBB143_1234
; %bb.1232:
	v_cmp_eq_u16_e32 vcc_lo, 0x80, v0
	s_cbranch_vccz .LBB143_1235
; %bb.1233:
	s_mov_b32 s4, 0
	s_movk_i32 s5, 0x7e00
	s_branch .LBB143_1236
.LBB143_1234:
	s_mov_b32 s10, -1
	s_mov_b32 s4, 0
                                        ; implicit-def: $sgpr5
	s_branch .LBB143_1237
.LBB143_1235:
	s_mov_b32 s4, -1
                                        ; implicit-def: $sgpr5
.LBB143_1236:
	s_mov_b32 s10, 0
.LBB143_1237:
	v_mov_b32_e32 v1, s5
	s_and_b32 vcc_lo, exec_lo, s10
	s_cbranch_vccz .LBB143_1239
; %bb.1238:
	v_cmp_ne_u16_e64 s4, 0, v0
	v_mov_b32_e32 v1, v0
.LBB143_1239:
	s_delay_alu instid0(VALU_DEP_2)
	s_and_not1_b32 vcc_lo, exec_lo, s4
	s_cbranch_vccnz .LBB143_1241
; %bb.1240:
	v_lshrrev_b16 v0, 3, s6
	s_and_b32 s4, s6, 7
	s_lshl_b32 s12, s6, 24
	s_clz_i32_u32 s5, s4
	s_delay_alu instid0(SALU_CYCLE_1) | instskip(SKIP_4) | instid1(VALU_DEP_1)
	s_min_u32 s5, s5, 32
	v_readfirstlane_b32 s10, v0
	s_sub_i32 s11, s5, 28
	s_sub_i32 s5, 29, s5
	s_lshl_b32 s11, s6, s11
	s_and_b32 s10, s10, 15
	s_and_b32 s11, s11, 7
	s_cmp_eq_u32 s10, 0
	s_cselect_b32 s5, s5, s10
	s_cselect_b32 s4, s11, s4
	s_lshl_b32 s5, s5, 23
	s_and_b32 s10, s12, 0x80000000
	s_add_i32 s5, s5, 0x3b800000
	s_lshl_b32 s4, s4, 20
	s_or_b32 s5, s10, s5
	s_delay_alu instid0(SALU_CYCLE_1) | instskip(NEXT) | instid1(SALU_CYCLE_1)
	s_or_b32 s4, s5, s4
	v_cvt_f16_f32_e32 v1, s4
.LBB143_1241:
	global_store_b16 v[6:7], v1, off
.LBB143_1242:
	s_mov_b32 s4, 0
.LBB143_1243:
	s_delay_alu instid0(SALU_CYCLE_1)
	s_and_not1_b32 vcc_lo, exec_lo, s4
	s_cbranch_vccnz .LBB143_1294
; %bb.1244:
	v_cmp_gt_i16_e32 vcc_lo, 2, v9
	s_mov_b32 s4, -1
	s_cbranch_vccnz .LBB143_1275
; %bb.1245:
	v_cmp_gt_i16_e32 vcc_lo, 3, v9
	s_cbranch_vccnz .LBB143_1265
; %bb.1246:
	v_cmp_lt_i16_e32 vcc_lo, 3, v9
	s_cbranch_vccz .LBB143_1255
; %bb.1247:
	v_and_b32_e64 v0, 0xff, s6
	s_delay_alu instid0(VALU_DEP_1)
	v_cmp_gt_i16_e32 vcc_lo, 0x80, v0
	s_cbranch_vccnz .LBB143_1249
; %bb.1248:
	v_cmp_ne_u16_e64 s10, 0x80, v0
	s_mov_b32 s11, 0
	s_mov_b64 s[4:5], 0
	s_branch .LBB143_1250
.LBB143_1249:
	s_mov_b32 s11, -1
	s_mov_b32 s10, 0
                                        ; implicit-def: $sgpr4_sgpr5
.LBB143_1250:
	s_and_not1_b32 vcc_lo, exec_lo, s11
	s_cbranch_vccnz .LBB143_1252
; %bb.1251:
	v_cmp_ne_u16_e64 s10, 0, v0
	s_mov_b64 s[4:5], 0
.LBB143_1252:
	s_delay_alu instid0(SALU_CYCLE_1) | instskip(NEXT) | instid1(VALU_DEP_2)
	v_dual_mov_b32 v0, s4 :: v_dual_mov_b32 v1, s5
	s_and_not1_b32 vcc_lo, exec_lo, s10
	s_cbranch_vccnz .LBB143_1254
; %bb.1253:
	v_lshrrev_b16 v0, 3, s6
	s_and_b32 s4, s6, 7
	s_lshl_b32 s11, s6, 24
	s_clz_i32_u32 s5, s4
	s_delay_alu instid0(SALU_CYCLE_1) | instskip(SKIP_4) | instid1(VALU_DEP_1)
	s_min_u32 s5, s5, 32
	v_readfirstlane_b32 s10, v0
	s_sub_i32 s12, s5, 28
	s_sub_i32 s5, 29, s5
	s_lshl_b32 s12, s6, s12
	s_and_b32 s10, s10, 15
	s_and_b32 s12, s12, 7
	s_cmp_eq_u32 s10, 0
	s_cselect_b32 s5, s5, s10
	s_cselect_b32 s4, s12, s4
	s_lshl_b32 s5, s5, 23
	s_and_b32 s10, s11, 0x80000000
	s_add_i32 s5, s5, 0x3b800000
	s_lshl_b32 s4, s4, 20
	s_or_b32 s5, s10, s5
	s_delay_alu instid0(SALU_CYCLE_1) | instskip(NEXT) | instid1(SALU_CYCLE_1)
	s_or_b32 s4, s5, s4
	v_trunc_f32_e32 v0, s4
	s_delay_alu instid0(VALU_DEP_1) | instskip(SKIP_1) | instid1(VALU_DEP_2)
	v_mul_f32_e64 v1, 0x2f800000, |v0|
	v_ashrrev_i32_e32 v3, 31, v0
	v_floor_f32_e32 v1, v1
	s_delay_alu instid0(VALU_DEP_1) | instskip(SKIP_1) | instid1(VALU_DEP_2)
	v_fma_f32 v2, 0xcf800000, v1, |v0|
	v_cvt_u32_f32_e32 v1, v1
	v_cvt_u32_f32_e32 v0, v2
	s_delay_alu instid0(VALU_DEP_2) | instskip(NEXT) | instid1(VALU_DEP_2)
	v_xor_b32_e32 v1, v1, v3
	v_xor_b32_e32 v0, v0, v3
	s_delay_alu instid0(VALU_DEP_1) | instskip(NEXT) | instid1(VALU_DEP_3)
	v_sub_co_u32 v0, vcc_lo, v0, v3
	v_sub_co_ci_u32_e32 v1, vcc_lo, v1, v3, vcc_lo
.LBB143_1254:
	s_mov_b32 s4, 0
	global_store_b64 v[6:7], v[0:1], off
.LBB143_1255:
	s_and_b32 vcc_lo, exec_lo, s4
	s_cbranch_vccz .LBB143_1264
; %bb.1256:
	v_and_b32_e64 v0, 0xff, s6
	s_delay_alu instid0(VALU_DEP_1)
	v_cmp_gt_i16_e32 vcc_lo, 0x80, v0
	s_cbranch_vccnz .LBB143_1258
; %bb.1257:
	v_cmp_ne_u16_e64 s4, 0x80, v0
	s_mov_b32 s10, 0
	s_mov_b32 s5, 0
	s_branch .LBB143_1259
.LBB143_1258:
	s_mov_b32 s10, -1
	s_mov_b32 s4, 0
                                        ; implicit-def: $sgpr5
.LBB143_1259:
	s_and_not1_b32 vcc_lo, exec_lo, s10
	s_cbranch_vccnz .LBB143_1261
; %bb.1260:
	v_cmp_ne_u16_e64 s4, 0, v0
	s_mov_b32 s5, 0
.LBB143_1261:
	s_delay_alu instid0(SALU_CYCLE_1) | instskip(NEXT) | instid1(VALU_DEP_2)
	v_mov_b32_e32 v0, s5
	s_and_not1_b32 vcc_lo, exec_lo, s4
	s_cbranch_vccnz .LBB143_1263
; %bb.1262:
	v_lshrrev_b16 v0, 3, s6
	s_and_b32 s4, s6, 7
	s_lshl_b32 s12, s6, 24
	s_clz_i32_u32 s5, s4
	s_delay_alu instid0(SALU_CYCLE_1) | instskip(SKIP_4) | instid1(VALU_DEP_1)
	s_min_u32 s5, s5, 32
	v_readfirstlane_b32 s10, v0
	s_sub_i32 s11, s5, 28
	s_sub_i32 s5, 29, s5
	s_lshl_b32 s11, s6, s11
	s_and_b32 s10, s10, 15
	s_and_b32 s11, s11, 7
	s_cmp_eq_u32 s10, 0
	s_cselect_b32 s5, s5, s10
	s_cselect_b32 s4, s11, s4
	s_lshl_b32 s5, s5, 23
	s_and_b32 s10, s12, 0x80000000
	s_add_i32 s5, s5, 0x3b800000
	s_lshl_b32 s4, s4, 20
	s_or_b32 s5, s10, s5
	s_delay_alu instid0(SALU_CYCLE_1) | instskip(NEXT) | instid1(SALU_CYCLE_1)
	s_or_b32 s4, s5, s4
	v_cvt_i32_f32_e32 v0, s4
.LBB143_1263:
	global_store_b32 v[6:7], v0, off
.LBB143_1264:
	s_mov_b32 s4, 0
.LBB143_1265:
	s_delay_alu instid0(SALU_CYCLE_1)
	s_and_not1_b32 vcc_lo, exec_lo, s4
	s_cbranch_vccnz .LBB143_1274
; %bb.1266:
	v_and_b32_e64 v0, 0xff, s6
	s_delay_alu instid0(VALU_DEP_1)
	v_cmp_gt_i16_e32 vcc_lo, 0x80, v0
	s_cbranch_vccnz .LBB143_1268
; %bb.1267:
	v_cmp_ne_u16_e64 s4, 0x80, v0
	s_mov_b32 s10, 0
	s_mov_b32 s5, 0
	s_branch .LBB143_1269
.LBB143_1268:
	s_mov_b32 s10, -1
	s_mov_b32 s4, 0
                                        ; implicit-def: $sgpr5
.LBB143_1269:
	s_and_not1_b32 vcc_lo, exec_lo, s10
	s_cbranch_vccnz .LBB143_1271
; %bb.1270:
	v_cmp_ne_u16_e64 s4, 0, v0
	s_mov_b32 s5, 0
.LBB143_1271:
	s_delay_alu instid0(SALU_CYCLE_1) | instskip(NEXT) | instid1(VALU_DEP_2)
	v_mov_b32_e32 v0, s5
	s_and_not1_b32 vcc_lo, exec_lo, s4
	s_cbranch_vccnz .LBB143_1273
; %bb.1272:
	v_lshrrev_b16 v0, 3, s6
	s_and_b32 s4, s6, 7
	s_lshl_b32 s12, s6, 24
	s_clz_i32_u32 s5, s4
	s_delay_alu instid0(SALU_CYCLE_1) | instskip(SKIP_4) | instid1(VALU_DEP_1)
	s_min_u32 s5, s5, 32
	v_readfirstlane_b32 s10, v0
	s_sub_i32 s11, s5, 28
	s_sub_i32 s5, 29, s5
	s_lshl_b32 s11, s6, s11
	s_and_b32 s10, s10, 15
	s_and_b32 s11, s11, 7
	s_cmp_eq_u32 s10, 0
	s_cselect_b32 s5, s5, s10
	s_cselect_b32 s4, s11, s4
	s_lshl_b32 s5, s5, 23
	s_and_b32 s10, s12, 0x80000000
	s_add_i32 s5, s5, 0x3b800000
	s_lshl_b32 s4, s4, 20
	s_or_b32 s5, s10, s5
	s_delay_alu instid0(SALU_CYCLE_1) | instskip(NEXT) | instid1(SALU_CYCLE_1)
	s_or_b32 s4, s5, s4
	v_cvt_i32_f32_e32 v0, s4
.LBB143_1273:
	global_store_b16 v[6:7], v0, off
.LBB143_1274:
	s_mov_b32 s4, 0
.LBB143_1275:
	s_delay_alu instid0(SALU_CYCLE_1)
	s_and_not1_b32 vcc_lo, exec_lo, s4
	s_cbranch_vccnz .LBB143_1294
; %bb.1276:
	v_cmp_lt_i16_e32 vcc_lo, 0, v9
	s_mov_b32 s4, 0
	s_mov_b32 s5, -1
	s_cbranch_vccz .LBB143_1285
; %bb.1277:
	v_and_b32_e64 v0, 0xff, s6
	s_delay_alu instid0(VALU_DEP_1)
	v_cmp_gt_i16_e32 vcc_lo, 0x80, v0
	s_cbranch_vccnz .LBB143_1279
; %bb.1278:
	v_cmp_ne_u16_e64 s4, 0x80, v0
	s_mov_b32 s10, 0
	s_mov_b32 s5, 0
	s_branch .LBB143_1280
.LBB143_1279:
	s_mov_b32 s10, -1
                                        ; implicit-def: $sgpr5
.LBB143_1280:
	s_delay_alu instid0(SALU_CYCLE_1)
	s_and_not1_b32 vcc_lo, exec_lo, s10
	s_cbranch_vccnz .LBB143_1282
; %bb.1281:
	v_cmp_ne_u16_e64 s4, 0, v0
	s_mov_b32 s5, 0
.LBB143_1282:
	s_delay_alu instid0(SALU_CYCLE_1) | instskip(NEXT) | instid1(VALU_DEP_2)
	v_mov_b32_e32 v0, s5
	s_and_not1_b32 vcc_lo, exec_lo, s4
	s_cbranch_vccnz .LBB143_1284
; %bb.1283:
	v_lshrrev_b16 v0, 3, s6
	s_and_b32 s4, s6, 7
	s_lshl_b32 s12, s6, 24
	s_clz_i32_u32 s5, s4
	s_delay_alu instid0(SALU_CYCLE_1) | instskip(SKIP_4) | instid1(VALU_DEP_1)
	s_min_u32 s5, s5, 32
	v_readfirstlane_b32 s10, v0
	s_sub_i32 s11, s5, 28
	s_sub_i32 s5, 29, s5
	s_lshl_b32 s11, s6, s11
	s_and_b32 s10, s10, 15
	s_and_b32 s11, s11, 7
	s_cmp_eq_u32 s10, 0
	s_cselect_b32 s5, s5, s10
	s_cselect_b32 s4, s11, s4
	s_lshl_b32 s5, s5, 23
	s_and_b32 s10, s12, 0x80000000
	s_add_i32 s5, s5, 0x3b800000
	s_lshl_b32 s4, s4, 20
	s_or_b32 s5, s10, s5
	s_delay_alu instid0(SALU_CYCLE_1) | instskip(NEXT) | instid1(SALU_CYCLE_1)
	s_or_b32 s4, s5, s4
	v_cvt_i32_f32_e32 v0, s4
.LBB143_1284:
	s_mov_b32 s5, 0
	global_store_b8 v[6:7], v0, off
.LBB143_1285:
	s_and_b32 vcc_lo, exec_lo, s5
	s_cbranch_vccz .LBB143_1294
; %bb.1286:
	v_and_b32_e64 v0, 0xff, s6
	s_delay_alu instid0(VALU_DEP_1)
	v_cmp_gt_i16_e32 vcc_lo, 0x80, v0
	s_cbranch_vccnz .LBB143_1288
; %bb.1287:
	v_cmp_ne_u16_e64 s4, 0x80, v0
	s_mov_b32 s10, 0
	s_mov_b32 s5, 0
	s_branch .LBB143_1289
.LBB143_1288:
	s_mov_b32 s10, -1
	s_mov_b32 s4, 0
                                        ; implicit-def: $sgpr5
.LBB143_1289:
	s_and_not1_b32 vcc_lo, exec_lo, s10
	s_cbranch_vccnz .LBB143_1291
; %bb.1290:
	v_cmp_ne_u16_e64 s4, 0, v0
	s_mov_b32 s5, 0
.LBB143_1291:
	s_delay_alu instid0(SALU_CYCLE_1) | instskip(NEXT) | instid1(VALU_DEP_2)
	v_mov_b32_e32 v0, s5
	s_and_not1_b32 vcc_lo, exec_lo, s4
	s_cbranch_vccnz .LBB143_1293
; %bb.1292:
	v_lshrrev_b16 v0, 3, s6
	s_and_b32 s4, s6, 7
	s_lshl_b32 s11, s6, 24
	s_clz_i32_u32 s5, s4
	s_delay_alu instid0(SALU_CYCLE_1) | instskip(SKIP_4) | instid1(VALU_DEP_1)
	s_min_u32 s5, s5, 32
	v_readfirstlane_b32 s10, v0
	s_sub_i32 s12, s5, 28
	s_sub_i32 s5, 29, s5
	s_lshl_b32 s12, s6, s12
	s_and_b32 s10, s10, 15
	s_and_b32 s12, s12, 7
	s_cmp_eq_u32 s10, 0
	s_cselect_b32 s5, s5, s10
	s_cselect_b32 s4, s12, s4
	s_lshl_b32 s5, s5, 23
	s_and_b32 s10, s11, 0x80000000
	s_add_i32 s5, s5, 0x3b800000
	s_lshl_b32 s4, s4, 20
	s_or_b32 s5, s10, s5
	s_delay_alu instid0(SALU_CYCLE_1) | instskip(NEXT) | instid1(SALU_CYCLE_1)
	s_or_b32 s4, s5, s4
	v_trunc_f32_e32 v0, s4
	s_delay_alu instid0(VALU_DEP_1) | instskip(NEXT) | instid1(VALU_DEP_1)
	v_mul_f32_e64 v1, 0x2f800000, |v0|
	v_floor_f32_e32 v1, v1
	s_delay_alu instid0(VALU_DEP_1) | instskip(SKIP_1) | instid1(VALU_DEP_2)
	v_fma_f32 v1, 0xcf800000, v1, |v0|
	v_ashrrev_i32_e32 v0, 31, v0
	v_cvt_u32_f32_e32 v1, v1
	s_delay_alu instid0(VALU_DEP_1) | instskip(NEXT) | instid1(VALU_DEP_1)
	v_xor_b32_e32 v1, v1, v0
	v_sub_nc_u32_e32 v0, v1, v0
.LBB143_1293:
	global_store_b8 v[6:7], v0, off
.LBB143_1294:
	s_mov_b32 s5, -1
.LBB143_1295:
	s_delay_alu instid0(SALU_CYCLE_1)
	s_and_not1_b32 vcc_lo, exec_lo, s5
	s_cbranch_vccnz .LBB143_1938
; %bb.1296:
	v_cmp_gt_i16_e32 vcc_lo, 11, v9
	v_add_co_u32 v5, s4, s2, v5
	s_delay_alu instid0(VALU_DEP_1)
	v_add_co_ci_u32_e64 v6, null, s3, 0, s4
	s_mov_b32 s5, 0
	s_mov_b32 s4, -1
	s_cbranch_vccnz .LBB143_1790
; %bb.1297:
	v_cmp_lt_i16_e32 vcc_lo, 25, v9
	s_mov_b32 s11, -1
	s_mov_b32 s10, 0
	s_mov_b32 s4, 0
	s_cbranch_vccz .LBB143_1690
; %bb.1298:
	v_cmp_lt_i16_e32 vcc_lo, 28, v9
	s_cbranch_vccz .LBB143_1665
; %bb.1299:
	v_cmp_lt_i16_e32 vcc_lo, 43, v9
	;; [unrolled: 3-line block ×3, first 2 shown]
	s_cbranch_vccz .LBB143_1638
; %bb.1301:
	v_cmp_eq_u16_e32 vcc_lo, 46, v9
	s_mov_b32 s4, -1
	s_mov_b32 s11, 0
	s_cbranch_vccz .LBB143_1638
; %bb.1302:
	v_and_b32_e64 v0, 0xff, s6
	s_delay_alu instid0(VALU_DEP_1)
	v_cmp_gt_i16_e32 vcc_lo, 0x80, v0
	s_cbranch_vccnz .LBB143_1305
; %bb.1303:
	v_cmp_eq_u16_e32 vcc_lo, 0x80, v0
	s_cbranch_vccz .LBB143_1631
; %bb.1304:
	s_mov_b32 s4, 0x7f800001
	s_branch .LBB143_1632
.LBB143_1305:
	s_mov_b32 s12, -1
                                        ; implicit-def: $sgpr4
	s_branch .LBB143_1633
.LBB143_1306:
                                        ; implicit-def: $sgpr16
.LBB143_1307:
	s_mov_b32 s19, 0
.LBB143_1308:
	s_delay_alu instid0(SALU_CYCLE_1)
	s_and_b32 vcc_lo, exec_lo, s19
	s_cbranch_vccz .LBB143_1310
; %bb.1309:
	v_cmp_ne_u16_e64 s18, 0, v0
	s_mov_b32 s16, 0
.LBB143_1310:
	s_delay_alu instid0(VALU_DEP_1)
	s_and_not1_b32 vcc_lo, exec_lo, s18
	s_cbranch_vccnz .LBB143_1312
; %bb.1311:
	s_mov_b32 s16, s26
.LBB143_1312:
	s_delay_alu instid0(SALU_CYCLE_1) | instskip(NEXT) | instid1(SALU_CYCLE_1)
	s_bfe_u32 s18, s16, 0x10010
	s_add_i32 s18, s16, s18
	v_cmp_o_f32_e64 s16, s16, s16
	s_addk_i32 s18, 0x7fff
	s_delay_alu instid0(SALU_CYCLE_1) | instskip(NEXT) | instid1(VALU_DEP_1)
	s_lshr_b32 s18, s18, 16
	s_and_b32 s16, s16, exec_lo
	s_cselect_b32 s16, s18, 0x7fc0
	s_mov_b32 s18, 0
	v_mov_b32_e32 v0, s16
	s_mov_b32 s16, -1
	global_store_b32 v[10:11], v0, off
.LBB143_1313:
	s_and_b32 vcc_lo, exec_lo, s17
	s_cbranch_vccz .LBB143_1326
; %bb.1314:
	v_cmp_eq_u16_e32 vcc_lo, 44, v13
	s_mov_b32 s18, -1
	s_cbranch_vccz .LBB143_1326
; %bb.1315:
	v_and_b32_e64 v0, 0xff, s25
	s_delay_alu instid0(VALU_DEP_1)
	v_cmp_gt_i16_e32 vcc_lo, 0x80, v0
	v_readfirstlane_b32 s17, v0
	s_cbranch_vccnz .LBB143_1318
; %bb.1316:
	s_delay_alu instid0(VALU_DEP_1) | instskip(NEXT) | instid1(VALU_DEP_1)
	v_cmp_eq_u16_e64 s16, 0x80, s17
	s_and_b32 vcc_lo, exec_lo, s16
	s_cbranch_vccz .LBB143_1319
; %bb.1317:
	s_mov_b32 s18, 0
	s_mov_b32 s16, 0x7f800001
	s_branch .LBB143_1320
.LBB143_1318:
	s_mov_b32 s19, -1
	s_mov_b32 s18, 0
                                        ; implicit-def: $sgpr16
	s_branch .LBB143_1321
.LBB143_1319:
                                        ; implicit-def: $sgpr16
.LBB143_1320:
	s_mov_b32 s19, 0
.LBB143_1321:
	s_delay_alu instid0(SALU_CYCLE_1)
	s_and_b32 vcc_lo, exec_lo, s19
	s_cbranch_vccz .LBB143_1331
; %bb.1322:
	v_cmp_ne_u16_e64 s18, s17, 0
	s_and_b32 s16, 0xffff, s17
	s_delay_alu instid0(VALU_DEP_1)
	s_and_not1_b32 vcc_lo, exec_lo, s18
	s_cbranch_vccz .LBB143_1332
.LBB143_1323:
	v_mov_b32_e32 v0, 0xff
	s_bfe_u32 s17, s16, 0x80017
	s_delay_alu instid0(SALU_CYCLE_1)
	s_cmpk_eq_i32 s17, 0xff
	s_cbranch_scc1 .LBB143_1325
.LBB143_1324:
	s_lshr_b32 s18, s16, 23
	s_bitcmp1_b32 s16, 22
	s_cselect_b32 s19, -1, 0
	s_and_b32 s16, s16, 0x3fffff
	s_delay_alu instid0(SALU_CYCLE_1) | instskip(NEXT) | instid1(SALU_CYCLE_1)
	s_or_b32 s16, s17, s16
	s_cmp_lg_u32 s16, 0
	s_cselect_b32 s16, -1, 0
	s_delay_alu instid0(SALU_CYCLE_1) | instskip(NEXT) | instid1(SALU_CYCLE_1)
	s_and_b32 s16, s19, s16
	v_cndmask_b32_e64 v0, 0, 1, s16
	s_delay_alu instid0(VALU_DEP_1)
	v_add_nc_u32_e32 v0, s18, v0
.LBB143_1325:
	s_mov_b32 s16, -1
	s_mov_b32 s18, 0
	global_store_b8 v[10:11], v0, off
.LBB143_1326:
	s_mov_b32 s17, 0
.LBB143_1327:
	s_delay_alu instid0(SALU_CYCLE_1)
	s_and_b32 vcc_lo, exec_lo, s17
	s_cbranch_vccz .LBB143_1339
; %bb.1328:
	v_cmp_eq_u16_e32 vcc_lo, 29, v13
	s_mov_b32 s18, -1
	s_cbranch_vccz .LBB143_1339
; %bb.1329:
	v_and_b32_e64 v0, 0xff, s25
	s_delay_alu instid0(VALU_DEP_1)
	v_cmp_gt_i16_e32 vcc_lo, 0x80, v0
	s_cbranch_vccnz .LBB143_1333
; %bb.1330:
	v_cmp_ne_u16_e64 s18, 0x80, v0
	s_mov_b32 s19, 0
	s_mov_b64 s[16:17], 0
	s_branch .LBB143_1334
.LBB143_1331:
	s_and_not1_b32 vcc_lo, exec_lo, s18
	s_cbranch_vccnz .LBB143_1323
.LBB143_1332:
	s_mov_b32 s16, s28
	v_mov_b32_e32 v0, 0xff
	s_bfe_u32 s17, s16, 0x80017
	s_delay_alu instid0(SALU_CYCLE_1)
	s_cmpk_eq_i32 s17, 0xff
	s_cbranch_scc0 .LBB143_1324
	s_branch .LBB143_1325
.LBB143_1333:
	s_mov_b32 s19, -1
	s_mov_b32 s18, 0
                                        ; implicit-def: $sgpr16_sgpr17
.LBB143_1334:
	s_and_not1_b32 vcc_lo, exec_lo, s19
	s_cbranch_vccnz .LBB143_1336
; %bb.1335:
	v_cmp_ne_u16_e64 s18, 0, v0
	s_mov_b64 s[16:17], 0
.LBB143_1336:
	s_delay_alu instid0(SALU_CYCLE_1) | instskip(NEXT) | instid1(VALU_DEP_2)
	v_dual_mov_b32 v0, s16 :: v_dual_mov_b32 v1, s17
	s_and_not1_b32 vcc_lo, exec_lo, s18
	s_cbranch_vccnz .LBB143_1338
; %bb.1337:
	v_dual_mov_b32 v0, v8 :: v_dual_mov_b32 v1, v9
.LBB143_1338:
	s_mov_b32 s16, -1
	s_mov_b32 s18, 0
	global_store_b64 v[10:11], v[0:1], off
.LBB143_1339:
	s_mov_b32 s17, 0
.LBB143_1340:
	s_delay_alu instid0(SALU_CYCLE_1)
	s_and_b32 vcc_lo, exec_lo, s17
	s_cbranch_vccz .LBB143_1364
; %bb.1341:
	v_cmp_gt_i16_e32 vcc_lo, 27, v13
	s_mov_b32 s16, -1
	s_cbranch_vccnz .LBB143_1361
; %bb.1342:
	v_cmp_lt_i16_e32 vcc_lo, 27, v13
	s_cbranch_vccz .LBB143_1351
; %bb.1343:
	v_and_b32_e64 v0, 0xff, s25
	s_delay_alu instid0(VALU_DEP_1)
	v_cmp_gt_i16_e32 vcc_lo, 0x80, v0
	s_cbranch_vccnz .LBB143_1345
; %bb.1344:
	v_cmp_ne_u16_e64 s16, 0x80, v0
	s_mov_b32 s19, 0
	s_mov_b32 s17, 0
	s_branch .LBB143_1346
.LBB143_1345:
	s_mov_b32 s19, -1
	s_mov_b32 s16, 0
                                        ; implicit-def: $sgpr17
.LBB143_1346:
	s_and_not1_b32 vcc_lo, exec_lo, s19
	s_cbranch_vccnz .LBB143_1348
; %bb.1347:
	v_cmp_ne_u16_e64 s16, 0, v0
	s_mov_b32 s17, 0
.LBB143_1348:
	s_delay_alu instid0(SALU_CYCLE_1) | instskip(NEXT) | instid1(VALU_DEP_2)
	v_mov_b32_e32 v0, s17
	s_and_not1_b32 vcc_lo, exec_lo, s16
	s_cbranch_vccnz .LBB143_1350
; %bb.1349:
	v_mov_b32_e32 v0, v17
.LBB143_1350:
	s_mov_b32 s16, 0
	global_store_b32 v[10:11], v0, off
.LBB143_1351:
	s_and_b32 vcc_lo, exec_lo, s16
	s_cbranch_vccz .LBB143_1360
; %bb.1352:
	v_and_b32_e64 v0, 0xff, s25
	s_delay_alu instid0(VALU_DEP_1)
	v_cmp_gt_i16_e32 vcc_lo, 0x80, v0
	s_cbranch_vccnz .LBB143_1354
; %bb.1353:
	v_cmp_ne_u16_e64 s16, 0x80, v0
	s_mov_b32 s19, 0
	s_mov_b32 s17, 0
	s_branch .LBB143_1355
.LBB143_1354:
	s_mov_b32 s19, -1
	s_mov_b32 s16, 0
                                        ; implicit-def: $sgpr17
.LBB143_1355:
	s_and_not1_b32 vcc_lo, exec_lo, s19
	s_cbranch_vccnz .LBB143_1357
; %bb.1356:
	v_cmp_ne_u16_e64 s16, 0, v0
	s_mov_b32 s17, 0
.LBB143_1357:
	s_delay_alu instid0(SALU_CYCLE_1) | instskip(NEXT) | instid1(VALU_DEP_2)
	v_mov_b32_e32 v0, s17
	s_and_not1_b32 vcc_lo, exec_lo, s16
	s_cbranch_vccnz .LBB143_1359
; %bb.1358:
	v_mov_b32_e32 v0, v17
.LBB143_1359:
	global_store_b16 v[10:11], v0, off
.LBB143_1360:
	s_mov_b32 s16, 0
.LBB143_1361:
	s_delay_alu instid0(SALU_CYCLE_1)
	s_and_not1_b32 vcc_lo, exec_lo, s16
	s_cbranch_vccnz .LBB143_1363
; %bb.1362:
	v_mov_b32_e32 v0, s25
	global_store_b8 v[10:11], v0, off
.LBB143_1363:
	s_mov_b32 s16, -1
.LBB143_1364:
	s_mov_b32 s17, 0
.LBB143_1365:
	s_delay_alu instid0(SALU_CYCLE_1)
	s_and_b32 vcc_lo, exec_lo, s17
	s_cbranch_vccz .LBB143_1462
; %bb.1366:
	v_cmp_lt_i16_e32 vcc_lo, 22, v13
	s_mov_b32 s17, -1
	s_cbranch_vccz .LBB143_1434
; %bb.1367:
	v_cmp_gt_i16_e32 vcc_lo, 24, v13
	s_mov_b32 s16, -1
	s_cbranch_vccnz .LBB143_1411
; %bb.1368:
	v_cmp_lt_i16_e32 vcc_lo, 24, v13
	s_cbranch_vccz .LBB143_1388
; %bb.1369:
	v_and_b32_e64 v0, 0xff, s25
	s_delay_alu instid0(VALU_DEP_1)
	v_cmp_gt_i16_e32 vcc_lo, 0x80, v0
	s_cbranch_vccnz .LBB143_1372
; %bb.1370:
	v_cmp_eq_u16_e32 vcc_lo, 0x80, v0
	s_cbranch_vccz .LBB143_1373
; %bb.1371:
	s_mov_b32 s17, 0
	s_mov_b32 s16, 0x7f800001
	s_branch .LBB143_1374
.LBB143_1372:
	s_mov_b32 s19, -1
	s_mov_b32 s17, 0
                                        ; implicit-def: $sgpr16
	s_branch .LBB143_1375
.LBB143_1373:
                                        ; implicit-def: $sgpr16
.LBB143_1374:
	s_mov_b32 s19, 0
.LBB143_1375:
	s_delay_alu instid0(SALU_CYCLE_1)
	s_and_b32 vcc_lo, exec_lo, s19
	s_cbranch_vccz .LBB143_1378
; %bb.1376:
	v_cmp_ne_u16_e64 s17, 0, v0
	s_mov_b32 s16, 0
	s_delay_alu instid0(VALU_DEP_1)
	s_and_not1_b32 vcc_lo, exec_lo, s17
	s_cbranch_vccz .LBB143_1379
.LBB143_1377:
	v_mov_b32_e32 v1, 0x80
	s_and_b32 s17, s16, 0x7fffffff
	s_delay_alu instid0(SALU_CYCLE_1)
	s_cmp_gt_u32 s17, 0x477fffff
	s_cbranch_scc0 .LBB143_1380
	s_branch .LBB143_1387
.LBB143_1378:
	s_and_not1_b32 vcc_lo, exec_lo, s17
	s_cbranch_vccnz .LBB143_1377
.LBB143_1379:
	s_mov_b32 s16, s26
	v_mov_b32_e32 v1, 0x80
	s_and_b32 s17, s16, 0x7fffffff
	s_delay_alu instid0(SALU_CYCLE_1)
	s_cmp_gt_u32 s17, 0x477fffff
	s_cbranch_scc1 .LBB143_1387
.LBB143_1380:
	s_cmp_lt_u32 s17, 0x38000000
	s_cbranch_scc1 .LBB143_1382
; %bb.1381:
	s_bfe_u32 s17, s16, 0x10015
	s_mov_b32 s19, 0
	s_add_i32 s17, s16, s17
	s_delay_alu instid0(SALU_CYCLE_1) | instskip(NEXT) | instid1(SALU_CYCLE_1)
	s_add_i32 s17, s17, 0x88fffff
	s_lshr_b32 s36, s17, 21
	s_mov_b32 s17, -1
	s_branch .LBB143_1383
.LBB143_1382:
	s_mov_b32 s19, -1
	s_mov_b32 s17, 0
                                        ; implicit-def: $sgpr36
.LBB143_1383:
	v_mov_b32_e32 v0, s36
	s_and_not1_b32 vcc_lo, exec_lo, s19
                                        ; implicit-def: $sgpr19
	s_cbranch_vccnz .LBB143_1385
; %bb.1384:
	v_add_f32_e64 v0, 0x42800000, |s16|
	s_mov_b32 s19, 0
	s_delay_alu instid0(VALU_DEP_1) | instskip(NEXT) | instid1(VALU_DEP_1)
	v_and_b32_e32 v0, 0xff, v0
	v_cmp_ne_u32_e64 s17, 0, v0
.LBB143_1385:
	v_mov_b32_e32 v1, s19
	s_delay_alu instid0(VALU_DEP_2)
	s_and_not1_b32 vcc_lo, exec_lo, s17
	s_cbranch_vccnz .LBB143_1387
; %bb.1386:
	s_lshr_b32 s16, s16, 24
	s_delay_alu instid0(SALU_CYCLE_1) | instskip(NEXT) | instid1(SALU_CYCLE_1)
	s_and_b32 s16, s16, 0x80
	v_or_b32_e32 v1, s16, v0
.LBB143_1387:
	s_mov_b32 s16, 0
	global_store_b8 v[10:11], v1, off
.LBB143_1388:
	s_and_b32 vcc_lo, exec_lo, s16
	s_cbranch_vccz .LBB143_1410
; %bb.1389:
	v_and_b32_e64 v0, 0xff, s25
	s_delay_alu instid0(VALU_DEP_1)
	v_cmp_gt_i16_e32 vcc_lo, 0x80, v0
	s_cbranch_vccnz .LBB143_1392
; %bb.1390:
	v_cmp_eq_u16_e32 vcc_lo, 0x80, v0
	s_cbranch_vccz .LBB143_1393
; %bb.1391:
	s_mov_b32 s17, 0
	s_mov_b32 s16, 0x7f800001
	s_branch .LBB143_1394
.LBB143_1392:
	s_mov_b32 s19, -1
	s_mov_b32 s17, 0
                                        ; implicit-def: $sgpr16
	s_branch .LBB143_1395
.LBB143_1393:
	s_mov_b32 s17, -1
                                        ; implicit-def: $sgpr16
.LBB143_1394:
	s_mov_b32 s19, 0
.LBB143_1395:
	s_delay_alu instid0(SALU_CYCLE_1)
	s_and_b32 vcc_lo, exec_lo, s19
	s_cbranch_vccz .LBB143_1400
; %bb.1396:
	v_cmp_ne_u16_e64 s17, 0, v0
	s_mov_b32 s16, 0
	s_delay_alu instid0(VALU_DEP_1)
	s_and_not1_b32 vcc_lo, exec_lo, s17
	s_cbranch_vccz .LBB143_1401
.LBB143_1397:
	s_and_b32 s17, s16, 0x7fffffff
	s_delay_alu instid0(SALU_CYCLE_1)
	s_cmp_gt_u32 s17, 0x43efffff
	s_cbranch_scc1 .LBB143_1402
.LBB143_1398:
	s_cmp_lt_u32 s17, 0x3c800000
	s_cbranch_scc1 .LBB143_1403
; %bb.1399:
	s_bfe_u32 s19, s16, 0x10014
	s_delay_alu instid0(SALU_CYCLE_1) | instskip(NEXT) | instid1(SALU_CYCLE_1)
	s_add_i32 s19, s16, s19
	s_add_i32 s19, s19, 0x407ffff
	s_delay_alu instid0(SALU_CYCLE_1)
	s_and_b32 s36, s19, 0xff00000
	s_lshr_b32 s19, s19, 20
	s_cmp_lg_u32 s36, 0x7f00000
	s_cselect_b32 s36, s19, 0x7e
	s_mov_b32 s19, 0
	s_branch .LBB143_1404
.LBB143_1400:
	s_and_not1_b32 vcc_lo, exec_lo, s17
	s_cbranch_vccnz .LBB143_1397
.LBB143_1401:
	s_mov_b32 s16, s26
	s_delay_alu instid0(SALU_CYCLE_1) | instskip(NEXT) | instid1(SALU_CYCLE_1)
	s_and_b32 s17, s16, 0x7fffffff
	s_cmp_gt_u32 s17, 0x43efffff
	s_cbranch_scc0 .LBB143_1398
.LBB143_1402:
	s_mov_b32 s19, -1
                                        ; implicit-def: $vgpr0
	s_branch .LBB143_1407
.LBB143_1403:
	s_mov_b32 s19, -1
                                        ; implicit-def: $sgpr36
.LBB143_1404:
	v_mov_b32_e32 v0, s36
	s_and_not1_b32 vcc_lo, exec_lo, s19
	s_cbranch_vccnz .LBB143_1406
; %bb.1405:
	v_add_f32_e64 v0, 0x46800000, |s16|
.LBB143_1406:
	s_mov_b32 s19, 0
.LBB143_1407:
	s_delay_alu instid0(SALU_CYCLE_1)
	s_and_not1_b32 vcc_lo, exec_lo, s19
	s_cbranch_vccnz .LBB143_1409
; %bb.1408:
	s_cmp_gt_u32 s17, 0x7f800000
	s_movk_i32 s17, 0x7f
	s_delay_alu instid0(SALU_CYCLE_1) | instskip(NEXT) | instid1(SALU_CYCLE_1)
	s_cselect_b32 s17, s17, 0x7e
	v_mov_b32_e32 v0, s17
.LBB143_1409:
	s_lshr_b32 s16, s16, 24
	s_delay_alu instid0(SALU_CYCLE_1)
	s_and_b32 s16, s16, 0x80
	s_delay_alu instid0(VALU_DEP_1) | instid1(SALU_CYCLE_1)
	v_or_b32_e32 v0, s16, v0
	global_store_b8 v[10:11], v0, off
.LBB143_1410:
	s_mov_b32 s16, 0
.LBB143_1411:
	s_delay_alu instid0(SALU_CYCLE_1)
	s_and_not1_b32 vcc_lo, exec_lo, s16
	s_cbranch_vccnz .LBB143_1433
; %bb.1412:
	v_and_b32_e64 v0, 0xff, s25
	s_delay_alu instid0(VALU_DEP_1)
	v_cmp_gt_i16_e32 vcc_lo, 0x80, v0
	s_cbranch_vccnz .LBB143_1415
; %bb.1413:
	v_cmp_eq_u16_e32 vcc_lo, 0x80, v0
	s_cbranch_vccz .LBB143_1416
; %bb.1414:
	s_mov_b32 s17, 0
	s_mov_b32 s16, 0x7f800001
	s_branch .LBB143_1417
.LBB143_1415:
	s_mov_b32 s19, -1
	s_mov_b32 s17, 0
                                        ; implicit-def: $sgpr16
	s_branch .LBB143_1418
.LBB143_1416:
	s_mov_b32 s17, -1
                                        ; implicit-def: $sgpr16
.LBB143_1417:
	s_mov_b32 s19, 0
.LBB143_1418:
	s_delay_alu instid0(SALU_CYCLE_1)
	s_and_b32 vcc_lo, exec_lo, s19
	s_cbranch_vccz .LBB143_1423
; %bb.1419:
	v_cmp_ne_u16_e64 s17, 0, v0
	s_mov_b32 s16, 0
	s_delay_alu instid0(VALU_DEP_1)
	s_and_not1_b32 vcc_lo, exec_lo, s17
	s_cbranch_vccz .LBB143_1424
.LBB143_1420:
	s_and_b32 s17, s16, 0x7fffffff
	s_delay_alu instid0(SALU_CYCLE_1)
	s_cmp_gt_u32 s17, 0x477fffff
	s_cbranch_scc1 .LBB143_1425
.LBB143_1421:
	s_cmp_lt_u32 s17, 0x38800000
	s_cbranch_scc1 .LBB143_1426
; %bb.1422:
	s_bfe_u32 s19, s16, 0x10015
	s_delay_alu instid0(SALU_CYCLE_1) | instskip(NEXT) | instid1(SALU_CYCLE_1)
	s_add_i32 s19, s16, s19
	s_add_i32 s19, s19, 0x80fffff
	s_delay_alu instid0(SALU_CYCLE_1)
	s_lshr_b32 s36, s19, 21
	s_mov_b32 s19, 0
	s_branch .LBB143_1427
.LBB143_1423:
	s_and_not1_b32 vcc_lo, exec_lo, s17
	s_cbranch_vccnz .LBB143_1420
.LBB143_1424:
	s_mov_b32 s16, s26
	s_delay_alu instid0(SALU_CYCLE_1) | instskip(NEXT) | instid1(SALU_CYCLE_1)
	s_and_b32 s17, s16, 0x7fffffff
	s_cmp_gt_u32 s17, 0x477fffff
	s_cbranch_scc0 .LBB143_1421
.LBB143_1425:
	s_mov_b32 s19, -1
                                        ; implicit-def: $vgpr0
	s_branch .LBB143_1430
.LBB143_1426:
	s_mov_b32 s19, -1
                                        ; implicit-def: $sgpr36
.LBB143_1427:
	v_mov_b32_e32 v0, s36
	s_and_not1_b32 vcc_lo, exec_lo, s19
	s_cbranch_vccnz .LBB143_1429
; %bb.1428:
	v_add_f32_e64 v0, 0x43000000, |s16|
.LBB143_1429:
	s_mov_b32 s19, 0
.LBB143_1430:
	s_delay_alu instid0(SALU_CYCLE_1)
	s_and_not1_b32 vcc_lo, exec_lo, s19
	s_cbranch_vccnz .LBB143_1432
; %bb.1431:
	s_cmp_gt_u32 s17, 0x7f800000
	s_movk_i32 s17, 0x7f
	s_delay_alu instid0(SALU_CYCLE_1) | instskip(NEXT) | instid1(SALU_CYCLE_1)
	s_cselect_b32 s17, s17, 0x7c
	v_mov_b32_e32 v0, s17
.LBB143_1432:
	s_lshr_b32 s16, s16, 24
	s_delay_alu instid0(SALU_CYCLE_1)
	s_and_b32 s16, s16, 0x80
	s_delay_alu instid0(VALU_DEP_1) | instid1(SALU_CYCLE_1)
	v_or_b32_e32 v0, s16, v0
	global_store_b8 v[10:11], v0, off
.LBB143_1433:
	s_mov_b32 s17, 0
	s_mov_b32 s16, -1
.LBB143_1434:
	s_and_not1_b32 vcc_lo, exec_lo, s17
	s_cbranch_vccnz .LBB143_1462
; %bb.1435:
	v_cmp_lt_i16_e32 vcc_lo, 14, v13
	s_mov_b32 s17, -1
	s_cbranch_vccz .LBB143_1449
; %bb.1436:
	v_cmp_eq_u16_e32 vcc_lo, 15, v13
	s_mov_b32 s18, -1
	s_cbranch_vccz .LBB143_1448
; %bb.1437:
	v_and_b32_e64 v0, 0xff, s25
	s_delay_alu instid0(VALU_DEP_1)
	v_cmp_gt_i16_e32 vcc_lo, 0x80, v0
	s_cbranch_vccnz .LBB143_1440
; %bb.1438:
	v_cmp_eq_u16_e32 vcc_lo, 0x80, v0
	s_cbranch_vccz .LBB143_1441
; %bb.1439:
	s_mov_b32 s17, 0
	s_mov_b32 s16, 0x7f800001
	s_branch .LBB143_1442
.LBB143_1440:
	s_mov_b32 s17, 0
                                        ; implicit-def: $sgpr16
	s_branch .LBB143_1443
.LBB143_1441:
                                        ; implicit-def: $sgpr16
.LBB143_1442:
	s_mov_b32 s18, 0
.LBB143_1443:
	s_delay_alu instid0(SALU_CYCLE_1)
	s_and_b32 vcc_lo, exec_lo, s18
	s_cbranch_vccz .LBB143_1445
; %bb.1444:
	v_cmp_ne_u16_e64 s17, 0, v0
	s_mov_b32 s16, 0
.LBB143_1445:
	s_delay_alu instid0(VALU_DEP_1)
	s_and_not1_b32 vcc_lo, exec_lo, s17
	s_cbranch_vccnz .LBB143_1447
; %bb.1446:
	s_mov_b32 s16, s26
.LBB143_1447:
	s_delay_alu instid0(SALU_CYCLE_1) | instskip(SKIP_4) | instid1(SALU_CYCLE_1)
	s_bfe_u32 s17, s16, 0x10010
	s_mov_b32 s18, 0
	s_add_i32 s17, s16, s17
	v_cmp_o_f32_e64 s16, s16, s16
	s_addk_i32 s17, 0x7fff
	s_lshr_b32 s17, s17, 16
	s_delay_alu instid0(VALU_DEP_1) | instskip(SKIP_1) | instid1(SALU_CYCLE_1)
	s_and_b32 s16, s16, exec_lo
	s_cselect_b32 s16, s17, 0x7fc0
	v_mov_b32_e32 v0, s16
	s_mov_b32 s16, -1
	global_store_b16 v[10:11], v0, off
.LBB143_1448:
	s_mov_b32 s17, 0
.LBB143_1449:
	s_delay_alu instid0(SALU_CYCLE_1)
	s_and_b32 vcc_lo, exec_lo, s17
	s_cbranch_vccz .LBB143_1462
; %bb.1450:
	v_cmp_eq_u16_e32 vcc_lo, 11, v13
	s_mov_b32 s18, -1
	s_cbranch_vccz .LBB143_1462
; %bb.1451:
	v_and_b32_e64 v0, 0xff, s25
	s_delay_alu instid0(VALU_DEP_1)
	v_cmp_gt_i16_e32 vcc_lo, 0x80, v0
	s_cbranch_vccnz .LBB143_1454
; %bb.1452:
	v_cmp_eq_u16_e32 vcc_lo, 0x80, v0
	s_cbranch_vccz .LBB143_1455
; %bb.1453:
	s_mov_b32 s17, 0
	s_mov_b32 s16, -1
	s_branch .LBB143_1456
.LBB143_1454:
	s_mov_b32 s17, 0
                                        ; implicit-def: $sgpr16
	s_branch .LBB143_1457
.LBB143_1455:
	s_mov_b32 s17, -1
                                        ; implicit-def: $sgpr16
.LBB143_1456:
	s_mov_b32 s18, 0
.LBB143_1457:
	s_delay_alu instid0(SALU_CYCLE_1)
	s_and_b32 vcc_lo, exec_lo, s18
	s_cbranch_vccz .LBB143_1459
; %bb.1458:
	v_cmp_ne_u16_e64 s17, 0, v0
	s_mov_b32 s16, 0
.LBB143_1459:
	s_delay_alu instid0(VALU_DEP_1)
	s_and_not1_b32 vcc_lo, exec_lo, s17
	s_cbranch_vccnz .LBB143_1461
; %bb.1460:
	s_mov_b32 s16, s27
.LBB143_1461:
	s_delay_alu instid0(SALU_CYCLE_1)
	v_cndmask_b32_e64 v0, 0, 1, s16
	s_mov_b32 s16, -1
	s_mov_b32 s18, 0
	global_store_b8 v[10:11], v0, off
.LBB143_1462:
.LBB143_1463:
	s_and_not1_b32 vcc_lo, exec_lo, s16
	s_cbranch_vccnz .LBB143_997
.LBB143_1464:
	v_add_nc_u32_e32 v16, 0x80, v16
	s_mov_b32 s16, -1
.LBB143_1465:
	s_and_not1_b32 s17, s34, exec_lo
	s_and_b32 s18, s18, exec_lo
	s_delay_alu instid0(SALU_CYCLE_1)
	s_or_b32 s36, s17, s18
	s_or_not1_b32 s18, s16, exec_lo
.LBB143_1466:
	s_or_b32 exec_lo, exec_lo, s37
	s_mov_b32 s16, 0
	s_mov_b32 s17, 0
                                        ; implicit-def: $vgpr10_vgpr11
	s_and_saveexec_b32 s37, s18
	s_cbranch_execz .LBB143_2571
; %bb.1467:
	s_mov_b32 s39, -1
	s_mov_b32 s18, s36
	s_mov_b32 s38, exec_lo
	v_cmpx_gt_i32_e64 s30, v16
	s_cbranch_execz .LBB143_2246
; %bb.1468:
	s_and_not1_b32 vcc_lo, exec_lo, s23
	s_cbranch_vccnz .LBB143_1473
; %bb.1469:
	v_mov_b32_e32 v0, 0
	s_and_not1_b32 vcc_lo, exec_lo, s33
	s_cbranch_vccnz .LBB143_1478
; %bb.1470:
	s_add_i32 s40, s31, 1
	s_cmp_eq_u32 s21, 2
	s_mov_b32 s39, 0
	s_cbranch_scc1 .LBB143_1474
; %bb.1471:
	v_dual_mov_b32 v0, 0 :: v_dual_mov_b32 v1, v16
	s_and_b32 s39, s40, 28
	s_mov_b32 s41, 0
	s_mov_b64 s[16:17], s[2:3]
	s_mov_b64 s[18:19], s[14:15]
.LBB143_1472:                           ; =>This Inner Loop Header: Depth=1
	s_clause 0x1
	s_load_b256 s[44:51], s[16:17], 0x4
	s_load_b128 s[52:55], s[16:17], 0x24
	s_load_b128 s[56:59], s[18:19], 0x0
	s_add_u32 s16, s16, 48
	s_addc_u32 s17, s17, 0
	s_add_i32 s41, s41, 4
	s_add_u32 s18, s18, 16
	s_addc_u32 s19, s19, 0
	s_cmp_eq_u32 s39, s41
	s_waitcnt lgkmcnt(0)
	v_mul_hi_u32 v2, s45, v1
	s_delay_alu instid0(VALU_DEP_1) | instskip(NEXT) | instid1(VALU_DEP_1)
	v_add_nc_u32_e32 v2, v1, v2
	v_lshrrev_b32_e32 v2, s46, v2
	s_delay_alu instid0(VALU_DEP_1) | instskip(SKIP_1) | instid1(VALU_DEP_2)
	v_mul_hi_u32 v3, s48, v2
	v_mul_lo_u32 v18, v2, s44
	v_add_nc_u32_e32 v3, v2, v3
	s_delay_alu instid0(VALU_DEP_2) | instskip(NEXT) | instid1(VALU_DEP_2)
	v_sub_nc_u32_e32 v18, v1, v18
	v_lshrrev_b32_e32 v3, s49, v3
	s_delay_alu instid0(VALU_DEP_2) | instskip(NEXT) | instid1(VALU_DEP_2)
	v_mul_lo_u32 v18, v18, s56
	v_mul_hi_u32 v10, s51, v3
	v_mul_lo_u32 v19, v3, s47
	s_delay_alu instid0(VALU_DEP_2) | instskip(NEXT) | instid1(VALU_DEP_2)
	v_add_nc_u32_e32 v10, v3, v10
	v_sub_nc_u32_e32 v2, v2, v19
	s_delay_alu instid0(VALU_DEP_2) | instskip(NEXT) | instid1(VALU_DEP_2)
	v_lshrrev_b32_e32 v10, s52, v10
	v_mul_lo_u32 v2, v2, s57
	s_delay_alu instid0(VALU_DEP_2) | instskip(NEXT) | instid1(VALU_DEP_2)
	v_mul_hi_u32 v11, s54, v10
	v_add3_u32 v0, v18, v0, v2
	s_delay_alu instid0(VALU_DEP_2) | instskip(NEXT) | instid1(VALU_DEP_1)
	v_add_nc_u32_e32 v11, v10, v11
	v_lshrrev_b32_e32 v1, s55, v11
	v_mul_lo_u32 v11, v10, s50
	s_delay_alu instid0(VALU_DEP_2) | instskip(NEXT) | instid1(VALU_DEP_2)
	v_mul_lo_u32 v20, v1, s53
	v_sub_nc_u32_e32 v3, v3, v11
	s_delay_alu instid0(VALU_DEP_2) | instskip(NEXT) | instid1(VALU_DEP_2)
	v_sub_nc_u32_e32 v10, v10, v20
	v_mul_lo_u32 v3, v3, s58
	s_delay_alu instid0(VALU_DEP_2) | instskip(NEXT) | instid1(VALU_DEP_1)
	v_mul_lo_u32 v10, v10, s59
	v_add3_u32 v0, v3, v0, v10
	s_cbranch_scc0 .LBB143_1472
	s_branch .LBB143_1475
.LBB143_1473:
	s_mov_b32 s16, -1
                                        ; implicit-def: $vgpr0
	s_branch .LBB143_1479
.LBB143_1474:
	v_mov_b32_e32 v1, v16
.LBB143_1475:
	s_and_b32 s40, s40, 3
	s_delay_alu instid0(SALU_CYCLE_1)
	s_cmp_eq_u32 s40, 0
	s_cbranch_scc1 .LBB143_1478
; %bb.1476:
	s_lshl_b32 s16, s39, 2
	s_mul_i32 s18, s39, 12
	s_add_u32 s16, s16, s2
	s_addc_u32 s17, s3, 0
	s_add_u32 s16, s16, 0xc4
	s_addc_u32 s17, s17, 0
	;; [unrolled: 2-line block ×3, first 2 shown]
	.p2align	6
.LBB143_1477:                           ; =>This Inner Loop Header: Depth=1
	s_clause 0x1
	s_load_b64 s[42:43], s[18:19], 0x4
	s_load_b32 s39, s[18:19], 0xc
	s_load_b32 s41, s[16:17], 0x0
	s_add_u32 s18, s18, 12
	s_addc_u32 s19, s19, 0
	s_add_u32 s16, s16, 4
	s_addc_u32 s17, s17, 0
	s_add_i32 s40, s40, -1
	s_delay_alu instid0(SALU_CYCLE_1) | instskip(SKIP_2) | instid1(VALU_DEP_1)
	s_cmp_lg_u32 s40, 0
	s_waitcnt lgkmcnt(0)
	v_mul_hi_u32 v2, s43, v1
	v_add_nc_u32_e32 v2, v1, v2
	s_delay_alu instid0(VALU_DEP_1) | instskip(NEXT) | instid1(VALU_DEP_1)
	v_lshrrev_b32_e32 v10, s39, v2
	v_mul_lo_u32 v2, v10, s42
	s_delay_alu instid0(VALU_DEP_1) | instskip(NEXT) | instid1(VALU_DEP_1)
	v_sub_nc_u32_e32 v1, v1, v2
	v_mad_u64_u32 v[2:3], null, v1, s41, v[0:1]
	v_mov_b32_e32 v1, v10
	s_delay_alu instid0(VALU_DEP_2)
	v_mov_b32_e32 v0, v2
	s_cbranch_scc1 .LBB143_1477
.LBB143_1478:
	s_mov_b32 s16, 0
.LBB143_1479:
	s_delay_alu instid0(SALU_CYCLE_1)
	s_and_not1_b32 vcc_lo, exec_lo, s16
	s_cbranch_vccnz .LBB143_1482
; %bb.1480:
	s_waitcnt lgkmcnt(0)
	v_mul_hi_u32 v0, s5, v16
	s_and_not1_b32 vcc_lo, exec_lo, s29
	s_delay_alu instid0(VALU_DEP_1) | instskip(NEXT) | instid1(VALU_DEP_1)
	v_add_nc_u32_e32 v0, v16, v0
	v_lshrrev_b32_e32 v1, s6, v0
	s_delay_alu instid0(VALU_DEP_1) | instskip(NEXT) | instid1(VALU_DEP_1)
	v_mul_lo_u32 v0, v1, s4
	v_sub_nc_u32_e32 v0, v16, v0
	s_delay_alu instid0(VALU_DEP_1)
	v_mul_lo_u32 v0, v0, s10
	s_cbranch_vccnz .LBB143_1482
; %bb.1481:
	v_mul_hi_u32 v2, s12, v1
	s_delay_alu instid0(VALU_DEP_1) | instskip(NEXT) | instid1(VALU_DEP_1)
	v_add_nc_u32_e32 v2, v1, v2
	v_lshrrev_b32_e32 v2, s13, v2
	s_delay_alu instid0(VALU_DEP_1) | instskip(NEXT) | instid1(VALU_DEP_1)
	v_mul_lo_u32 v2, v2, s7
	v_sub_nc_u32_e32 v3, v1, v2
	s_delay_alu instid0(VALU_DEP_1) | instskip(NEXT) | instid1(VALU_DEP_1)
	v_mad_u64_u32 v[1:2], null, v3, s11, v[0:1]
	v_mov_b32_e32 v0, v1
.LBB143_1482:
	v_cmp_gt_i16_e32 vcc_lo, 11, v13
	s_waitcnt lgkmcnt(0)
	s_delay_alu instid0(VALU_DEP_2) | instskip(NEXT) | instid1(VALU_DEP_1)
	v_add_co_u32 v10, s17, s8, v0
	v_add_co_ci_u32_e64 v11, null, s9, 0, s17
	s_mov_b32 s16, 0
	s_mov_b32 s17, -1
	s_mov_b32 s18, s36
	s_cbranch_vccnz .LBB143_1491
; %bb.1483:
	v_cmp_lt_i16_e32 vcc_lo, 25, v13
	s_cbranch_vccz .LBB143_1499
; %bb.1484:
	v_cmp_lt_i16_e32 vcc_lo, 28, v13
	s_cbranch_vccz .LBB143_1500
	;; [unrolled: 3-line block ×4, first 2 shown]
; %bb.1487:
	v_cmp_eq_u16_e32 vcc_lo, 46, v13
	s_mov_b32 s17, 0
	s_mov_b32 s18, -1
	s_cbranch_vccz .LBB143_2093
; %bb.1488:
	v_and_b32_e64 v0, 0xff, s25
	s_delay_alu instid0(VALU_DEP_1)
	v_cmp_gt_i16_e32 vcc_lo, 0x80, v0
	s_cbranch_vccnz .LBB143_1504
; %bb.1489:
	v_cmp_eq_u16_e32 vcc_lo, 0x80, v0
	s_cbranch_vccz .LBB143_2086
; %bb.1490:
	s_mov_b32 s18, 0
	s_mov_b32 s16, 0x7f800001
	s_branch .LBB143_2087
.LBB143_1491:
	s_and_b32 vcc_lo, exec_lo, s17
	s_cbranch_vccz .LBB143_2243
; %bb.1492:
	v_cmp_gt_i16_e32 vcc_lo, 5, v13
	s_mov_b32 s16, -1
	s_cbranch_vccnz .LBB143_1578
; %bb.1493:
	v_cmp_gt_i16_e32 vcc_lo, 8, v13
	s_cbranch_vccnz .LBB143_1538
; %bb.1494:
	v_cmp_gt_i16_e32 vcc_lo, 9, v13
	s_cbranch_vccnz .LBB143_1525
; %bb.1495:
	v_cmp_lt_i16_e32 vcc_lo, 9, v13
	s_cbranch_vccz .LBB143_1512
; %bb.1496:
	v_and_b32_e64 v0, 0xff, s25
	s_delay_alu instid0(VALU_DEP_1)
	v_cmp_gt_i16_e32 vcc_lo, 0x80, v0
	s_cbranch_vccnz .LBB143_1503
; %bb.1497:
	v_cmp_eq_u16_e32 vcc_lo, 0x80, v0
	s_cbranch_vccz .LBB143_1505
; %bb.1498:
	s_mov_b32 s19, 0
	s_mov_b32 s17, 0x7ff80000
	s_brev_b32 s16, 4
	s_branch .LBB143_1506
.LBB143_1499:
	s_mov_b32 s18, s36
	s_branch .LBB143_2145
.LBB143_1500:
	s_mov_b32 s18, s36
	s_branch .LBB143_2120
.LBB143_1501:
	s_mov_b32 s18, s36
	s_branch .LBB143_2107
.LBB143_1502:
	s_mov_b32 s18, s36
	s_branch .LBB143_2093
.LBB143_1503:
	s_mov_b32 s39, -1
	s_mov_b32 s19, 0
                                        ; implicit-def: $sgpr16_sgpr17
	s_branch .LBB143_1507
.LBB143_1504:
	s_mov_b32 s19, -1
	s_mov_b32 s18, 0
                                        ; implicit-def: $sgpr16
	s_branch .LBB143_2088
.LBB143_1505:
	s_mov_b32 s19, -1
                                        ; implicit-def: $sgpr16_sgpr17
.LBB143_1506:
	s_mov_b32 s39, 0
.LBB143_1507:
	s_delay_alu instid0(SALU_CYCLE_1)
	s_and_b32 vcc_lo, exec_lo, s39
	s_cbranch_vccz .LBB143_1509
; %bb.1508:
	v_cmp_ne_u16_e64 s19, 0, v0
	s_mov_b64 s[16:17], 0
.LBB143_1509:
	s_delay_alu instid0(SALU_CYCLE_1) | instskip(NEXT) | instid1(VALU_DEP_2)
	v_dual_mov_b32 v0, s16 :: v_dual_mov_b32 v1, s17
	s_and_not1_b32 vcc_lo, exec_lo, s19
	s_cbranch_vccnz .LBB143_1511
; %bb.1510:
	v_dual_mov_b32 v0, v6 :: v_dual_mov_b32 v1, v7
.LBB143_1511:
	v_mov_b32_e32 v2, 0
	s_mov_b32 s16, 0
	s_delay_alu instid0(VALU_DEP_1)
	v_mov_b32_e32 v3, v2
	global_store_b128 v[10:11], v[0:3], off
.LBB143_1512:
	s_and_b32 vcc_lo, exec_lo, s16
	s_cbranch_vccz .LBB143_1524
; %bb.1513:
	v_and_b32_e64 v1, 0xff, s25
	s_delay_alu instid0(VALU_DEP_1)
	v_cmp_gt_i16_e32 vcc_lo, 0x80, v1
	s_cbranch_vccnz .LBB143_1516
; %bb.1514:
	v_cmp_eq_u16_e32 vcc_lo, 0x80, v1
	s_cbranch_vccz .LBB143_1517
; %bb.1515:
	s_mov_b32 s16, 0
	s_mov_b32 s17, 0x7f800001
	s_branch .LBB143_1518
.LBB143_1516:
	s_mov_b32 s19, -1
	s_mov_b32 s16, 0
                                        ; implicit-def: $sgpr17
	s_branch .LBB143_1519
.LBB143_1517:
	s_mov_b32 s16, -1
                                        ; implicit-def: $sgpr17
.LBB143_1518:
	s_mov_b32 s19, 0
.LBB143_1519:
	v_mov_b32_e32 v0, s17
	s_and_b32 vcc_lo, exec_lo, s19
	s_cbranch_vccz .LBB143_1521
; %bb.1520:
	v_and_b32_e32 v0, 0xffff, v1
	v_cmp_ne_u16_e64 s16, 0, v1
.LBB143_1521:
	s_delay_alu instid0(VALU_DEP_1)
	s_and_not1_b32 vcc_lo, exec_lo, s16
	s_cbranch_vccnz .LBB143_1523
; %bb.1522:
	v_mov_b32_e32 v0, s26
.LBB143_1523:
	v_mov_b32_e32 v1, 0
	global_store_b64 v[10:11], v[0:1], off
.LBB143_1524:
	s_mov_b32 s16, 0
.LBB143_1525:
	s_delay_alu instid0(SALU_CYCLE_1)
	s_and_not1_b32 vcc_lo, exec_lo, s16
	s_cbranch_vccnz .LBB143_1537
; %bb.1526:
	v_and_b32_e64 v0, 0xff, s25
	s_delay_alu instid0(VALU_DEP_1)
	v_cmp_gt_i16_e32 vcc_lo, 0x80, v0
	s_cbranch_vccnz .LBB143_1529
; %bb.1527:
	v_cmp_eq_u16_e32 vcc_lo, 0x80, v0
	s_cbranch_vccz .LBB143_1530
; %bb.1528:
	s_mov_b32 s16, 0
	s_movk_i32 s17, 0x7e00
	s_branch .LBB143_1531
.LBB143_1529:
	s_mov_b32 s19, -1
	s_mov_b32 s16, 0
                                        ; implicit-def: $sgpr17
	s_branch .LBB143_1532
.LBB143_1530:
	s_mov_b32 s16, -1
                                        ; implicit-def: $sgpr17
.LBB143_1531:
	s_mov_b32 s19, 0
.LBB143_1532:
	v_mov_b32_e32 v1, s17
	s_and_b32 vcc_lo, exec_lo, s19
	s_cbranch_vccz .LBB143_1534
; %bb.1533:
	v_and_b32_e32 v1, 0xffff, v0
	v_cmp_ne_u16_e64 s16, 0, v0
.LBB143_1534:
	s_delay_alu instid0(VALU_DEP_1)
	s_and_not1_b32 vcc_lo, exec_lo, s16
	s_cbranch_vccnz .LBB143_1536
; %bb.1535:
	v_mov_b32_e32 v1, v15
.LBB143_1536:
	global_store_b32 v[10:11], v1, off
.LBB143_1537:
	s_mov_b32 s16, 0
.LBB143_1538:
	s_delay_alu instid0(SALU_CYCLE_1)
	s_and_not1_b32 vcc_lo, exec_lo, s16
	s_cbranch_vccnz .LBB143_1577
; %bb.1539:
	v_cmp_gt_i16_e32 vcc_lo, 6, v13
	s_mov_b32 s16, -1
	s_cbranch_vccnz .LBB143_1565
; %bb.1540:
	v_cmp_lt_i16_e32 vcc_lo, 6, v13
	s_cbranch_vccz .LBB143_1552
; %bb.1541:
	v_and_b32_e64 v0, 0xff, s25
	s_delay_alu instid0(VALU_DEP_1)
	v_cmp_gt_i16_e32 vcc_lo, 0x80, v0
	s_cbranch_vccnz .LBB143_1544
; %bb.1542:
	v_cmp_eq_u16_e32 vcc_lo, 0x80, v0
	s_cbranch_vccz .LBB143_1545
; %bb.1543:
	s_mov_b32 s19, 0
	s_mov_b32 s17, 0x7ff80000
	s_brev_b32 s16, 4
	s_branch .LBB143_1546
.LBB143_1544:
	s_mov_b32 s39, -1
	s_mov_b32 s19, 0
                                        ; implicit-def: $sgpr16_sgpr17
	s_branch .LBB143_1547
.LBB143_1545:
	s_mov_b32 s19, -1
                                        ; implicit-def: $sgpr16_sgpr17
.LBB143_1546:
	s_mov_b32 s39, 0
.LBB143_1547:
	s_delay_alu instid0(SALU_CYCLE_1)
	s_and_b32 vcc_lo, exec_lo, s39
	s_cbranch_vccz .LBB143_1549
; %bb.1548:
	v_cmp_ne_u16_e64 s19, 0, v0
	s_mov_b64 s[16:17], 0
.LBB143_1549:
	s_delay_alu instid0(SALU_CYCLE_1) | instskip(NEXT) | instid1(VALU_DEP_2)
	v_dual_mov_b32 v0, s16 :: v_dual_mov_b32 v1, s17
	s_and_not1_b32 vcc_lo, exec_lo, s19
	s_cbranch_vccnz .LBB143_1551
; %bb.1550:
	v_dual_mov_b32 v0, v6 :: v_dual_mov_b32 v1, v7
.LBB143_1551:
	s_mov_b32 s16, 0
	global_store_b64 v[10:11], v[0:1], off
.LBB143_1552:
	s_and_b32 vcc_lo, exec_lo, s16
	s_cbranch_vccz .LBB143_1564
; %bb.1553:
	v_and_b32_e64 v0, 0xff, s25
	s_delay_alu instid0(VALU_DEP_1)
	v_cmp_gt_i16_e32 vcc_lo, 0x80, v0
	s_cbranch_vccnz .LBB143_1556
; %bb.1554:
	v_cmp_eq_u16_e32 vcc_lo, 0x80, v0
	s_cbranch_vccz .LBB143_1557
; %bb.1555:
	s_mov_b32 s17, 0
	s_mov_b32 s16, 0x7f800001
	s_branch .LBB143_1558
.LBB143_1556:
	s_mov_b32 s19, -1
	s_mov_b32 s17, 0
                                        ; implicit-def: $sgpr16
	s_branch .LBB143_1559
.LBB143_1557:
	s_mov_b32 s17, -1
                                        ; implicit-def: $sgpr16
.LBB143_1558:
	s_mov_b32 s19, 0
.LBB143_1559:
	s_delay_alu instid0(SALU_CYCLE_1)
	s_and_b32 vcc_lo, exec_lo, s19
	s_cbranch_vccz .LBB143_1561
; %bb.1560:
	v_cmp_ne_u16_e64 s17, 0, v0
	s_mov_b32 s16, 0
.LBB143_1561:
	s_delay_alu instid0(VALU_DEP_1)
	s_and_not1_b32 vcc_lo, exec_lo, s17
	s_cbranch_vccnz .LBB143_1563
; %bb.1562:
	s_mov_b32 s16, s26
.LBB143_1563:
	s_delay_alu instid0(SALU_CYCLE_1)
	v_mov_b32_e32 v0, s16
	global_store_b32 v[10:11], v0, off
.LBB143_1564:
	s_mov_b32 s16, 0
.LBB143_1565:
	s_delay_alu instid0(SALU_CYCLE_1)
	s_and_not1_b32 vcc_lo, exec_lo, s16
	s_cbranch_vccnz .LBB143_1577
; %bb.1566:
	v_and_b32_e64 v0, 0xff, s25
	s_delay_alu instid0(VALU_DEP_1)
	v_cmp_gt_i16_e32 vcc_lo, 0x80, v0
	s_cbranch_vccnz .LBB143_1569
; %bb.1567:
	v_cmp_eq_u16_e32 vcc_lo, 0x80, v0
	s_cbranch_vccz .LBB143_1570
; %bb.1568:
	s_mov_b32 s16, 0
	s_movk_i32 s17, 0x7e00
	s_branch .LBB143_1571
.LBB143_1569:
	s_mov_b32 s19, -1
	s_mov_b32 s16, 0
                                        ; implicit-def: $sgpr17
	s_branch .LBB143_1572
.LBB143_1570:
	s_mov_b32 s16, -1
                                        ; implicit-def: $sgpr17
.LBB143_1571:
	s_mov_b32 s19, 0
.LBB143_1572:
	v_mov_b32_e32 v1, s17
	s_and_b32 vcc_lo, exec_lo, s19
	s_cbranch_vccz .LBB143_1574
; %bb.1573:
	v_cmp_ne_u16_e64 s16, 0, v0
	v_mov_b32_e32 v1, v0
.LBB143_1574:
	s_delay_alu instid0(VALU_DEP_2)
	s_and_not1_b32 vcc_lo, exec_lo, s16
	s_cbranch_vccnz .LBB143_1576
; %bb.1575:
	v_mov_b32_e32 v1, v14
.LBB143_1576:
	global_store_b16 v[10:11], v1, off
.LBB143_1577:
	s_mov_b32 s16, 0
.LBB143_1578:
	s_delay_alu instid0(SALU_CYCLE_1)
	s_and_not1_b32 vcc_lo, exec_lo, s16
	s_cbranch_vccnz .LBB143_1629
; %bb.1579:
	v_cmp_gt_i16_e32 vcc_lo, 2, v13
	s_mov_b32 s16, -1
	s_cbranch_vccnz .LBB143_1610
; %bb.1580:
	v_cmp_gt_i16_e32 vcc_lo, 3, v13
	s_cbranch_vccnz .LBB143_1600
; %bb.1581:
	v_cmp_lt_i16_e32 vcc_lo, 3, v13
	s_cbranch_vccz .LBB143_1590
; %bb.1582:
	v_and_b32_e64 v0, 0xff, s25
	s_delay_alu instid0(VALU_DEP_1)
	v_cmp_gt_i16_e32 vcc_lo, 0x80, v0
	s_cbranch_vccnz .LBB143_1584
; %bb.1583:
	v_cmp_ne_u16_e64 s19, 0x80, v0
	s_mov_b32 s39, 0
	s_mov_b64 s[16:17], 0
	s_branch .LBB143_1585
.LBB143_1584:
	s_mov_b32 s39, -1
	s_mov_b32 s19, 0
                                        ; implicit-def: $sgpr16_sgpr17
.LBB143_1585:
	s_and_not1_b32 vcc_lo, exec_lo, s39
	s_cbranch_vccnz .LBB143_1587
; %bb.1586:
	v_cmp_ne_u16_e64 s19, 0, v0
	s_mov_b64 s[16:17], 0
.LBB143_1587:
	s_delay_alu instid0(SALU_CYCLE_1) | instskip(NEXT) | instid1(VALU_DEP_2)
	v_dual_mov_b32 v0, s16 :: v_dual_mov_b32 v1, s17
	s_and_not1_b32 vcc_lo, exec_lo, s19
	s_cbranch_vccnz .LBB143_1589
; %bb.1588:
	v_dual_mov_b32 v0, v4 :: v_dual_mov_b32 v1, v5
.LBB143_1589:
	s_mov_b32 s16, 0
	global_store_b64 v[10:11], v[0:1], off
.LBB143_1590:
	s_and_b32 vcc_lo, exec_lo, s16
	s_cbranch_vccz .LBB143_1599
; %bb.1591:
	v_and_b32_e64 v0, 0xff, s25
	s_delay_alu instid0(VALU_DEP_1)
	v_cmp_gt_i16_e32 vcc_lo, 0x80, v0
	s_cbranch_vccnz .LBB143_1593
; %bb.1592:
	v_cmp_ne_u16_e64 s16, 0x80, v0
	s_mov_b32 s19, 0
	s_mov_b32 s17, 0
	s_branch .LBB143_1594
.LBB143_1593:
	s_mov_b32 s19, -1
	s_mov_b32 s16, 0
                                        ; implicit-def: $sgpr17
.LBB143_1594:
	s_and_not1_b32 vcc_lo, exec_lo, s19
	s_cbranch_vccnz .LBB143_1596
; %bb.1595:
	v_cmp_ne_u16_e64 s16, 0, v0
	s_mov_b32 s17, 0
.LBB143_1596:
	s_delay_alu instid0(SALU_CYCLE_1) | instskip(NEXT) | instid1(VALU_DEP_2)
	v_mov_b32_e32 v0, s17
	s_and_not1_b32 vcc_lo, exec_lo, s16
	s_cbranch_vccnz .LBB143_1598
; %bb.1597:
	v_mov_b32_e32 v0, v12
.LBB143_1598:
	global_store_b32 v[10:11], v0, off
.LBB143_1599:
	s_mov_b32 s16, 0
.LBB143_1600:
	s_delay_alu instid0(SALU_CYCLE_1)
	s_and_not1_b32 vcc_lo, exec_lo, s16
	s_cbranch_vccnz .LBB143_1609
; %bb.1601:
	v_and_b32_e64 v0, 0xff, s25
	s_delay_alu instid0(VALU_DEP_1)
	v_cmp_gt_i16_e32 vcc_lo, 0x80, v0
	s_cbranch_vccnz .LBB143_1603
; %bb.1602:
	v_cmp_ne_u16_e64 s16, 0x80, v0
	s_mov_b32 s19, 0
	s_mov_b32 s17, 0
	s_branch .LBB143_1604
.LBB143_1603:
	s_mov_b32 s19, -1
	s_mov_b32 s16, 0
                                        ; implicit-def: $sgpr17
.LBB143_1604:
	s_and_not1_b32 vcc_lo, exec_lo, s19
	s_cbranch_vccnz .LBB143_1606
; %bb.1605:
	v_cmp_ne_u16_e64 s16, 0, v0
	s_mov_b32 s17, 0
.LBB143_1606:
	s_delay_alu instid0(SALU_CYCLE_1) | instskip(NEXT) | instid1(VALU_DEP_2)
	v_mov_b32_e32 v0, s17
	s_and_not1_b32 vcc_lo, exec_lo, s16
	s_cbranch_vccnz .LBB143_1608
; %bb.1607:
	v_mov_b32_e32 v0, v12
.LBB143_1608:
	global_store_b16 v[10:11], v0, off
.LBB143_1609:
	s_mov_b32 s16, 0
.LBB143_1610:
	s_delay_alu instid0(SALU_CYCLE_1)
	s_and_not1_b32 vcc_lo, exec_lo, s16
	s_cbranch_vccnz .LBB143_1629
; %bb.1611:
	v_cmp_lt_i16_e32 vcc_lo, 0, v13
	s_mov_b32 s16, 0
	s_mov_b32 s17, -1
	s_cbranch_vccz .LBB143_1620
; %bb.1612:
	v_and_b32_e64 v0, 0xff, s25
	s_delay_alu instid0(VALU_DEP_1)
	v_cmp_gt_i16_e32 vcc_lo, 0x80, v0
	s_cbranch_vccnz .LBB143_1614
; %bb.1613:
	v_cmp_ne_u16_e64 s16, 0x80, v0
	s_mov_b32 s19, 0
	s_mov_b32 s17, 0
	s_branch .LBB143_1615
.LBB143_1614:
	s_mov_b32 s19, -1
                                        ; implicit-def: $sgpr17
.LBB143_1615:
	s_delay_alu instid0(SALU_CYCLE_1)
	s_and_not1_b32 vcc_lo, exec_lo, s19
	s_cbranch_vccnz .LBB143_1617
; %bb.1616:
	v_cmp_ne_u16_e64 s16, 0, v0
	s_mov_b32 s17, 0
.LBB143_1617:
	s_delay_alu instid0(SALU_CYCLE_1) | instskip(NEXT) | instid1(VALU_DEP_2)
	v_mov_b32_e32 v0, s17
	s_and_not1_b32 vcc_lo, exec_lo, s16
	s_cbranch_vccnz .LBB143_1619
; %bb.1618:
	v_mov_b32_e32 v0, v12
.LBB143_1619:
	s_mov_b32 s17, 0
	global_store_b8 v[10:11], v0, off
.LBB143_1620:
	s_and_b32 vcc_lo, exec_lo, s17
	s_cbranch_vccz .LBB143_1629
; %bb.1621:
	v_and_b32_e64 v0, 0xff, s25
	s_delay_alu instid0(VALU_DEP_1)
	v_cmp_gt_i16_e32 vcc_lo, 0x80, v0
	s_cbranch_vccnz .LBB143_1623
; %bb.1622:
	v_cmp_ne_u16_e64 s16, 0x80, v0
	s_mov_b32 s19, 0
	s_mov_b32 s17, 0
	s_branch .LBB143_1624
.LBB143_1623:
	s_mov_b32 s19, -1
	s_mov_b32 s16, 0
                                        ; implicit-def: $sgpr17
.LBB143_1624:
	s_and_not1_b32 vcc_lo, exec_lo, s19
	s_cbranch_vccnz .LBB143_1626
; %bb.1625:
	v_cmp_ne_u16_e64 s16, 0, v0
	s_mov_b32 s17, 0
.LBB143_1626:
	s_delay_alu instid0(SALU_CYCLE_1) | instskip(NEXT) | instid1(VALU_DEP_2)
	v_mov_b32_e32 v0, s17
	s_and_not1_b32 vcc_lo, exec_lo, s16
	s_cbranch_vccnz .LBB143_1628
; %bb.1627:
	v_mov_b32_e32 v0, v4
.LBB143_1628:
	global_store_b8 v[10:11], v0, off
.LBB143_1629:
	s_branch .LBB143_2244
.LBB143_1630:
	s_mov_b32 s16, 0
                                        ; implicit-def: $vgpr16
	s_branch .LBB143_2245
.LBB143_1631:
	s_mov_b32 s5, -1
                                        ; implicit-def: $sgpr4
.LBB143_1632:
	s_mov_b32 s12, 0
.LBB143_1633:
	s_delay_alu instid0(SALU_CYCLE_1)
	s_and_b32 vcc_lo, exec_lo, s12
	s_cbranch_vccz .LBB143_1635
; %bb.1634:
	v_cmp_ne_u16_e64 s5, 0, v0
	s_mov_b32 s4, 0
.LBB143_1635:
	s_delay_alu instid0(VALU_DEP_1)
	s_and_not1_b32 vcc_lo, exec_lo, s5
	s_cbranch_vccnz .LBB143_1637
; %bb.1636:
	v_lshrrev_b16 v0, 3, s6
	s_and_b32 s4, s6, 7
	s_lshl_b32 s14, s6, 24
	s_clz_i32_u32 s5, s4
	s_delay_alu instid0(SALU_CYCLE_1) | instskip(SKIP_4) | instid1(VALU_DEP_1)
	s_min_u32 s5, s5, 32
	v_readfirstlane_b32 s12, v0
	s_sub_i32 s13, s5, 28
	s_sub_i32 s5, 29, s5
	s_lshl_b32 s13, s6, s13
	s_and_b32 s12, s12, 15
	s_and_b32 s13, s13, 7
	s_cmp_eq_u32 s12, 0
	s_cselect_b32 s5, s5, s12
	s_cselect_b32 s4, s13, s4
	s_lshl_b32 s5, s5, 23
	s_and_b32 s12, s14, 0x80000000
	s_add_i32 s5, s5, 0x3b800000
	s_lshl_b32 s4, s4, 20
	s_or_b32 s5, s12, s5
	s_delay_alu instid0(SALU_CYCLE_1)
	s_or_b32 s4, s5, s4
.LBB143_1637:
	s_delay_alu instid0(SALU_CYCLE_1) | instskip(NEXT) | instid1(SALU_CYCLE_1)
	s_bfe_u32 s5, s4, 0x10010
	s_add_i32 s5, s4, s5
	v_cmp_o_f32_e64 s4, s4, s4
	s_addk_i32 s5, 0x7fff
	s_delay_alu instid0(SALU_CYCLE_1) | instskip(NEXT) | instid1(VALU_DEP_1)
	s_lshr_b32 s5, s5, 16
	s_and_b32 s4, s4, exec_lo
	s_cselect_b32 s4, s5, 0x7fc0
	s_mov_b32 s5, -1
	v_mov_b32_e32 v0, s4
	s_mov_b32 s4, 0
	global_store_b32 v[5:6], v0, off
.LBB143_1638:
	s_and_b32 vcc_lo, exec_lo, s11
	s_cbranch_vccz .LBB143_1651
; %bb.1639:
	v_cmp_eq_u16_e32 vcc_lo, 44, v9
	s_mov_b32 s4, -1
	s_cbranch_vccz .LBB143_1651
; %bb.1640:
	v_and_b32_e64 v0, 0xff, s6
	s_delay_alu instid0(VALU_DEP_1)
	v_cmp_gt_i16_e32 vcc_lo, 0x80, v0
	v_readfirstlane_b32 s5, v0
	s_cbranch_vccnz .LBB143_1643
; %bb.1641:
	s_delay_alu instid0(VALU_DEP_1) | instskip(NEXT) | instid1(VALU_DEP_1)
	v_cmp_eq_u16_e64 s4, 0x80, s5
	s_and_b32 vcc_lo, exec_lo, s4
	s_cbranch_vccz .LBB143_1644
; %bb.1642:
	s_mov_b32 s11, 0
	s_mov_b32 s4, 0x7f800001
	s_branch .LBB143_1645
.LBB143_1643:
	s_mov_b32 s12, -1
	s_mov_b32 s11, 0
                                        ; implicit-def: $sgpr4
	s_branch .LBB143_1646
.LBB143_1644:
	s_mov_b32 s11, -1
                                        ; implicit-def: $sgpr4
.LBB143_1645:
	s_mov_b32 s12, 0
.LBB143_1646:
	s_delay_alu instid0(SALU_CYCLE_1)
	s_and_b32 vcc_lo, exec_lo, s12
	s_cbranch_vccz .LBB143_1656
; %bb.1647:
	v_cmp_ne_u16_e64 s11, s5, 0
	s_and_b32 s4, 0xffff, s5
	s_delay_alu instid0(VALU_DEP_1)
	s_and_not1_b32 vcc_lo, exec_lo, s11
	s_cbranch_vccz .LBB143_1657
.LBB143_1648:
	v_mov_b32_e32 v0, 0xff
	s_bfe_u32 s5, s4, 0x80017
	s_delay_alu instid0(SALU_CYCLE_1)
	s_cmpk_eq_i32 s5, 0xff
	s_cbranch_scc1 .LBB143_1650
.LBB143_1649:
	s_lshr_b32 s11, s4, 23
	s_bitcmp1_b32 s4, 22
	s_cselect_b32 s12, -1, 0
	s_and_b32 s4, s4, 0x3fffff
	s_delay_alu instid0(SALU_CYCLE_1) | instskip(NEXT) | instid1(SALU_CYCLE_1)
	s_or_b32 s4, s5, s4
	s_cmp_lg_u32 s4, 0
	s_cselect_b32 s4, -1, 0
	s_delay_alu instid0(SALU_CYCLE_1) | instskip(NEXT) | instid1(SALU_CYCLE_1)
	s_and_b32 s4, s12, s4
	v_cndmask_b32_e64 v0, 0, 1, s4
	s_delay_alu instid0(VALU_DEP_1)
	v_add_nc_u32_e32 v0, s11, v0
.LBB143_1650:
	s_mov_b32 s4, 0
	s_mov_b32 s5, -1
	global_store_b8 v[5:6], v0, off
.LBB143_1651:
	s_mov_b32 s11, 0
.LBB143_1652:
	s_delay_alu instid0(SALU_CYCLE_1)
	s_and_b32 vcc_lo, exec_lo, s11
	s_cbranch_vccz .LBB143_1664
; %bb.1653:
	v_cmp_eq_u16_e32 vcc_lo, 29, v9
	s_mov_b32 s4, -1
	s_cbranch_vccz .LBB143_1664
; %bb.1654:
	v_and_b32_e64 v0, 0xff, s6
	s_delay_alu instid0(VALU_DEP_1)
	v_cmp_gt_i16_e32 vcc_lo, 0x80, v0
	s_cbranch_vccnz .LBB143_1658
; %bb.1655:
	v_cmp_ne_u16_e64 s11, 0x80, v0
	s_mov_b32 s12, 0
	s_mov_b64 s[4:5], 0
	s_branch .LBB143_1659
.LBB143_1656:
	s_and_not1_b32 vcc_lo, exec_lo, s11
	s_cbranch_vccnz .LBB143_1648
.LBB143_1657:
	v_lshrrev_b16 v0, 3, s6
	s_and_b32 s4, s6, 7
	s_delay_alu instid0(SALU_CYCLE_1) | instskip(NEXT) | instid1(SALU_CYCLE_1)
	s_clz_i32_u32 s5, s4
	s_min_u32 s5, s5, 32
	s_delay_alu instid0(VALU_DEP_1) | instskip(SKIP_3) | instid1(VALU_DEP_1)
	v_readfirstlane_b32 s11, v0
	s_sub_i32 s12, s5, 28
	s_sub_i32 s5, 29, s5
	s_lshl_b32 s12, s6, s12
	s_and_b32 s11, s11, 15
	s_and_b32 s12, s12, 7
	s_cmp_eq_u32 s11, 0
	s_cselect_b32 s4, s12, s4
	s_cselect_b32 s5, s5, s11
	s_lshl_b32 s4, s4, 20
	s_lshl_b32 s5, s5, 23
	s_delay_alu instid0(SALU_CYCLE_1) | instskip(NEXT) | instid1(SALU_CYCLE_1)
	s_or_b32 s4, s5, s4
	s_add_i32 s4, s4, 0x3b800000
	v_mov_b32_e32 v0, 0xff
	s_bfe_u32 s5, s4, 0x80017
	s_delay_alu instid0(SALU_CYCLE_1)
	s_cmpk_eq_i32 s5, 0xff
	s_cbranch_scc0 .LBB143_1649
	s_branch .LBB143_1650
.LBB143_1658:
	s_mov_b32 s12, -1
	s_mov_b32 s11, 0
                                        ; implicit-def: $sgpr4_sgpr5
.LBB143_1659:
	s_and_not1_b32 vcc_lo, exec_lo, s12
	s_cbranch_vccnz .LBB143_1661
; %bb.1660:
	v_cmp_ne_u16_e64 s11, 0, v0
	s_mov_b64 s[4:5], 0
.LBB143_1661:
	s_delay_alu instid0(SALU_CYCLE_1) | instskip(NEXT) | instid1(VALU_DEP_2)
	v_dual_mov_b32 v0, s4 :: v_dual_mov_b32 v1, s5
	s_and_not1_b32 vcc_lo, exec_lo, s11
	s_cbranch_vccnz .LBB143_1663
; %bb.1662:
	v_lshrrev_b16 v0, 3, s6
	s_and_b32 s4, s6, 7
	s_lshl_b32 s12, s6, 24
	s_clz_i32_u32 s5, s4
	s_delay_alu instid0(SALU_CYCLE_1) | instskip(SKIP_4) | instid1(VALU_DEP_1)
	s_min_u32 s5, s5, 32
	v_readfirstlane_b32 s11, v0
	s_sub_i32 s13, s5, 28
	s_sub_i32 s5, 29, s5
	s_lshl_b32 s13, s6, s13
	s_and_b32 s11, s11, 15
	s_and_b32 s13, s13, 7
	s_cmp_eq_u32 s11, 0
	s_cselect_b32 s5, s5, s11
	s_cselect_b32 s4, s13, s4
	s_lshl_b32 s5, s5, 23
	s_and_b32 s11, s12, 0x80000000
	s_add_i32 s5, s5, 0x3b800000
	s_lshl_b32 s4, s4, 20
	s_or_b32 s5, s11, s5
	s_delay_alu instid0(SALU_CYCLE_1) | instskip(NEXT) | instid1(SALU_CYCLE_1)
	s_or_b32 s4, s5, s4
	v_trunc_f32_e32 v0, s4
	s_delay_alu instid0(VALU_DEP_1) | instskip(NEXT) | instid1(VALU_DEP_1)
	v_mul_f32_e32 v1, 0x2f800000, v0
	v_floor_f32_e32 v1, v1
	s_delay_alu instid0(VALU_DEP_1) | instskip(SKIP_1) | instid1(VALU_DEP_2)
	v_fmamk_f32 v0, v1, 0xcf800000, v0
	v_cvt_u32_f32_e32 v1, v1
	v_cvt_u32_f32_e32 v0, v0
.LBB143_1663:
	s_mov_b32 s4, 0
	s_mov_b32 s5, -1
	global_store_b64 v[5:6], v[0:1], off
.LBB143_1664:
	s_mov_b32 s11, 0
.LBB143_1665:
	s_delay_alu instid0(SALU_CYCLE_1)
	s_and_b32 vcc_lo, exec_lo, s11
	s_cbranch_vccz .LBB143_1689
; %bb.1666:
	v_cmp_gt_i16_e32 vcc_lo, 27, v9
	s_mov_b32 s5, -1
	s_cbranch_vccnz .LBB143_1686
; %bb.1667:
	v_cmp_lt_i16_e32 vcc_lo, 27, v9
	s_cbranch_vccz .LBB143_1676
; %bb.1668:
	v_and_b32_e64 v0, 0xff, s6
	s_delay_alu instid0(VALU_DEP_1)
	v_cmp_gt_i16_e32 vcc_lo, 0x80, v0
	s_cbranch_vccnz .LBB143_1670
; %bb.1669:
	v_cmp_ne_u16_e64 s5, 0x80, v0
	s_mov_b32 s12, 0
	s_mov_b32 s11, 0
	s_branch .LBB143_1671
.LBB143_1670:
	s_mov_b32 s12, -1
	s_mov_b32 s5, 0
                                        ; implicit-def: $sgpr11
.LBB143_1671:
	s_and_not1_b32 vcc_lo, exec_lo, s12
	s_cbranch_vccnz .LBB143_1673
; %bb.1672:
	v_cmp_ne_u16_e64 s5, 0, v0
	s_mov_b32 s11, 0
.LBB143_1673:
	s_delay_alu instid0(SALU_CYCLE_1) | instskip(NEXT) | instid1(VALU_DEP_2)
	v_mov_b32_e32 v0, s11
	s_and_not1_b32 vcc_lo, exec_lo, s5
	s_cbranch_vccnz .LBB143_1675
; %bb.1674:
	v_lshrrev_b16 v0, 3, s6
	s_and_b32 s5, s6, 7
	s_lshl_b32 s14, s6, 24
	s_clz_i32_u32 s11, s5
	s_delay_alu instid0(SALU_CYCLE_1) | instskip(SKIP_4) | instid1(VALU_DEP_1)
	s_min_u32 s11, s11, 32
	v_readfirstlane_b32 s12, v0
	s_sub_i32 s13, s11, 28
	s_sub_i32 s11, 29, s11
	s_lshl_b32 s13, s6, s13
	s_and_b32 s12, s12, 15
	s_and_b32 s13, s13, 7
	s_cmp_eq_u32 s12, 0
	s_cselect_b32 s11, s11, s12
	s_cselect_b32 s5, s13, s5
	s_lshl_b32 s11, s11, 23
	s_and_b32 s12, s14, 0x80000000
	s_add_i32 s11, s11, 0x3b800000
	s_lshl_b32 s5, s5, 20
	s_or_b32 s11, s12, s11
	s_delay_alu instid0(SALU_CYCLE_1) | instskip(NEXT) | instid1(SALU_CYCLE_1)
	s_or_b32 s5, s11, s5
	v_cvt_u32_f32_e32 v0, s5
.LBB143_1675:
	s_mov_b32 s5, 0
	global_store_b32 v[5:6], v0, off
.LBB143_1676:
	s_and_b32 vcc_lo, exec_lo, s5
	s_cbranch_vccz .LBB143_1685
; %bb.1677:
	v_and_b32_e64 v0, 0xff, s6
	s_delay_alu instid0(VALU_DEP_1)
	v_cmp_gt_i16_e32 vcc_lo, 0x80, v0
	s_cbranch_vccnz .LBB143_1679
; %bb.1678:
	v_cmp_ne_u16_e64 s5, 0x80, v0
	s_mov_b32 s12, 0
	s_mov_b32 s11, 0
	s_branch .LBB143_1680
.LBB143_1679:
	s_mov_b32 s12, -1
	s_mov_b32 s5, 0
                                        ; implicit-def: $sgpr11
.LBB143_1680:
	s_and_not1_b32 vcc_lo, exec_lo, s12
	s_cbranch_vccnz .LBB143_1682
; %bb.1681:
	v_cmp_ne_u16_e64 s5, 0, v0
	s_mov_b32 s11, 0
.LBB143_1682:
	s_delay_alu instid0(SALU_CYCLE_1) | instskip(NEXT) | instid1(VALU_DEP_2)
	v_mov_b32_e32 v0, s11
	s_and_not1_b32 vcc_lo, exec_lo, s5
	s_cbranch_vccnz .LBB143_1684
; %bb.1683:
	v_lshrrev_b16 v0, 3, s6
	s_and_b32 s5, s6, 7
	s_lshl_b32 s14, s6, 24
	s_clz_i32_u32 s11, s5
	s_delay_alu instid0(SALU_CYCLE_1) | instskip(SKIP_4) | instid1(VALU_DEP_1)
	s_min_u32 s11, s11, 32
	v_readfirstlane_b32 s12, v0
	s_sub_i32 s13, s11, 28
	s_sub_i32 s11, 29, s11
	s_lshl_b32 s13, s6, s13
	s_and_b32 s12, s12, 15
	s_and_b32 s13, s13, 7
	s_cmp_eq_u32 s12, 0
	s_cselect_b32 s11, s11, s12
	s_cselect_b32 s5, s13, s5
	s_lshl_b32 s11, s11, 23
	s_and_b32 s12, s14, 0x80000000
	s_add_i32 s11, s11, 0x3b800000
	s_lshl_b32 s5, s5, 20
	s_or_b32 s11, s12, s11
	s_delay_alu instid0(SALU_CYCLE_1) | instskip(NEXT) | instid1(SALU_CYCLE_1)
	s_or_b32 s5, s11, s5
	v_cvt_u32_f32_e32 v0, s5
.LBB143_1684:
	global_store_b16 v[5:6], v0, off
.LBB143_1685:
	s_mov_b32 s5, 0
.LBB143_1686:
	s_delay_alu instid0(SALU_CYCLE_1)
	s_and_not1_b32 vcc_lo, exec_lo, s5
	s_cbranch_vccnz .LBB143_1688
; %bb.1687:
	v_mov_b32_e32 v0, s6
	global_store_b8 v[5:6], v0, off
.LBB143_1688:
	s_mov_b32 s5, -1
.LBB143_1689:
	s_mov_b32 s11, 0
.LBB143_1690:
	s_delay_alu instid0(SALU_CYCLE_1)
	s_and_b32 vcc_lo, exec_lo, s11
	s_cbranch_vccz .LBB143_1776
; %bb.1691:
	v_cmp_lt_i16_e32 vcc_lo, 22, v9
	s_mov_b32 s10, -1
	s_cbranch_vccz .LBB143_1759
; %bb.1692:
	v_cmp_gt_i16_e32 vcc_lo, 24, v9
	s_mov_b32 s5, -1
	s_cbranch_vccnz .LBB143_1736
; %bb.1693:
	v_cmp_lt_i16_e32 vcc_lo, 24, v9
	s_cbranch_vccz .LBB143_1713
; %bb.1694:
	v_and_b32_e64 v0, 0xff, s6
	s_delay_alu instid0(VALU_DEP_1)
	v_cmp_gt_i16_e32 vcc_lo, 0x80, v0
	s_cbranch_vccnz .LBB143_1697
; %bb.1695:
	v_cmp_eq_u16_e32 vcc_lo, 0x80, v0
	s_cbranch_vccz .LBB143_1698
; %bb.1696:
	s_mov_b32 s10, 0
	s_mov_b32 s5, 0x7f800001
	s_branch .LBB143_1699
.LBB143_1697:
	s_mov_b32 s11, -1
	s_mov_b32 s10, 0
                                        ; implicit-def: $sgpr5
	s_branch .LBB143_1700
.LBB143_1698:
                                        ; implicit-def: $sgpr5
.LBB143_1699:
	s_mov_b32 s11, 0
.LBB143_1700:
	s_delay_alu instid0(SALU_CYCLE_1)
	s_and_b32 vcc_lo, exec_lo, s11
	s_cbranch_vccz .LBB143_1703
; %bb.1701:
	v_cmp_ne_u16_e64 s10, 0, v0
	s_mov_b32 s5, 0
	s_delay_alu instid0(VALU_DEP_1)
	s_and_not1_b32 vcc_lo, exec_lo, s10
	s_cbranch_vccz .LBB143_1704
.LBB143_1702:
	v_mov_b32_e32 v1, 0x80
	s_and_b32 s10, s5, 0x7fffffff
	s_delay_alu instid0(SALU_CYCLE_1)
	s_cmp_gt_u32 s10, 0x477fffff
	s_cbranch_scc0 .LBB143_1705
	s_branch .LBB143_1712
.LBB143_1703:
	s_and_not1_b32 vcc_lo, exec_lo, s10
	s_cbranch_vccnz .LBB143_1702
.LBB143_1704:
	v_lshrrev_b16 v0, 3, s6
	s_and_b32 s5, s6, 7
	s_lshl_b32 s13, s6, 24
	s_clz_i32_u32 s10, s5
	s_delay_alu instid0(SALU_CYCLE_1) | instskip(SKIP_4) | instid1(VALU_DEP_1)
	s_min_u32 s10, s10, 32
	v_readfirstlane_b32 s11, v0
	s_sub_i32 s12, s10, 28
	s_sub_i32 s10, 29, s10
	s_lshl_b32 s12, s6, s12
	s_and_b32 s11, s11, 15
	s_and_b32 s12, s12, 7
	s_cmp_eq_u32 s11, 0
	s_cselect_b32 s10, s10, s11
	s_cselect_b32 s5, s12, s5
	s_lshl_b32 s10, s10, 23
	s_and_b32 s11, s13, 0x80000000
	s_add_i32 s10, s10, 0x3b800000
	s_lshl_b32 s5, s5, 20
	s_or_b32 s10, s11, s10
	s_delay_alu instid0(SALU_CYCLE_1) | instskip(SKIP_2) | instid1(SALU_CYCLE_1)
	s_or_b32 s5, s10, s5
	v_mov_b32_e32 v1, 0x80
	s_and_b32 s10, s5, 0x7fffffff
	s_cmp_gt_u32 s10, 0x477fffff
	s_cbranch_scc1 .LBB143_1712
.LBB143_1705:
	s_cmp_gt_u32 s10, 0x37ffffff
	s_cbranch_scc0 .LBB143_1707
; %bb.1706:
	s_bfe_u32 s10, s5, 0x10015
	s_mov_b32 s11, 0
	s_add_i32 s10, s5, s10
	s_delay_alu instid0(SALU_CYCLE_1) | instskip(NEXT) | instid1(SALU_CYCLE_1)
	s_add_i32 s10, s10, 0x88fffff
	s_lshr_b32 s12, s10, 21
	s_mov_b32 s10, -1
	s_branch .LBB143_1708
.LBB143_1707:
	s_mov_b32 s11, -1
	s_mov_b32 s10, 0
                                        ; implicit-def: $sgpr12
.LBB143_1708:
	v_mov_b32_e32 v0, s12
	s_and_not1_b32 vcc_lo, exec_lo, s11
                                        ; implicit-def: $sgpr11
	s_cbranch_vccnz .LBB143_1710
; %bb.1709:
	v_add_f32_e64 v0, 0x42800000, |s5|
	s_mov_b32 s11, 0
	s_delay_alu instid0(VALU_DEP_1) | instskip(NEXT) | instid1(VALU_DEP_1)
	v_and_b32_e32 v0, 0xff, v0
	v_cmp_ne_u32_e64 s10, 0, v0
.LBB143_1710:
	v_mov_b32_e32 v1, s11
	s_delay_alu instid0(VALU_DEP_2)
	s_and_not1_b32 vcc_lo, exec_lo, s10
	s_cbranch_vccnz .LBB143_1712
; %bb.1711:
	s_lshr_b32 s5, s5, 24
	s_delay_alu instid0(SALU_CYCLE_1) | instskip(NEXT) | instid1(SALU_CYCLE_1)
	s_and_b32 s5, s5, 0x80
	v_or_b32_e32 v1, s5, v0
.LBB143_1712:
	s_mov_b32 s5, 0
	global_store_b8 v[5:6], v1, off
.LBB143_1713:
	s_and_b32 vcc_lo, exec_lo, s5
	s_cbranch_vccz .LBB143_1735
; %bb.1714:
	v_and_b32_e64 v0, 0xff, s6
	s_delay_alu instid0(VALU_DEP_1)
	v_cmp_gt_i16_e32 vcc_lo, 0x80, v0
	s_cbranch_vccnz .LBB143_1717
; %bb.1715:
	v_cmp_eq_u16_e32 vcc_lo, 0x80, v0
	s_cbranch_vccz .LBB143_1718
; %bb.1716:
	s_mov_b32 s10, 0
	s_mov_b32 s5, 0x7f800001
	s_branch .LBB143_1719
.LBB143_1717:
	s_mov_b32 s11, -1
	s_mov_b32 s10, 0
                                        ; implicit-def: $sgpr5
	s_branch .LBB143_1720
.LBB143_1718:
	s_mov_b32 s10, -1
                                        ; implicit-def: $sgpr5
.LBB143_1719:
	s_mov_b32 s11, 0
.LBB143_1720:
	s_delay_alu instid0(SALU_CYCLE_1)
	s_and_b32 vcc_lo, exec_lo, s11
	s_cbranch_vccz .LBB143_1725
; %bb.1721:
	v_cmp_ne_u16_e64 s10, 0, v0
	s_mov_b32 s5, 0
	s_delay_alu instid0(VALU_DEP_1)
	s_and_not1_b32 vcc_lo, exec_lo, s10
	s_cbranch_vccz .LBB143_1726
.LBB143_1722:
	s_and_b32 s10, s5, 0x7fffffff
	s_delay_alu instid0(SALU_CYCLE_1)
	s_cmp_lt_u32 s10, 0x43f00000
	s_cbranch_scc0 .LBB143_1727
.LBB143_1723:
	s_cmp_gt_u32 s10, 0x3c7fffff
	s_cbranch_scc0 .LBB143_1728
; %bb.1724:
	s_bfe_u32 s11, s5, 0x10014
	s_delay_alu instid0(SALU_CYCLE_1) | instskip(NEXT) | instid1(SALU_CYCLE_1)
	s_add_i32 s11, s5, s11
	s_add_i32 s11, s11, 0x407ffff
	s_delay_alu instid0(SALU_CYCLE_1)
	s_and_b32 s12, s11, 0xff00000
	s_lshr_b32 s11, s11, 20
	s_cmp_lg_u32 s12, 0x7f00000
	s_cselect_b32 s12, s11, 0x7e
	s_mov_b32 s11, 0
	s_branch .LBB143_1729
.LBB143_1725:
	s_and_not1_b32 vcc_lo, exec_lo, s10
	s_cbranch_vccnz .LBB143_1722
.LBB143_1726:
	v_lshrrev_b16 v0, 3, s6
	s_and_b32 s5, s6, 7
	s_lshl_b32 s13, s6, 24
	s_clz_i32_u32 s10, s5
	s_delay_alu instid0(SALU_CYCLE_1) | instskip(SKIP_4) | instid1(VALU_DEP_1)
	s_min_u32 s10, s10, 32
	v_readfirstlane_b32 s11, v0
	s_sub_i32 s12, s10, 28
	s_sub_i32 s10, 29, s10
	s_lshl_b32 s12, s6, s12
	s_and_b32 s11, s11, 15
	s_and_b32 s12, s12, 7
	s_cmp_eq_u32 s11, 0
	s_cselect_b32 s10, s10, s11
	s_cselect_b32 s5, s12, s5
	s_lshl_b32 s10, s10, 23
	s_and_b32 s11, s13, 0x80000000
	s_add_i32 s10, s10, 0x3b800000
	s_lshl_b32 s5, s5, 20
	s_or_b32 s10, s11, s10
	s_delay_alu instid0(SALU_CYCLE_1) | instskip(NEXT) | instid1(SALU_CYCLE_1)
	s_or_b32 s5, s10, s5
	s_and_b32 s10, s5, 0x7fffffff
	s_delay_alu instid0(SALU_CYCLE_1)
	s_cmp_lt_u32 s10, 0x43f00000
	s_cbranch_scc1 .LBB143_1723
.LBB143_1727:
	s_mov_b32 s11, -1
                                        ; implicit-def: $vgpr0
	s_branch .LBB143_1732
.LBB143_1728:
	s_mov_b32 s11, -1
                                        ; implicit-def: $sgpr12
.LBB143_1729:
	v_mov_b32_e32 v0, s12
	s_and_not1_b32 vcc_lo, exec_lo, s11
	s_cbranch_vccnz .LBB143_1731
; %bb.1730:
	v_add_f32_e64 v0, 0x46800000, |s5|
.LBB143_1731:
	s_mov_b32 s11, 0
.LBB143_1732:
	s_delay_alu instid0(SALU_CYCLE_1)
	s_and_not1_b32 vcc_lo, exec_lo, s11
	s_cbranch_vccnz .LBB143_1734
; %bb.1733:
	s_cmp_gt_u32 s10, 0x7f800000
	s_movk_i32 s10, 0x7f
	s_delay_alu instid0(SALU_CYCLE_1) | instskip(NEXT) | instid1(SALU_CYCLE_1)
	s_cselect_b32 s10, s10, 0x7e
	v_mov_b32_e32 v0, s10
.LBB143_1734:
	s_lshr_b32 s5, s5, 24
	s_delay_alu instid0(SALU_CYCLE_1)
	s_and_b32 s5, s5, 0x80
	s_delay_alu instid0(VALU_DEP_1) | instid1(SALU_CYCLE_1)
	v_or_b32_e32 v0, s5, v0
	global_store_b8 v[5:6], v0, off
.LBB143_1735:
	s_mov_b32 s5, 0
.LBB143_1736:
	s_delay_alu instid0(SALU_CYCLE_1)
	s_and_not1_b32 vcc_lo, exec_lo, s5
	s_cbranch_vccnz .LBB143_1758
; %bb.1737:
	v_and_b32_e64 v0, 0xff, s6
	s_delay_alu instid0(VALU_DEP_1)
	v_cmp_gt_i16_e32 vcc_lo, 0x80, v0
	s_cbranch_vccnz .LBB143_1740
; %bb.1738:
	v_cmp_eq_u16_e32 vcc_lo, 0x80, v0
	s_cbranch_vccz .LBB143_1741
; %bb.1739:
	s_mov_b32 s10, 0
	s_mov_b32 s5, 0x7f800001
	s_branch .LBB143_1742
.LBB143_1740:
	s_mov_b32 s11, -1
	s_mov_b32 s10, 0
                                        ; implicit-def: $sgpr5
	s_branch .LBB143_1743
.LBB143_1741:
	s_mov_b32 s10, -1
                                        ; implicit-def: $sgpr5
.LBB143_1742:
	s_mov_b32 s11, 0
.LBB143_1743:
	s_delay_alu instid0(SALU_CYCLE_1)
	s_and_b32 vcc_lo, exec_lo, s11
	s_cbranch_vccz .LBB143_1748
; %bb.1744:
	v_cmp_ne_u16_e64 s10, 0, v0
	s_mov_b32 s5, 0
	s_delay_alu instid0(VALU_DEP_1)
	s_and_not1_b32 vcc_lo, exec_lo, s10
	s_cbranch_vccz .LBB143_1749
.LBB143_1745:
	s_and_b32 s10, s5, 0x7fffffff
	s_delay_alu instid0(SALU_CYCLE_1)
	s_cmp_lt_u32 s10, 0x47800000
	s_cbranch_scc0 .LBB143_1750
.LBB143_1746:
	s_cmp_gt_u32 s10, 0x387fffff
	s_cbranch_scc0 .LBB143_1751
; %bb.1747:
	s_bfe_u32 s11, s5, 0x10015
	s_delay_alu instid0(SALU_CYCLE_1) | instskip(NEXT) | instid1(SALU_CYCLE_1)
	s_add_i32 s11, s5, s11
	s_add_i32 s11, s11, 0x80fffff
	s_delay_alu instid0(SALU_CYCLE_1)
	s_lshr_b32 s12, s11, 21
	s_mov_b32 s11, 0
	s_branch .LBB143_1752
.LBB143_1748:
	s_and_not1_b32 vcc_lo, exec_lo, s10
	s_cbranch_vccnz .LBB143_1745
.LBB143_1749:
	v_lshrrev_b16 v0, 3, s6
	s_and_b32 s5, s6, 7
	s_lshl_b32 s13, s6, 24
	s_clz_i32_u32 s10, s5
	s_delay_alu instid0(SALU_CYCLE_1) | instskip(SKIP_4) | instid1(VALU_DEP_1)
	s_min_u32 s10, s10, 32
	v_readfirstlane_b32 s11, v0
	s_sub_i32 s12, s10, 28
	s_sub_i32 s10, 29, s10
	s_lshl_b32 s12, s6, s12
	s_and_b32 s11, s11, 15
	s_and_b32 s12, s12, 7
	s_cmp_eq_u32 s11, 0
	s_cselect_b32 s10, s10, s11
	s_cselect_b32 s5, s12, s5
	s_lshl_b32 s10, s10, 23
	s_and_b32 s11, s13, 0x80000000
	s_add_i32 s10, s10, 0x3b800000
	s_lshl_b32 s5, s5, 20
	s_or_b32 s10, s11, s10
	s_delay_alu instid0(SALU_CYCLE_1) | instskip(NEXT) | instid1(SALU_CYCLE_1)
	s_or_b32 s5, s10, s5
	s_and_b32 s10, s5, 0x7fffffff
	s_delay_alu instid0(SALU_CYCLE_1)
	s_cmp_lt_u32 s10, 0x47800000
	s_cbranch_scc1 .LBB143_1746
.LBB143_1750:
	s_mov_b32 s11, -1
                                        ; implicit-def: $vgpr0
	s_branch .LBB143_1755
.LBB143_1751:
	s_mov_b32 s11, -1
                                        ; implicit-def: $sgpr12
.LBB143_1752:
	v_mov_b32_e32 v0, s12
	s_and_not1_b32 vcc_lo, exec_lo, s11
	s_cbranch_vccnz .LBB143_1754
; %bb.1753:
	v_add_f32_e64 v0, 0x43000000, |s5|
.LBB143_1754:
	s_mov_b32 s11, 0
.LBB143_1755:
	s_delay_alu instid0(SALU_CYCLE_1)
	s_and_not1_b32 vcc_lo, exec_lo, s11
	s_cbranch_vccnz .LBB143_1757
; %bb.1756:
	s_cmp_gt_u32 s10, 0x7f800000
	s_movk_i32 s10, 0x7f
	s_delay_alu instid0(SALU_CYCLE_1) | instskip(NEXT) | instid1(SALU_CYCLE_1)
	s_cselect_b32 s10, s10, 0x7c
	v_mov_b32_e32 v0, s10
.LBB143_1757:
	s_lshr_b32 s5, s5, 24
	s_delay_alu instid0(SALU_CYCLE_1)
	s_and_b32 s5, s5, 0x80
	s_delay_alu instid0(VALU_DEP_1) | instid1(SALU_CYCLE_1)
	v_or_b32_e32 v0, s5, v0
	global_store_b8 v[5:6], v0, off
.LBB143_1758:
	s_mov_b32 s10, 0
	s_mov_b32 s5, -1
.LBB143_1759:
	s_and_not1_b32 vcc_lo, exec_lo, s10
	s_mov_b32 s10, 0
	s_cbranch_vccnz .LBB143_1776
; %bb.1760:
	v_cmp_lt_i16_e32 vcc_lo, 14, v9
	s_mov_b32 s10, -1
	s_cbranch_vccz .LBB143_1774
; %bb.1761:
	v_cmp_eq_u16_e32 vcc_lo, 15, v9
	s_mov_b32 s4, -1
	s_cbranch_vccz .LBB143_1773
; %bb.1762:
	v_and_b32_e64 v0, 0xff, s6
	s_delay_alu instid0(VALU_DEP_1)
	v_cmp_gt_i16_e32 vcc_lo, 0x80, v0
	s_cbranch_vccnz .LBB143_1765
; %bb.1763:
	v_cmp_eq_u16_e32 vcc_lo, 0x80, v0
	s_cbranch_vccz .LBB143_1766
; %bb.1764:
	s_mov_b32 s5, 0
	s_mov_b32 s4, 0x7f800001
	s_branch .LBB143_1767
.LBB143_1765:
	s_mov_b32 s5, 0
                                        ; implicit-def: $sgpr4
	s_branch .LBB143_1768
.LBB143_1766:
	s_mov_b32 s5, -1
                                        ; implicit-def: $sgpr4
.LBB143_1767:
	s_mov_b32 s10, 0
.LBB143_1768:
	s_delay_alu instid0(SALU_CYCLE_1)
	s_and_b32 vcc_lo, exec_lo, s10
	s_cbranch_vccz .LBB143_1770
; %bb.1769:
	v_cmp_ne_u16_e64 s5, 0, v0
	s_mov_b32 s4, 0
.LBB143_1770:
	s_delay_alu instid0(VALU_DEP_1)
	s_and_not1_b32 vcc_lo, exec_lo, s5
	s_cbranch_vccnz .LBB143_1772
; %bb.1771:
	v_lshrrev_b16 v0, 3, s6
	s_and_b32 s4, s6, 7
	s_lshl_b32 s12, s6, 24
	s_clz_i32_u32 s5, s4
	s_delay_alu instid0(SALU_CYCLE_1) | instskip(SKIP_4) | instid1(VALU_DEP_1)
	s_min_u32 s5, s5, 32
	v_readfirstlane_b32 s10, v0
	s_sub_i32 s11, s5, 28
	s_sub_i32 s5, 29, s5
	s_lshl_b32 s11, s6, s11
	s_and_b32 s10, s10, 15
	s_and_b32 s11, s11, 7
	s_cmp_eq_u32 s10, 0
	s_cselect_b32 s5, s5, s10
	s_cselect_b32 s4, s11, s4
	s_lshl_b32 s5, s5, 23
	s_and_b32 s10, s12, 0x80000000
	s_add_i32 s5, s5, 0x3b800000
	s_lshl_b32 s4, s4, 20
	s_or_b32 s5, s10, s5
	s_delay_alu instid0(SALU_CYCLE_1)
	s_or_b32 s4, s5, s4
.LBB143_1772:
	s_delay_alu instid0(SALU_CYCLE_1) | instskip(NEXT) | instid1(SALU_CYCLE_1)
	s_bfe_u32 s5, s4, 0x10010
	s_add_i32 s5, s4, s5
	v_cmp_o_f32_e64 s4, s4, s4
	s_addk_i32 s5, 0x7fff
	s_delay_alu instid0(SALU_CYCLE_1) | instskip(NEXT) | instid1(VALU_DEP_1)
	s_lshr_b32 s5, s5, 16
	s_and_b32 s4, s4, exec_lo
	s_cselect_b32 s4, s5, 0x7fc0
	s_mov_b32 s5, -1
	v_mov_b32_e32 v0, s4
	s_mov_b32 s4, 0
	global_store_b16 v[5:6], v0, off
.LBB143_1773:
	s_mov_b32 s10, 0
.LBB143_1774:
	s_delay_alu instid0(SALU_CYCLE_1)
	s_and_b32 vcc_lo, exec_lo, s10
	s_mov_b32 s10, 0
	s_cbranch_vccz .LBB143_1776
; %bb.1775:
	v_cmp_ne_u16_e64 s4, 11, v9
	s_mov_b32 s10, -1
.LBB143_1776:
	s_delay_alu instid0(VALU_DEP_1)
	s_and_b32 vcc_lo, exec_lo, s4
	s_cbranch_vccnz .LBB143_1798
; %bb.1777:
	s_and_not1_b32 vcc_lo, exec_lo, s10
	s_cbranch_vccnz .LBB143_1789
.LBB143_1778:
	v_and_b32_e64 v0, 0xff, s6
	s_delay_alu instid0(VALU_DEP_1)
	v_cmp_gt_i16_e32 vcc_lo, 0x80, v0
	s_cbranch_vccnz .LBB143_1781
; %bb.1779:
	v_cmp_eq_u16_e32 vcc_lo, 0x80, v0
	s_cbranch_vccz .LBB143_1782
; %bb.1780:
	s_mov_b32 s5, 0
	s_mov_b32 s4, -1
	s_branch .LBB143_1783
.LBB143_1781:
	s_mov_b32 s10, -1
	s_mov_b32 s5, 0
                                        ; implicit-def: $sgpr4
	s_branch .LBB143_1784
.LBB143_1782:
	s_mov_b32 s5, -1
                                        ; implicit-def: $sgpr4
.LBB143_1783:
	s_mov_b32 s10, 0
.LBB143_1784:
	s_delay_alu instid0(SALU_CYCLE_1)
	s_and_b32 vcc_lo, exec_lo, s10
	s_cbranch_vccz .LBB143_1786
; %bb.1785:
	v_cmp_ne_u16_e64 s5, 0, v0
	s_mov_b32 s4, 0
.LBB143_1786:
	s_delay_alu instid0(VALU_DEP_1)
	s_and_not1_b32 vcc_lo, exec_lo, s5
	s_cbranch_vccnz .LBB143_1788
; %bb.1787:
	v_lshrrev_b16 v0, 3, s6
	s_and_b32 s4, s6, 7
	s_delay_alu instid0(SALU_CYCLE_1) | instskip(NEXT) | instid1(SALU_CYCLE_1)
	s_clz_i32_u32 s5, s4
	s_min_u32 s5, s5, 32
	s_delay_alu instid0(VALU_DEP_1) | instskip(SKIP_3) | instid1(VALU_DEP_1)
	v_readfirstlane_b32 s10, v0
	s_sub_i32 s11, s5, 28
	s_sub_i32 s5, 29, s5
	s_lshl_b32 s11, s6, s11
	s_and_b32 s10, s10, 15
	s_and_b32 s11, s11, 7
	s_cmp_eq_u32 s10, 0
	s_cselect_b32 s5, s5, s10
	s_cselect_b32 s4, s11, s4
	s_lshl_b32 s5, s5, 23
	s_lshl_b32 s4, s4, 20
	s_add_i32 s5, s5, 0x3b800000
	s_delay_alu instid0(SALU_CYCLE_1) | instskip(NEXT) | instid1(SALU_CYCLE_1)
	s_and_b32 s5, s5, 0x7f800000
	s_or_b32 s4, s5, s4
	s_delay_alu instid0(SALU_CYCLE_1)
	s_cmp_lg_u32 s4, 0
	s_cselect_b32 s4, -1, 0
.LBB143_1788:
	s_delay_alu instid0(SALU_CYCLE_1)
	v_cndmask_b32_e64 v0, 0, 1, s4
	s_mov_b32 s5, -1
	global_store_b8 v[5:6], v0, off
.LBB143_1789:
	s_mov_b32 s4, 0
.LBB143_1790:
	s_delay_alu instid0(SALU_CYCLE_1)
	s_and_b32 vcc_lo, exec_lo, s4
	s_cbranch_vccz .LBB143_1928
; %bb.1791:
	v_cmp_gt_i16_e32 vcc_lo, 5, v9
	s_mov_b32 s4, -1
	s_cbranch_vccnz .LBB143_1876
; %bb.1792:
	v_cmp_gt_i16_e32 vcc_lo, 8, v9
	s_cbranch_vccnz .LBB143_1836
; %bb.1793:
	v_cmp_gt_i16_e32 vcc_lo, 9, v9
	s_cbranch_vccnz .LBB143_1823
; %bb.1794:
	v_cmp_lt_i16_e32 vcc_lo, 9, v9
	s_cbranch_vccz .LBB143_1810
; %bb.1795:
	v_and_b32_e64 v0, 0xff, s6
	s_delay_alu instid0(VALU_DEP_1)
	v_cmp_gt_i16_e32 vcc_lo, 0x80, v0
	s_cbranch_vccnz .LBB143_1800
; %bb.1796:
	v_cmp_eq_u16_e32 vcc_lo, 0x80, v0
	s_cbranch_vccz .LBB143_1803
; %bb.1797:
	s_mov_b32 s10, 0
	s_mov_b32 s5, 0x7ff80000
	s_brev_b32 s4, 4
	s_branch .LBB143_1804
.LBB143_1798:
	s_cbranch_execnz .LBB143_1801
; %bb.1799:
	s_or_b32 s7, s7, exec_lo
	s_cbranch_execz .LBB143_1778
	s_branch .LBB143_1789
.LBB143_1800:
	s_mov_b32 s11, -1
	s_mov_b32 s10, 0
                                        ; implicit-def: $sgpr4_sgpr5
	s_branch .LBB143_1805
.LBB143_1801:
	s_trap 2
	s_sendmsg_rtn_b32 s0, sendmsg(MSG_RTN_GET_DOORBELL)
	s_mov_b32 ttmp2, m0
	s_waitcnt lgkmcnt(0)
	s_and_b32 s0, s0, 0x3ff
	s_delay_alu instid0(SALU_CYCLE_1) | instskip(NEXT) | instid1(SALU_CYCLE_1)
	s_bitset1_b32 s0, 10
	s_mov_b32 m0, s0
	s_sendmsg sendmsg(MSG_INTERRUPT)
	s_mov_b32 m0, ttmp2
.LBB143_1802:                           ; =>This Inner Loop Header: Depth=1
	s_sethalt 5
	s_branch .LBB143_1802
.LBB143_1803:
	s_mov_b32 s10, -1
                                        ; implicit-def: $sgpr4_sgpr5
.LBB143_1804:
	s_mov_b32 s11, 0
.LBB143_1805:
	s_delay_alu instid0(SALU_CYCLE_1)
	s_and_b32 vcc_lo, exec_lo, s11
	s_cbranch_vccz .LBB143_1807
; %bb.1806:
	v_cmp_ne_u16_e64 s10, 0, v0
	s_mov_b64 s[4:5], 0
.LBB143_1807:
	s_delay_alu instid0(SALU_CYCLE_1) | instskip(NEXT) | instid1(VALU_DEP_2)
	v_dual_mov_b32 v0, s4 :: v_dual_mov_b32 v1, s5
	s_and_not1_b32 vcc_lo, exec_lo, s10
	s_cbranch_vccnz .LBB143_1809
; %bb.1808:
	v_lshrrev_b16 v0, 3, s6
	s_and_b32 s4, s6, 7
	s_lshl_b32 s12, s6, 24
	s_clz_i32_u32 s5, s4
	s_delay_alu instid0(SALU_CYCLE_1) | instskip(SKIP_4) | instid1(VALU_DEP_1)
	s_min_u32 s5, s5, 32
	v_readfirstlane_b32 s10, v0
	s_sub_i32 s11, s5, 28
	s_sub_i32 s5, 29, s5
	s_lshl_b32 s11, s6, s11
	s_and_b32 s10, s10, 15
	s_and_b32 s11, s11, 7
	s_cmp_eq_u32 s10, 0
	s_cselect_b32 s5, s5, s10
	s_cselect_b32 s4, s11, s4
	s_lshl_b32 s5, s5, 23
	s_and_b32 s10, s12, 0x80000000
	s_add_i32 s5, s5, 0x3b800000
	s_lshl_b32 s4, s4, 20
	s_or_b32 s5, s10, s5
	s_delay_alu instid0(SALU_CYCLE_1) | instskip(NEXT) | instid1(SALU_CYCLE_1)
	s_or_b32 s4, s5, s4
	v_cvt_f64_f32_e32 v[0:1], s4
.LBB143_1809:
	v_mov_b32_e32 v2, 0
	s_mov_b32 s4, 0
	s_delay_alu instid0(VALU_DEP_1)
	v_mov_b32_e32 v3, v2
	global_store_b128 v[5:6], v[0:3], off
.LBB143_1810:
	s_and_b32 vcc_lo, exec_lo, s4
	s_cbranch_vccz .LBB143_1822
; %bb.1811:
	v_and_b32_e64 v1, 0xff, s6
	s_delay_alu instid0(VALU_DEP_1)
	v_cmp_gt_i16_e32 vcc_lo, 0x80, v1
	s_cbranch_vccnz .LBB143_1814
; %bb.1812:
	v_cmp_eq_u16_e32 vcc_lo, 0x80, v1
	s_cbranch_vccz .LBB143_1815
; %bb.1813:
	s_mov_b32 s4, 0
	s_mov_b32 s5, 0x7f800001
	s_branch .LBB143_1816
.LBB143_1814:
	s_mov_b32 s10, -1
	s_mov_b32 s4, 0
                                        ; implicit-def: $sgpr5
	s_branch .LBB143_1817
.LBB143_1815:
	s_mov_b32 s4, -1
                                        ; implicit-def: $sgpr5
.LBB143_1816:
	s_mov_b32 s10, 0
.LBB143_1817:
	v_mov_b32_e32 v0, s5
	s_and_b32 vcc_lo, exec_lo, s10
	s_cbranch_vccz .LBB143_1819
; %bb.1818:
	v_and_b32_e32 v0, 0xffff, v1
	v_cmp_ne_u16_e64 s4, 0, v1
.LBB143_1819:
	s_delay_alu instid0(VALU_DEP_1)
	s_and_not1_b32 vcc_lo, exec_lo, s4
	s_cbranch_vccnz .LBB143_1821
; %bb.1820:
	v_lshrrev_b16 v0, 3, s6
	s_and_b32 s4, s6, 7
	s_lshl_b32 s12, s6, 24
	s_clz_i32_u32 s5, s4
	s_delay_alu instid0(SALU_CYCLE_1) | instskip(SKIP_4) | instid1(VALU_DEP_1)
	s_min_u32 s5, s5, 32
	v_readfirstlane_b32 s10, v0
	s_sub_i32 s11, s5, 28
	s_sub_i32 s5, 29, s5
	s_lshl_b32 s11, s6, s11
	s_and_b32 s10, s10, 15
	s_and_b32 s11, s11, 7
	s_cmp_eq_u32 s10, 0
	s_cselect_b32 s5, s5, s10
	s_cselect_b32 s4, s11, s4
	s_lshl_b32 s5, s5, 23
	s_and_b32 s10, s12, 0x80000000
	s_add_i32 s5, s5, 0x3b800000
	s_lshl_b32 s4, s4, 20
	s_or_b32 s5, s10, s5
	s_delay_alu instid0(SALU_CYCLE_1) | instskip(NEXT) | instid1(SALU_CYCLE_1)
	s_or_b32 s4, s5, s4
	v_mov_b32_e32 v0, s4
.LBB143_1821:
	v_mov_b32_e32 v1, 0
	global_store_b64 v[5:6], v[0:1], off
.LBB143_1822:
	s_mov_b32 s4, 0
.LBB143_1823:
	s_delay_alu instid0(SALU_CYCLE_1)
	s_and_not1_b32 vcc_lo, exec_lo, s4
	s_cbranch_vccnz .LBB143_1835
; %bb.1824:
	v_and_b32_e64 v0, 0xff, s6
	s_delay_alu instid0(VALU_DEP_1)
	v_cmp_gt_i16_e32 vcc_lo, 0x80, v0
	s_cbranch_vccnz .LBB143_1827
; %bb.1825:
	v_cmp_eq_u16_e32 vcc_lo, 0x80, v0
	s_cbranch_vccz .LBB143_1828
; %bb.1826:
	s_mov_b32 s4, 0
	s_movk_i32 s5, 0x7e00
	s_branch .LBB143_1829
.LBB143_1827:
	s_mov_b32 s10, -1
	s_mov_b32 s4, 0
                                        ; implicit-def: $sgpr5
	s_branch .LBB143_1830
.LBB143_1828:
	s_mov_b32 s4, -1
                                        ; implicit-def: $sgpr5
.LBB143_1829:
	s_mov_b32 s10, 0
.LBB143_1830:
	v_mov_b32_e32 v1, s5
	s_and_b32 vcc_lo, exec_lo, s10
	s_cbranch_vccz .LBB143_1832
; %bb.1831:
	v_and_b32_e32 v1, 0xffff, v0
	v_cmp_ne_u16_e64 s4, 0, v0
.LBB143_1832:
	s_delay_alu instid0(VALU_DEP_1)
	s_and_not1_b32 vcc_lo, exec_lo, s4
	s_cbranch_vccnz .LBB143_1834
; %bb.1833:
	v_lshrrev_b16 v0, 3, s6
	s_and_b32 s4, s6, 7
	s_lshl_b32 s12, s6, 24
	s_clz_i32_u32 s5, s4
	s_delay_alu instid0(SALU_CYCLE_1) | instskip(SKIP_4) | instid1(VALU_DEP_1)
	s_min_u32 s5, s5, 32
	v_readfirstlane_b32 s10, v0
	s_sub_i32 s11, s5, 28
	s_sub_i32 s5, 29, s5
	s_lshl_b32 s11, s6, s11
	s_and_b32 s10, s10, 15
	s_and_b32 s11, s11, 7
	s_cmp_eq_u32 s10, 0
	s_cselect_b32 s5, s5, s10
	s_cselect_b32 s4, s11, s4
	s_lshl_b32 s5, s5, 23
	s_and_b32 s10, s12, 0x80000000
	s_add_i32 s5, s5, 0x3b800000
	s_lshl_b32 s4, s4, 20
	s_or_b32 s5, s10, s5
	s_delay_alu instid0(SALU_CYCLE_1) | instskip(NEXT) | instid1(SALU_CYCLE_1)
	s_or_b32 s4, s5, s4
	v_cvt_f16_f32_e32 v0, s4
	s_delay_alu instid0(VALU_DEP_1)
	v_and_b32_e32 v1, 0xffff, v0
.LBB143_1834:
	global_store_b32 v[5:6], v1, off
.LBB143_1835:
	s_mov_b32 s4, 0
.LBB143_1836:
	s_delay_alu instid0(SALU_CYCLE_1)
	s_and_not1_b32 vcc_lo, exec_lo, s4
	s_cbranch_vccnz .LBB143_1875
; %bb.1837:
	v_cmp_gt_i16_e32 vcc_lo, 6, v9
	s_mov_b32 s4, -1
	s_cbranch_vccnz .LBB143_1863
; %bb.1838:
	v_cmp_lt_i16_e32 vcc_lo, 6, v9
	s_cbranch_vccz .LBB143_1850
; %bb.1839:
	v_and_b32_e64 v0, 0xff, s6
	s_delay_alu instid0(VALU_DEP_1)
	v_cmp_gt_i16_e32 vcc_lo, 0x80, v0
	s_cbranch_vccnz .LBB143_1842
; %bb.1840:
	v_cmp_eq_u16_e32 vcc_lo, 0x80, v0
	s_cbranch_vccz .LBB143_1843
; %bb.1841:
	s_mov_b32 s10, 0
	s_mov_b32 s5, 0x7ff80000
	s_brev_b32 s4, 4
	s_branch .LBB143_1844
.LBB143_1842:
	s_mov_b32 s11, -1
	s_mov_b32 s10, 0
                                        ; implicit-def: $sgpr4_sgpr5
	s_branch .LBB143_1845
.LBB143_1843:
	s_mov_b32 s10, -1
                                        ; implicit-def: $sgpr4_sgpr5
.LBB143_1844:
	s_mov_b32 s11, 0
.LBB143_1845:
	s_delay_alu instid0(SALU_CYCLE_1)
	s_and_b32 vcc_lo, exec_lo, s11
	s_cbranch_vccz .LBB143_1847
; %bb.1846:
	v_cmp_ne_u16_e64 s10, 0, v0
	s_mov_b64 s[4:5], 0
.LBB143_1847:
	s_delay_alu instid0(SALU_CYCLE_1) | instskip(NEXT) | instid1(VALU_DEP_2)
	v_dual_mov_b32 v0, s4 :: v_dual_mov_b32 v1, s5
	s_and_not1_b32 vcc_lo, exec_lo, s10
	s_cbranch_vccnz .LBB143_1849
; %bb.1848:
	v_lshrrev_b16 v0, 3, s6
	s_and_b32 s4, s6, 7
	s_lshl_b32 s12, s6, 24
	s_clz_i32_u32 s5, s4
	s_delay_alu instid0(SALU_CYCLE_1) | instskip(SKIP_4) | instid1(VALU_DEP_1)
	s_min_u32 s5, s5, 32
	v_readfirstlane_b32 s10, v0
	s_sub_i32 s11, s5, 28
	s_sub_i32 s5, 29, s5
	s_lshl_b32 s11, s6, s11
	s_and_b32 s10, s10, 15
	s_and_b32 s11, s11, 7
	s_cmp_eq_u32 s10, 0
	s_cselect_b32 s5, s5, s10
	s_cselect_b32 s4, s11, s4
	s_lshl_b32 s5, s5, 23
	s_and_b32 s10, s12, 0x80000000
	s_add_i32 s5, s5, 0x3b800000
	s_lshl_b32 s4, s4, 20
	s_or_b32 s5, s10, s5
	s_delay_alu instid0(SALU_CYCLE_1) | instskip(NEXT) | instid1(SALU_CYCLE_1)
	s_or_b32 s4, s5, s4
	v_cvt_f64_f32_e32 v[0:1], s4
.LBB143_1849:
	s_mov_b32 s4, 0
	global_store_b64 v[5:6], v[0:1], off
.LBB143_1850:
	s_and_b32 vcc_lo, exec_lo, s4
	s_cbranch_vccz .LBB143_1862
; %bb.1851:
	v_and_b32_e64 v0, 0xff, s6
	s_delay_alu instid0(VALU_DEP_1)
	v_cmp_gt_i16_e32 vcc_lo, 0x80, v0
	s_cbranch_vccnz .LBB143_1854
; %bb.1852:
	v_cmp_eq_u16_e32 vcc_lo, 0x80, v0
	s_cbranch_vccz .LBB143_1855
; %bb.1853:
	s_mov_b32 s4, 0
	s_mov_b32 s5, 0x7f800001
	s_branch .LBB143_1856
.LBB143_1854:
	s_mov_b32 s10, -1
	s_mov_b32 s4, 0
                                        ; implicit-def: $sgpr5
	s_branch .LBB143_1857
.LBB143_1855:
	s_mov_b32 s4, -1
                                        ; implicit-def: $sgpr5
.LBB143_1856:
	s_mov_b32 s10, 0
.LBB143_1857:
	v_mov_b32_e32 v1, s5
	s_and_b32 vcc_lo, exec_lo, s10
	s_cbranch_vccz .LBB143_1859
; %bb.1858:
	v_and_b32_e32 v1, 0xffff, v0
	v_cmp_ne_u16_e64 s4, 0, v0
.LBB143_1859:
	s_delay_alu instid0(VALU_DEP_1)
	s_and_not1_b32 vcc_lo, exec_lo, s4
	s_cbranch_vccnz .LBB143_1861
; %bb.1860:
	v_lshrrev_b16 v0, 3, s6
	s_and_b32 s4, s6, 7
	s_lshl_b32 s12, s6, 24
	s_clz_i32_u32 s5, s4
	s_delay_alu instid0(SALU_CYCLE_1) | instskip(SKIP_4) | instid1(VALU_DEP_1)
	s_min_u32 s5, s5, 32
	v_readfirstlane_b32 s10, v0
	s_sub_i32 s11, s5, 28
	s_sub_i32 s5, 29, s5
	s_lshl_b32 s11, s6, s11
	s_and_b32 s10, s10, 15
	s_and_b32 s11, s11, 7
	s_cmp_eq_u32 s10, 0
	s_cselect_b32 s5, s5, s10
	s_cselect_b32 s4, s11, s4
	s_lshl_b32 s5, s5, 23
	s_and_b32 s10, s12, 0x80000000
	s_add_i32 s5, s5, 0x3b800000
	s_lshl_b32 s4, s4, 20
	s_or_b32 s5, s10, s5
	s_delay_alu instid0(SALU_CYCLE_1) | instskip(NEXT) | instid1(SALU_CYCLE_1)
	s_or_b32 s4, s5, s4
	v_mov_b32_e32 v1, s4
.LBB143_1861:
	global_store_b32 v[5:6], v1, off
.LBB143_1862:
	s_mov_b32 s4, 0
.LBB143_1863:
	s_delay_alu instid0(SALU_CYCLE_1)
	s_and_not1_b32 vcc_lo, exec_lo, s4
	s_cbranch_vccnz .LBB143_1875
; %bb.1864:
	v_and_b32_e64 v0, 0xff, s6
	s_delay_alu instid0(VALU_DEP_1)
	v_cmp_gt_i16_e32 vcc_lo, 0x80, v0
	s_cbranch_vccnz .LBB143_1867
; %bb.1865:
	v_cmp_eq_u16_e32 vcc_lo, 0x80, v0
	s_cbranch_vccz .LBB143_1868
; %bb.1866:
	s_mov_b32 s4, 0
	s_movk_i32 s5, 0x7e00
	s_branch .LBB143_1869
.LBB143_1867:
	s_mov_b32 s10, -1
	s_mov_b32 s4, 0
                                        ; implicit-def: $sgpr5
	s_branch .LBB143_1870
.LBB143_1868:
	s_mov_b32 s4, -1
                                        ; implicit-def: $sgpr5
.LBB143_1869:
	s_mov_b32 s10, 0
.LBB143_1870:
	v_mov_b32_e32 v1, s5
	s_and_b32 vcc_lo, exec_lo, s10
	s_cbranch_vccz .LBB143_1872
; %bb.1871:
	v_cmp_ne_u16_e64 s4, 0, v0
	v_mov_b32_e32 v1, v0
.LBB143_1872:
	s_delay_alu instid0(VALU_DEP_2)
	s_and_not1_b32 vcc_lo, exec_lo, s4
	s_cbranch_vccnz .LBB143_1874
; %bb.1873:
	v_lshrrev_b16 v0, 3, s6
	s_and_b32 s4, s6, 7
	s_lshl_b32 s12, s6, 24
	s_clz_i32_u32 s5, s4
	s_delay_alu instid0(SALU_CYCLE_1) | instskip(SKIP_4) | instid1(VALU_DEP_1)
	s_min_u32 s5, s5, 32
	v_readfirstlane_b32 s10, v0
	s_sub_i32 s11, s5, 28
	s_sub_i32 s5, 29, s5
	s_lshl_b32 s11, s6, s11
	s_and_b32 s10, s10, 15
	s_and_b32 s11, s11, 7
	s_cmp_eq_u32 s10, 0
	s_cselect_b32 s5, s5, s10
	s_cselect_b32 s4, s11, s4
	s_lshl_b32 s5, s5, 23
	s_and_b32 s10, s12, 0x80000000
	s_add_i32 s5, s5, 0x3b800000
	s_lshl_b32 s4, s4, 20
	s_or_b32 s5, s10, s5
	s_delay_alu instid0(SALU_CYCLE_1) | instskip(NEXT) | instid1(SALU_CYCLE_1)
	s_or_b32 s4, s5, s4
	v_cvt_f16_f32_e32 v1, s4
.LBB143_1874:
	global_store_b16 v[5:6], v1, off
.LBB143_1875:
	s_mov_b32 s4, 0
.LBB143_1876:
	s_delay_alu instid0(SALU_CYCLE_1)
	s_and_not1_b32 vcc_lo, exec_lo, s4
	s_cbranch_vccnz .LBB143_1927
; %bb.1877:
	v_cmp_gt_i16_e32 vcc_lo, 2, v9
	s_mov_b32 s4, -1
	s_cbranch_vccnz .LBB143_1908
; %bb.1878:
	v_cmp_gt_i16_e32 vcc_lo, 3, v9
	s_cbranch_vccnz .LBB143_1898
; %bb.1879:
	v_cmp_lt_i16_e32 vcc_lo, 3, v9
	s_cbranch_vccz .LBB143_1888
; %bb.1880:
	v_and_b32_e64 v0, 0xff, s6
	s_delay_alu instid0(VALU_DEP_1)
	v_cmp_gt_i16_e32 vcc_lo, 0x80, v0
	s_cbranch_vccnz .LBB143_1882
; %bb.1881:
	v_cmp_ne_u16_e64 s10, 0x80, v0
	s_mov_b32 s11, 0
	s_mov_b64 s[4:5], 0
	s_branch .LBB143_1883
.LBB143_1882:
	s_mov_b32 s11, -1
	s_mov_b32 s10, 0
                                        ; implicit-def: $sgpr4_sgpr5
.LBB143_1883:
	s_and_not1_b32 vcc_lo, exec_lo, s11
	s_cbranch_vccnz .LBB143_1885
; %bb.1884:
	v_cmp_ne_u16_e64 s10, 0, v0
	s_mov_b64 s[4:5], 0
.LBB143_1885:
	s_delay_alu instid0(SALU_CYCLE_1) | instskip(NEXT) | instid1(VALU_DEP_2)
	v_dual_mov_b32 v0, s4 :: v_dual_mov_b32 v1, s5
	s_and_not1_b32 vcc_lo, exec_lo, s10
	s_cbranch_vccnz .LBB143_1887
; %bb.1886:
	v_lshrrev_b16 v0, 3, s6
	s_and_b32 s4, s6, 7
	s_lshl_b32 s11, s6, 24
	s_clz_i32_u32 s5, s4
	s_delay_alu instid0(SALU_CYCLE_1) | instskip(SKIP_4) | instid1(VALU_DEP_1)
	s_min_u32 s5, s5, 32
	v_readfirstlane_b32 s10, v0
	s_sub_i32 s12, s5, 28
	s_sub_i32 s5, 29, s5
	s_lshl_b32 s12, s6, s12
	s_and_b32 s10, s10, 15
	s_and_b32 s12, s12, 7
	s_cmp_eq_u32 s10, 0
	s_cselect_b32 s5, s5, s10
	s_cselect_b32 s4, s12, s4
	s_lshl_b32 s5, s5, 23
	s_and_b32 s10, s11, 0x80000000
	s_add_i32 s5, s5, 0x3b800000
	s_lshl_b32 s4, s4, 20
	s_or_b32 s5, s10, s5
	s_delay_alu instid0(SALU_CYCLE_1) | instskip(NEXT) | instid1(SALU_CYCLE_1)
	s_or_b32 s4, s5, s4
	v_trunc_f32_e32 v0, s4
	s_delay_alu instid0(VALU_DEP_1) | instskip(SKIP_1) | instid1(VALU_DEP_2)
	v_mul_f32_e64 v1, 0x2f800000, |v0|
	v_ashrrev_i32_e32 v3, 31, v0
	v_floor_f32_e32 v1, v1
	s_delay_alu instid0(VALU_DEP_1) | instskip(SKIP_1) | instid1(VALU_DEP_2)
	v_fma_f32 v2, 0xcf800000, v1, |v0|
	v_cvt_u32_f32_e32 v1, v1
	v_cvt_u32_f32_e32 v0, v2
	s_delay_alu instid0(VALU_DEP_2) | instskip(NEXT) | instid1(VALU_DEP_2)
	v_xor_b32_e32 v1, v1, v3
	v_xor_b32_e32 v0, v0, v3
	s_delay_alu instid0(VALU_DEP_1) | instskip(NEXT) | instid1(VALU_DEP_3)
	v_sub_co_u32 v0, vcc_lo, v0, v3
	v_sub_co_ci_u32_e32 v1, vcc_lo, v1, v3, vcc_lo
.LBB143_1887:
	s_mov_b32 s4, 0
	global_store_b64 v[5:6], v[0:1], off
.LBB143_1888:
	s_and_b32 vcc_lo, exec_lo, s4
	s_cbranch_vccz .LBB143_1897
; %bb.1889:
	v_and_b32_e64 v0, 0xff, s6
	s_delay_alu instid0(VALU_DEP_1)
	v_cmp_gt_i16_e32 vcc_lo, 0x80, v0
	s_cbranch_vccnz .LBB143_1891
; %bb.1890:
	v_cmp_ne_u16_e64 s4, 0x80, v0
	s_mov_b32 s10, 0
	s_mov_b32 s5, 0
	s_branch .LBB143_1892
.LBB143_1891:
	s_mov_b32 s10, -1
	s_mov_b32 s4, 0
                                        ; implicit-def: $sgpr5
.LBB143_1892:
	s_and_not1_b32 vcc_lo, exec_lo, s10
	s_cbranch_vccnz .LBB143_1894
; %bb.1893:
	v_cmp_ne_u16_e64 s4, 0, v0
	s_mov_b32 s5, 0
.LBB143_1894:
	s_delay_alu instid0(SALU_CYCLE_1) | instskip(NEXT) | instid1(VALU_DEP_2)
	v_mov_b32_e32 v0, s5
	s_and_not1_b32 vcc_lo, exec_lo, s4
	s_cbranch_vccnz .LBB143_1896
; %bb.1895:
	v_lshrrev_b16 v0, 3, s6
	s_and_b32 s4, s6, 7
	s_lshl_b32 s12, s6, 24
	s_clz_i32_u32 s5, s4
	s_delay_alu instid0(SALU_CYCLE_1) | instskip(SKIP_4) | instid1(VALU_DEP_1)
	s_min_u32 s5, s5, 32
	v_readfirstlane_b32 s10, v0
	s_sub_i32 s11, s5, 28
	s_sub_i32 s5, 29, s5
	s_lshl_b32 s11, s6, s11
	s_and_b32 s10, s10, 15
	s_and_b32 s11, s11, 7
	s_cmp_eq_u32 s10, 0
	s_cselect_b32 s5, s5, s10
	s_cselect_b32 s4, s11, s4
	s_lshl_b32 s5, s5, 23
	s_and_b32 s10, s12, 0x80000000
	s_add_i32 s5, s5, 0x3b800000
	s_lshl_b32 s4, s4, 20
	s_or_b32 s5, s10, s5
	s_delay_alu instid0(SALU_CYCLE_1) | instskip(NEXT) | instid1(SALU_CYCLE_1)
	s_or_b32 s4, s5, s4
	v_cvt_i32_f32_e32 v0, s4
.LBB143_1896:
	global_store_b32 v[5:6], v0, off
.LBB143_1897:
	s_mov_b32 s4, 0
.LBB143_1898:
	s_delay_alu instid0(SALU_CYCLE_1)
	s_and_not1_b32 vcc_lo, exec_lo, s4
	s_cbranch_vccnz .LBB143_1907
; %bb.1899:
	v_and_b32_e64 v0, 0xff, s6
	s_delay_alu instid0(VALU_DEP_1)
	v_cmp_gt_i16_e32 vcc_lo, 0x80, v0
	s_cbranch_vccnz .LBB143_1901
; %bb.1900:
	v_cmp_ne_u16_e64 s4, 0x80, v0
	s_mov_b32 s10, 0
	s_mov_b32 s5, 0
	s_branch .LBB143_1902
.LBB143_1901:
	s_mov_b32 s10, -1
	s_mov_b32 s4, 0
                                        ; implicit-def: $sgpr5
.LBB143_1902:
	s_and_not1_b32 vcc_lo, exec_lo, s10
	s_cbranch_vccnz .LBB143_1904
; %bb.1903:
	v_cmp_ne_u16_e64 s4, 0, v0
	s_mov_b32 s5, 0
.LBB143_1904:
	s_delay_alu instid0(SALU_CYCLE_1) | instskip(NEXT) | instid1(VALU_DEP_2)
	v_mov_b32_e32 v0, s5
	s_and_not1_b32 vcc_lo, exec_lo, s4
	s_cbranch_vccnz .LBB143_1906
; %bb.1905:
	v_lshrrev_b16 v0, 3, s6
	s_and_b32 s4, s6, 7
	s_lshl_b32 s12, s6, 24
	s_clz_i32_u32 s5, s4
	s_delay_alu instid0(SALU_CYCLE_1) | instskip(SKIP_4) | instid1(VALU_DEP_1)
	s_min_u32 s5, s5, 32
	v_readfirstlane_b32 s10, v0
	s_sub_i32 s11, s5, 28
	s_sub_i32 s5, 29, s5
	s_lshl_b32 s11, s6, s11
	s_and_b32 s10, s10, 15
	s_and_b32 s11, s11, 7
	s_cmp_eq_u32 s10, 0
	s_cselect_b32 s5, s5, s10
	s_cselect_b32 s4, s11, s4
	s_lshl_b32 s5, s5, 23
	s_and_b32 s10, s12, 0x80000000
	s_add_i32 s5, s5, 0x3b800000
	s_lshl_b32 s4, s4, 20
	s_or_b32 s5, s10, s5
	s_delay_alu instid0(SALU_CYCLE_1) | instskip(NEXT) | instid1(SALU_CYCLE_1)
	s_or_b32 s4, s5, s4
	v_cvt_i32_f32_e32 v0, s4
.LBB143_1906:
	global_store_b16 v[5:6], v0, off
.LBB143_1907:
	s_mov_b32 s4, 0
.LBB143_1908:
	s_delay_alu instid0(SALU_CYCLE_1)
	s_and_not1_b32 vcc_lo, exec_lo, s4
	s_cbranch_vccnz .LBB143_1927
; %bb.1909:
	v_cmp_lt_i16_e32 vcc_lo, 0, v9
	s_mov_b32 s4, 0
	s_mov_b32 s5, -1
	s_cbranch_vccz .LBB143_1918
; %bb.1910:
	v_and_b32_e64 v0, 0xff, s6
	s_delay_alu instid0(VALU_DEP_1)
	v_cmp_gt_i16_e32 vcc_lo, 0x80, v0
	s_cbranch_vccnz .LBB143_1912
; %bb.1911:
	v_cmp_ne_u16_e64 s4, 0x80, v0
	s_mov_b32 s10, 0
	s_mov_b32 s5, 0
	s_branch .LBB143_1913
.LBB143_1912:
	s_mov_b32 s10, -1
                                        ; implicit-def: $sgpr5
.LBB143_1913:
	s_delay_alu instid0(SALU_CYCLE_1)
	s_and_not1_b32 vcc_lo, exec_lo, s10
	s_cbranch_vccnz .LBB143_1915
; %bb.1914:
	v_cmp_ne_u16_e64 s4, 0, v0
	s_mov_b32 s5, 0
.LBB143_1915:
	s_delay_alu instid0(SALU_CYCLE_1) | instskip(NEXT) | instid1(VALU_DEP_2)
	v_mov_b32_e32 v0, s5
	s_and_not1_b32 vcc_lo, exec_lo, s4
	s_cbranch_vccnz .LBB143_1917
; %bb.1916:
	v_lshrrev_b16 v0, 3, s6
	s_and_b32 s4, s6, 7
	s_lshl_b32 s12, s6, 24
	s_clz_i32_u32 s5, s4
	s_delay_alu instid0(SALU_CYCLE_1) | instskip(SKIP_4) | instid1(VALU_DEP_1)
	s_min_u32 s5, s5, 32
	v_readfirstlane_b32 s10, v0
	s_sub_i32 s11, s5, 28
	s_sub_i32 s5, 29, s5
	s_lshl_b32 s11, s6, s11
	s_and_b32 s10, s10, 15
	s_and_b32 s11, s11, 7
	s_cmp_eq_u32 s10, 0
	s_cselect_b32 s5, s5, s10
	s_cselect_b32 s4, s11, s4
	s_lshl_b32 s5, s5, 23
	s_and_b32 s10, s12, 0x80000000
	s_add_i32 s5, s5, 0x3b800000
	s_lshl_b32 s4, s4, 20
	s_or_b32 s5, s10, s5
	s_delay_alu instid0(SALU_CYCLE_1) | instskip(NEXT) | instid1(SALU_CYCLE_1)
	s_or_b32 s4, s5, s4
	v_cvt_i32_f32_e32 v0, s4
.LBB143_1917:
	s_mov_b32 s5, 0
	global_store_b8 v[5:6], v0, off
.LBB143_1918:
	s_and_b32 vcc_lo, exec_lo, s5
	s_cbranch_vccz .LBB143_1927
; %bb.1919:
	v_and_b32_e64 v0, 0xff, s6
	s_delay_alu instid0(VALU_DEP_1)
	v_cmp_gt_i16_e32 vcc_lo, 0x80, v0
	s_cbranch_vccnz .LBB143_1921
; %bb.1920:
	v_cmp_ne_u16_e64 s4, 0x80, v0
	s_mov_b32 s10, 0
	s_mov_b32 s5, 0
	s_branch .LBB143_1922
.LBB143_1921:
	s_mov_b32 s10, -1
	s_mov_b32 s4, 0
                                        ; implicit-def: $sgpr5
.LBB143_1922:
	s_and_not1_b32 vcc_lo, exec_lo, s10
	s_cbranch_vccnz .LBB143_1924
; %bb.1923:
	v_cmp_ne_u16_e64 s4, 0, v0
	s_mov_b32 s5, 0
.LBB143_1924:
	s_delay_alu instid0(SALU_CYCLE_1) | instskip(NEXT) | instid1(VALU_DEP_2)
	v_mov_b32_e32 v0, s5
	s_and_not1_b32 vcc_lo, exec_lo, s4
	s_cbranch_vccnz .LBB143_1926
; %bb.1925:
	v_lshrrev_b16 v0, 3, s6
	s_and_b32 s4, s6, 7
	s_lshl_b32 s11, s6, 24
	s_clz_i32_u32 s5, s4
	s_delay_alu instid0(SALU_CYCLE_1) | instskip(SKIP_4) | instid1(VALU_DEP_1)
	s_min_u32 s5, s5, 32
	v_readfirstlane_b32 s10, v0
	s_sub_i32 s12, s5, 28
	s_sub_i32 s5, 29, s5
	s_lshl_b32 s12, s6, s12
	s_and_b32 s10, s10, 15
	s_and_b32 s12, s12, 7
	s_cmp_eq_u32 s10, 0
	s_cselect_b32 s5, s5, s10
	s_cselect_b32 s4, s12, s4
	s_lshl_b32 s5, s5, 23
	s_and_b32 s10, s11, 0x80000000
	s_add_i32 s5, s5, 0x3b800000
	s_lshl_b32 s4, s4, 20
	s_or_b32 s5, s10, s5
	s_delay_alu instid0(SALU_CYCLE_1) | instskip(NEXT) | instid1(SALU_CYCLE_1)
	s_or_b32 s4, s5, s4
	v_trunc_f32_e32 v0, s4
	s_delay_alu instid0(VALU_DEP_1) | instskip(NEXT) | instid1(VALU_DEP_1)
	v_mul_f32_e64 v1, 0x2f800000, |v0|
	v_floor_f32_e32 v1, v1
	s_delay_alu instid0(VALU_DEP_1) | instskip(SKIP_1) | instid1(VALU_DEP_2)
	v_fma_f32 v1, 0xcf800000, v1, |v0|
	v_ashrrev_i32_e32 v0, 31, v0
	v_cvt_u32_f32_e32 v1, v1
	s_delay_alu instid0(VALU_DEP_1) | instskip(NEXT) | instid1(VALU_DEP_1)
	v_xor_b32_e32 v1, v1, v0
	v_sub_nc_u32_e32 v0, v1, v0
.LBB143_1926:
	global_store_b8 v[5:6], v0, off
.LBB143_1927:
	s_mov_b32 s5, -1
.LBB143_1928:
	s_delay_alu instid0(SALU_CYCLE_1)
	s_and_not1_b32 vcc_lo, exec_lo, s5
	s_cbranch_vccnz .LBB143_1938
; %bb.1929:
	s_load_b32 s0, s[0:1], 0x118
	s_mov_b32 s4, 0
	s_waitcnt lgkmcnt(0)
	v_lshrrev_b16 v6, 8, s0
	v_add_co_u32 v4, s0, s2, v4
	s_delay_alu instid0(VALU_DEP_1) | instskip(NEXT) | instid1(VALU_DEP_3)
	v_add_co_ci_u32_e64 v5, null, s3, 0, s0
	v_cmp_gt_i16_e32 vcc_lo, 11, v6
	s_mov_b32 s0, -1
	s_cbranch_vccnz .LBB143_1939
; %bb.1930:
	v_cmp_lt_i16_e32 vcc_lo, 25, v6
	s_mov_b32 s1, -1
	s_mov_b32 s0, 0
	s_cbranch_vccz .LBB143_2344
; %bb.1931:
	v_cmp_lt_i16_e32 vcc_lo, 28, v6
	s_cbranch_vccz .LBB143_2320
; %bb.1932:
	v_cmp_lt_i16_e32 vcc_lo, 43, v6
	;; [unrolled: 3-line block ×3, first 2 shown]
	s_cbranch_vccz .LBB143_2293
; %bb.1934:
	v_cmp_eq_u16_e32 vcc_lo, 46, v6
	s_mov_b32 s0, -1
	s_cbranch_vccz .LBB143_2292
; %bb.1935:
	v_and_b32_e64 v0, 0xff, s6
	s_delay_alu instid0(VALU_DEP_1)
	v_cmp_gt_i16_e32 vcc_lo, 0x80, v0
	s_cbranch_vccnz .LBB143_2085
; %bb.1936:
	v_cmp_eq_u16_e32 vcc_lo, 0x80, v0
	s_cbranch_vccz .LBB143_2285
; %bb.1937:
	s_mov_b32 s1, 0
	s_mov_b32 s0, 0x7f800001
	s_branch .LBB143_2286
.LBB143_1938:
	s_mov_b32 s0, 0
	s_mov_b32 s4, 0
                                        ; implicit-def: $vgpr4_vgpr5
                                        ; implicit-def: $vgpr6
.LBB143_1939:
	s_and_b32 s5, s0, exec_lo
	s_and_not1_b32 s0, s8, exec_lo
	s_and_b32 s1, s7, exec_lo
	s_and_b32 s22, s4, exec_lo
	s_or_b32 s8, s0, s1
.LBB143_1940:
	s_or_b32 exec_lo, exec_lo, s9
	s_and_saveexec_b32 s0, s8
	s_cbranch_execz .LBB143_1943
; %bb.1941:
	; divergent unreachable
	s_or_b32 exec_lo, exec_lo, s0
	s_and_saveexec_b32 s0, s22
	s_cbranch_execnz .LBB143_1944
.LBB143_1942:
	s_or_b32 exec_lo, exec_lo, s0
	s_and_saveexec_b32 s0, s5
	s_cbranch_execnz .LBB143_1952
	s_branch .LBB143_2081
.LBB143_1943:
	s_or_b32 exec_lo, exec_lo, s0
	s_and_saveexec_b32 s0, s22
	s_cbranch_execz .LBB143_1942
.LBB143_1944:
	v_and_b32_e64 v0, 0xff, s6
	s_delay_alu instid0(VALU_DEP_1)
	v_cmp_gt_i16_e32 vcc_lo, 0x80, v0
	s_cbranch_vccnz .LBB143_1947
; %bb.1945:
	v_cmp_eq_u16_e32 vcc_lo, 0x80, v0
	s_cbranch_vccz .LBB143_1959
; %bb.1946:
	s_mov_b32 s2, 0
	s_mov_b32 s1, -1
	s_branch .LBB143_1949
.LBB143_1947:
	s_mov_b32 s2, 0
                                        ; implicit-def: $sgpr1
	s_cbranch_execz .LBB143_1949
; %bb.1948:
	v_cmp_ne_u16_e64 s2, 0, v0
	s_mov_b32 s1, 0
.LBB143_1949:
	s_delay_alu instid0(VALU_DEP_1)
	s_and_not1_b32 vcc_lo, exec_lo, s2
	s_cbranch_vccnz .LBB143_1951
; %bb.1950:
	v_lshrrev_b16 v0, 3, s6
	s_and_b32 s1, s6, 7
	s_delay_alu instid0(SALU_CYCLE_1) | instskip(NEXT) | instid1(SALU_CYCLE_1)
	s_clz_i32_u32 s2, s1
	s_min_u32 s2, s2, 32
	s_delay_alu instid0(VALU_DEP_1) | instskip(SKIP_3) | instid1(VALU_DEP_1)
	v_readfirstlane_b32 s3, v0
	s_sub_i32 s4, s2, 28
	s_sub_i32 s2, 29, s2
	s_lshl_b32 s4, s6, s4
	s_and_b32 s3, s3, 15
	s_and_b32 s4, s4, 7
	s_cmp_eq_u32 s3, 0
	s_cselect_b32 s2, s2, s3
	s_cselect_b32 s1, s4, s1
	s_lshl_b32 s2, s2, 23
	s_lshl_b32 s1, s1, 20
	s_add_i32 s2, s2, 0x3b800000
	s_delay_alu instid0(SALU_CYCLE_1) | instskip(NEXT) | instid1(SALU_CYCLE_1)
	s_and_b32 s2, s2, 0x7f800000
	s_or_b32 s1, s2, s1
	s_delay_alu instid0(SALU_CYCLE_1)
	s_cmp_lg_u32 s1, 0
	s_cselect_b32 s1, -1, 0
.LBB143_1951:
	s_delay_alu instid0(SALU_CYCLE_1)
	v_cndmask_b32_e64 v0, 0, 1, s1
	global_store_b8 v[4:5], v0, off
	s_or_b32 exec_lo, exec_lo, s0
	s_and_saveexec_b32 s0, s5
	s_cbranch_execz .LBB143_2081
.LBB143_1952:
	v_cmp_gt_i16_e32 vcc_lo, 5, v6
	s_mov_b32 s0, -1
	s_cbranch_vccnz .LBB143_2034
; %bb.1953:
	v_cmp_gt_i16_e32 vcc_lo, 8, v6
	s_cbranch_vccnz .LBB143_1986
; %bb.1954:
	v_cmp_gt_i16_e32 vcc_lo, 9, v6
	s_cbranch_vccnz .LBB143_1981
; %bb.1955:
	v_cmp_lt_i16_e32 vcc_lo, 9, v6
	s_cbranch_vccz .LBB143_1968
; %bb.1956:
	v_and_b32_e64 v0, 0xff, s6
	s_delay_alu instid0(VALU_DEP_1)
	v_cmp_gt_i16_e32 vcc_lo, 0x80, v0
	s_cbranch_vccnz .LBB143_1960
; %bb.1957:
	v_cmp_eq_u16_e32 vcc_lo, 0x80, v0
	s_cbranch_vccz .LBB143_1961
; %bb.1958:
	s_mov_b32 s2, 0
	s_mov_b32 s1, 0x7ff80000
	s_brev_b32 s0, 4
	s_branch .LBB143_1962
.LBB143_1959:
	s_mov_b32 s2, -1
                                        ; implicit-def: $sgpr1
	s_branch .LBB143_1949
.LBB143_1960:
	s_mov_b32 s3, -1
	s_mov_b32 s2, 0
                                        ; implicit-def: $sgpr0_sgpr1
	s_branch .LBB143_1963
.LBB143_1961:
	s_mov_b32 s2, -1
                                        ; implicit-def: $sgpr0_sgpr1
.LBB143_1962:
	s_mov_b32 s3, 0
.LBB143_1963:
	s_delay_alu instid0(SALU_CYCLE_1)
	s_and_b32 vcc_lo, exec_lo, s3
	s_cbranch_vccz .LBB143_1965
; %bb.1964:
	v_cmp_ne_u16_e64 s2, 0, v0
	s_mov_b64 s[0:1], 0
.LBB143_1965:
	s_delay_alu instid0(SALU_CYCLE_1) | instskip(NEXT) | instid1(VALU_DEP_2)
	v_dual_mov_b32 v0, s0 :: v_dual_mov_b32 v1, s1
	s_and_not1_b32 vcc_lo, exec_lo, s2
	s_cbranch_vccnz .LBB143_1967
; %bb.1966:
	v_lshrrev_b16 v0, 3, s6
	s_and_b32 s0, s6, 7
	s_lshl_b32 s4, s6, 24
	s_clz_i32_u32 s1, s0
	s_delay_alu instid0(SALU_CYCLE_1) | instskip(SKIP_4) | instid1(VALU_DEP_1)
	s_min_u32 s1, s1, 32
	v_readfirstlane_b32 s2, v0
	s_sub_i32 s3, s1, 28
	s_sub_i32 s1, 29, s1
	s_lshl_b32 s3, s6, s3
	s_and_b32 s2, s2, 15
	s_and_b32 s3, s3, 7
	s_cmp_eq_u32 s2, 0
	s_cselect_b32 s1, s1, s2
	s_cselect_b32 s0, s3, s0
	s_lshl_b32 s1, s1, 23
	s_and_b32 s2, s4, 0x80000000
	s_add_i32 s1, s1, 0x3b800000
	s_lshl_b32 s0, s0, 20
	s_or_b32 s1, s2, s1
	s_delay_alu instid0(SALU_CYCLE_1) | instskip(NEXT) | instid1(SALU_CYCLE_1)
	s_or_b32 s0, s1, s0
	v_cvt_f64_f32_e32 v[0:1], s0
.LBB143_1967:
	v_mov_b32_e32 v2, 0
	s_mov_b32 s0, 0
	s_delay_alu instid0(VALU_DEP_1)
	v_mov_b32_e32 v3, v2
	global_store_b128 v[4:5], v[0:3], off
.LBB143_1968:
	s_and_b32 vcc_lo, exec_lo, s0
	s_cbranch_vccz .LBB143_1980
; %bb.1969:
	v_and_b32_e64 v1, 0xff, s6
	s_delay_alu instid0(VALU_DEP_1)
	v_cmp_gt_i16_e32 vcc_lo, 0x80, v1
	s_cbranch_vccnz .LBB143_1972
; %bb.1970:
	v_cmp_eq_u16_e32 vcc_lo, 0x80, v1
	s_cbranch_vccz .LBB143_1973
; %bb.1971:
	s_mov_b32 s0, 0
	s_mov_b32 s1, 0x7f800001
	s_branch .LBB143_1974
.LBB143_1972:
	s_mov_b32 s2, -1
	s_mov_b32 s0, 0
                                        ; implicit-def: $sgpr1
	s_branch .LBB143_1975
.LBB143_1973:
	s_mov_b32 s0, -1
                                        ; implicit-def: $sgpr1
.LBB143_1974:
	s_mov_b32 s2, 0
.LBB143_1975:
	v_mov_b32_e32 v0, s1
	s_and_b32 vcc_lo, exec_lo, s2
	s_cbranch_vccz .LBB143_1977
; %bb.1976:
	v_and_b32_e32 v0, 0xffff, v1
	v_cmp_ne_u16_e64 s0, 0, v1
.LBB143_1977:
	s_delay_alu instid0(VALU_DEP_1)
	s_and_not1_b32 vcc_lo, exec_lo, s0
	s_cbranch_vccnz .LBB143_1979
; %bb.1978:
	v_lshrrev_b16 v0, 3, s6
	s_and_b32 s0, s6, 7
	s_lshl_b32 s4, s6, 24
	s_clz_i32_u32 s1, s0
	s_delay_alu instid0(SALU_CYCLE_1) | instskip(SKIP_4) | instid1(VALU_DEP_1)
	s_min_u32 s1, s1, 32
	v_readfirstlane_b32 s2, v0
	s_sub_i32 s3, s1, 28
	s_sub_i32 s1, 29, s1
	s_lshl_b32 s3, s6, s3
	s_and_b32 s2, s2, 15
	s_and_b32 s3, s3, 7
	s_cmp_eq_u32 s2, 0
	s_cselect_b32 s1, s1, s2
	s_cselect_b32 s0, s3, s0
	s_lshl_b32 s1, s1, 23
	s_and_b32 s2, s4, 0x80000000
	s_add_i32 s1, s1, 0x3b800000
	s_lshl_b32 s0, s0, 20
	s_or_b32 s1, s2, s1
	s_delay_alu instid0(SALU_CYCLE_1) | instskip(NEXT) | instid1(SALU_CYCLE_1)
	s_or_b32 s0, s1, s0
	v_mov_b32_e32 v0, s0
.LBB143_1979:
	v_mov_b32_e32 v1, 0
	global_store_b64 v[4:5], v[0:1], off
.LBB143_1980:
	s_mov_b32 s0, 0
.LBB143_1981:
	s_delay_alu instid0(SALU_CYCLE_1)
	s_and_not1_b32 vcc_lo, exec_lo, s0
	s_cbranch_vccnz .LBB143_1985
; %bb.1982:
	v_and_b32_e64 v0, 0xff, s6
	s_delay_alu instid0(VALU_DEP_1)
	v_cmp_gt_i16_e32 vcc_lo, 0x80, v0
	s_cbranch_vccnz .LBB143_1992
; %bb.1983:
	v_cmp_eq_u16_e32 vcc_lo, 0x80, v0
	s_cbranch_vccz .LBB143_1993
; %bb.1984:
	s_mov_b32 s0, 0
	s_movk_i32 s1, 0x7e00
	s_branch .LBB143_1994
.LBB143_1985:
	s_mov_b32 s0, 0
.LBB143_1986:
	s_delay_alu instid0(SALU_CYCLE_1)
	s_and_not1_b32 vcc_lo, exec_lo, s0
	s_cbranch_vccnz .LBB143_2033
.LBB143_1987:
	v_cmp_gt_i16_e32 vcc_lo, 6, v6
	s_mov_b32 s0, -1
	s_cbranch_vccnz .LBB143_2021
; %bb.1988:
	v_cmp_lt_i16_e32 vcc_lo, 6, v6
	s_cbranch_vccz .LBB143_2008
; %bb.1989:
	v_and_b32_e64 v0, 0xff, s6
	s_delay_alu instid0(VALU_DEP_1)
	v_cmp_gt_i16_e32 vcc_lo, 0x80, v0
	s_cbranch_vccnz .LBB143_2000
; %bb.1990:
	v_cmp_eq_u16_e32 vcc_lo, 0x80, v0
	s_cbranch_vccz .LBB143_2001
; %bb.1991:
	s_mov_b32 s2, 0
	s_mov_b32 s1, 0x7ff80000
	s_brev_b32 s0, 4
	s_branch .LBB143_2002
.LBB143_1992:
	s_mov_b32 s2, -1
	s_mov_b32 s0, 0
                                        ; implicit-def: $sgpr1
	s_branch .LBB143_1995
.LBB143_1993:
	s_mov_b32 s0, -1
                                        ; implicit-def: $sgpr1
.LBB143_1994:
	s_mov_b32 s2, 0
.LBB143_1995:
	v_mov_b32_e32 v1, s1
	s_and_b32 vcc_lo, exec_lo, s2
	s_cbranch_vccz .LBB143_1997
; %bb.1996:
	v_and_b32_e32 v1, 0xffff, v0
	v_cmp_ne_u16_e64 s0, 0, v0
.LBB143_1997:
	s_delay_alu instid0(VALU_DEP_1)
	s_and_not1_b32 vcc_lo, exec_lo, s0
	s_cbranch_vccnz .LBB143_1999
; %bb.1998:
	v_lshrrev_b16 v0, 3, s6
	s_and_b32 s0, s6, 7
	s_lshl_b32 s4, s6, 24
	s_clz_i32_u32 s1, s0
	s_delay_alu instid0(SALU_CYCLE_1) | instskip(SKIP_4) | instid1(VALU_DEP_1)
	s_min_u32 s1, s1, 32
	v_readfirstlane_b32 s2, v0
	s_sub_i32 s3, s1, 28
	s_sub_i32 s1, 29, s1
	s_lshl_b32 s3, s6, s3
	s_and_b32 s2, s2, 15
	s_and_b32 s3, s3, 7
	s_cmp_eq_u32 s2, 0
	s_cselect_b32 s1, s1, s2
	s_cselect_b32 s0, s3, s0
	s_lshl_b32 s1, s1, 23
	s_and_b32 s2, s4, 0x80000000
	s_add_i32 s1, s1, 0x3b800000
	s_lshl_b32 s0, s0, 20
	s_or_b32 s1, s2, s1
	s_delay_alu instid0(SALU_CYCLE_1) | instskip(NEXT) | instid1(SALU_CYCLE_1)
	s_or_b32 s0, s1, s0
	v_cvt_f16_f32_e32 v0, s0
	s_delay_alu instid0(VALU_DEP_1)
	v_and_b32_e32 v1, 0xffff, v0
.LBB143_1999:
	global_store_b32 v[4:5], v1, off
	s_cbranch_execz .LBB143_1987
	s_branch .LBB143_2033
.LBB143_2000:
	s_mov_b32 s3, -1
	s_mov_b32 s2, 0
                                        ; implicit-def: $sgpr0_sgpr1
	s_branch .LBB143_2003
.LBB143_2001:
	s_mov_b32 s2, -1
                                        ; implicit-def: $sgpr0_sgpr1
.LBB143_2002:
	s_mov_b32 s3, 0
.LBB143_2003:
	s_delay_alu instid0(SALU_CYCLE_1)
	s_and_b32 vcc_lo, exec_lo, s3
	s_cbranch_vccz .LBB143_2005
; %bb.2004:
	v_cmp_ne_u16_e64 s2, 0, v0
	s_mov_b64 s[0:1], 0
.LBB143_2005:
	s_delay_alu instid0(SALU_CYCLE_1) | instskip(NEXT) | instid1(VALU_DEP_2)
	v_dual_mov_b32 v0, s0 :: v_dual_mov_b32 v1, s1
	s_and_not1_b32 vcc_lo, exec_lo, s2
	s_cbranch_vccnz .LBB143_2007
; %bb.2006:
	v_lshrrev_b16 v0, 3, s6
	s_and_b32 s0, s6, 7
	s_lshl_b32 s4, s6, 24
	s_clz_i32_u32 s1, s0
	s_delay_alu instid0(SALU_CYCLE_1) | instskip(SKIP_4) | instid1(VALU_DEP_1)
	s_min_u32 s1, s1, 32
	v_readfirstlane_b32 s2, v0
	s_sub_i32 s3, s1, 28
	s_sub_i32 s1, 29, s1
	s_lshl_b32 s3, s6, s3
	s_and_b32 s2, s2, 15
	s_and_b32 s3, s3, 7
	s_cmp_eq_u32 s2, 0
	s_cselect_b32 s1, s1, s2
	s_cselect_b32 s0, s3, s0
	s_lshl_b32 s1, s1, 23
	s_and_b32 s2, s4, 0x80000000
	s_add_i32 s1, s1, 0x3b800000
	s_lshl_b32 s0, s0, 20
	s_or_b32 s1, s2, s1
	s_delay_alu instid0(SALU_CYCLE_1) | instskip(NEXT) | instid1(SALU_CYCLE_1)
	s_or_b32 s0, s1, s0
	v_cvt_f64_f32_e32 v[0:1], s0
.LBB143_2007:
	s_mov_b32 s0, 0
	global_store_b64 v[4:5], v[0:1], off
.LBB143_2008:
	s_and_b32 vcc_lo, exec_lo, s0
	s_cbranch_vccz .LBB143_2020
; %bb.2009:
	v_and_b32_e64 v0, 0xff, s6
	s_delay_alu instid0(VALU_DEP_1)
	v_cmp_gt_i16_e32 vcc_lo, 0x80, v0
	s_cbranch_vccnz .LBB143_2012
; %bb.2010:
	v_cmp_eq_u16_e32 vcc_lo, 0x80, v0
	s_cbranch_vccz .LBB143_2013
; %bb.2011:
	s_mov_b32 s0, 0
	s_mov_b32 s1, 0x7f800001
	s_branch .LBB143_2014
.LBB143_2012:
	s_mov_b32 s2, -1
	s_mov_b32 s0, 0
                                        ; implicit-def: $sgpr1
	s_branch .LBB143_2015
.LBB143_2013:
	s_mov_b32 s0, -1
                                        ; implicit-def: $sgpr1
.LBB143_2014:
	s_mov_b32 s2, 0
.LBB143_2015:
	v_mov_b32_e32 v1, s1
	s_and_b32 vcc_lo, exec_lo, s2
	s_cbranch_vccz .LBB143_2017
; %bb.2016:
	v_and_b32_e32 v1, 0xffff, v0
	v_cmp_ne_u16_e64 s0, 0, v0
.LBB143_2017:
	s_delay_alu instid0(VALU_DEP_1)
	s_and_not1_b32 vcc_lo, exec_lo, s0
	s_cbranch_vccnz .LBB143_2019
; %bb.2018:
	v_lshrrev_b16 v0, 3, s6
	s_and_b32 s0, s6, 7
	s_lshl_b32 s4, s6, 24
	s_clz_i32_u32 s1, s0
	s_delay_alu instid0(SALU_CYCLE_1) | instskip(SKIP_4) | instid1(VALU_DEP_1)
	s_min_u32 s1, s1, 32
	v_readfirstlane_b32 s2, v0
	s_sub_i32 s3, s1, 28
	s_sub_i32 s1, 29, s1
	s_lshl_b32 s3, s6, s3
	s_and_b32 s2, s2, 15
	s_and_b32 s3, s3, 7
	s_cmp_eq_u32 s2, 0
	s_cselect_b32 s1, s1, s2
	s_cselect_b32 s0, s3, s0
	s_lshl_b32 s1, s1, 23
	s_and_b32 s2, s4, 0x80000000
	s_add_i32 s1, s1, 0x3b800000
	s_lshl_b32 s0, s0, 20
	s_or_b32 s1, s2, s1
	s_delay_alu instid0(SALU_CYCLE_1) | instskip(NEXT) | instid1(SALU_CYCLE_1)
	s_or_b32 s0, s1, s0
	v_mov_b32_e32 v1, s0
.LBB143_2019:
	global_store_b32 v[4:5], v1, off
.LBB143_2020:
	s_mov_b32 s0, 0
.LBB143_2021:
	s_delay_alu instid0(SALU_CYCLE_1)
	s_and_not1_b32 vcc_lo, exec_lo, s0
	s_cbranch_vccnz .LBB143_2033
; %bb.2022:
	v_and_b32_e64 v0, 0xff, s6
	s_delay_alu instid0(VALU_DEP_1)
	v_cmp_gt_i16_e32 vcc_lo, 0x80, v0
	s_cbranch_vccnz .LBB143_2025
; %bb.2023:
	v_cmp_eq_u16_e32 vcc_lo, 0x80, v0
	s_cbranch_vccz .LBB143_2026
; %bb.2024:
	s_mov_b32 s0, 0
	s_movk_i32 s1, 0x7e00
	s_branch .LBB143_2027
.LBB143_2025:
	s_mov_b32 s2, -1
	s_mov_b32 s0, 0
                                        ; implicit-def: $sgpr1
	s_branch .LBB143_2028
.LBB143_2026:
	s_mov_b32 s0, -1
                                        ; implicit-def: $sgpr1
.LBB143_2027:
	s_mov_b32 s2, 0
.LBB143_2028:
	v_mov_b32_e32 v1, s1
	s_and_b32 vcc_lo, exec_lo, s2
	s_cbranch_vccz .LBB143_2030
; %bb.2029:
	v_cmp_ne_u16_e64 s0, 0, v0
	v_mov_b32_e32 v1, v0
.LBB143_2030:
	s_delay_alu instid0(VALU_DEP_2)
	s_and_not1_b32 vcc_lo, exec_lo, s0
	s_cbranch_vccnz .LBB143_2032
; %bb.2031:
	v_lshrrev_b16 v0, 3, s6
	s_and_b32 s0, s6, 7
	s_lshl_b32 s4, s6, 24
	s_clz_i32_u32 s1, s0
	s_delay_alu instid0(SALU_CYCLE_1) | instskip(SKIP_4) | instid1(VALU_DEP_1)
	s_min_u32 s1, s1, 32
	v_readfirstlane_b32 s2, v0
	s_sub_i32 s3, s1, 28
	s_sub_i32 s1, 29, s1
	s_lshl_b32 s3, s6, s3
	s_and_b32 s2, s2, 15
	s_and_b32 s3, s3, 7
	s_cmp_eq_u32 s2, 0
	s_cselect_b32 s1, s1, s2
	s_cselect_b32 s0, s3, s0
	s_lshl_b32 s1, s1, 23
	s_and_b32 s2, s4, 0x80000000
	s_add_i32 s1, s1, 0x3b800000
	s_lshl_b32 s0, s0, 20
	s_or_b32 s1, s2, s1
	s_delay_alu instid0(SALU_CYCLE_1) | instskip(NEXT) | instid1(SALU_CYCLE_1)
	s_or_b32 s0, s1, s0
	v_cvt_f16_f32_e32 v1, s0
.LBB143_2032:
	global_store_b16 v[4:5], v1, off
.LBB143_2033:
	s_mov_b32 s0, 0
.LBB143_2034:
	s_delay_alu instid0(SALU_CYCLE_1)
	s_and_not1_b32 vcc_lo, exec_lo, s0
	s_cbranch_vccnz .LBB143_2081
; %bb.2035:
	v_cmp_gt_i16_e32 vcc_lo, 2, v6
	s_mov_b32 s0, -1
	s_cbranch_vccnz .LBB143_2060
; %bb.2036:
	v_cmp_gt_i16_e32 vcc_lo, 3, v6
	s_cbranch_vccnz .LBB143_2056
; %bb.2037:
	v_cmp_lt_i16_e32 vcc_lo, 3, v6
	s_cbranch_vccz .LBB143_2046
; %bb.2038:
	v_and_b32_e64 v0, 0xff, s6
	s_delay_alu instid0(VALU_DEP_1)
	v_cmp_gt_i16_e32 vcc_lo, 0x80, v0
	s_cbranch_vccnz .LBB143_2040
; %bb.2039:
	v_cmp_ne_u16_e64 s2, 0x80, v0
	s_mov_b32 s3, 0
	s_mov_b64 s[0:1], 0
	s_branch .LBB143_2041
.LBB143_2040:
	s_mov_b32 s3, -1
	s_mov_b32 s2, 0
                                        ; implicit-def: $sgpr0_sgpr1
.LBB143_2041:
	s_and_not1_b32 vcc_lo, exec_lo, s3
	s_cbranch_vccnz .LBB143_2043
; %bb.2042:
	v_cmp_ne_u16_e64 s2, 0, v0
	s_mov_b64 s[0:1], 0
.LBB143_2043:
	s_delay_alu instid0(SALU_CYCLE_1) | instskip(NEXT) | instid1(VALU_DEP_2)
	v_dual_mov_b32 v0, s0 :: v_dual_mov_b32 v1, s1
	s_and_not1_b32 vcc_lo, exec_lo, s2
	s_cbranch_vccnz .LBB143_2045
; %bb.2044:
	v_lshrrev_b16 v0, 3, s6
	s_and_b32 s0, s6, 7
	s_lshl_b32 s3, s6, 24
	s_clz_i32_u32 s1, s0
	s_delay_alu instid0(SALU_CYCLE_1) | instskip(SKIP_4) | instid1(VALU_DEP_1)
	s_min_u32 s1, s1, 32
	v_readfirstlane_b32 s2, v0
	s_sub_i32 s4, s1, 28
	s_sub_i32 s1, 29, s1
	s_lshl_b32 s4, s6, s4
	s_and_b32 s2, s2, 15
	s_and_b32 s4, s4, 7
	s_cmp_eq_u32 s2, 0
	s_cselect_b32 s1, s1, s2
	s_cselect_b32 s0, s4, s0
	s_lshl_b32 s1, s1, 23
	s_and_b32 s2, s3, 0x80000000
	s_add_i32 s1, s1, 0x3b800000
	s_lshl_b32 s0, s0, 20
	s_or_b32 s1, s2, s1
	s_delay_alu instid0(SALU_CYCLE_1) | instskip(NEXT) | instid1(SALU_CYCLE_1)
	s_or_b32 s0, s1, s0
	v_trunc_f32_e32 v0, s0
	s_delay_alu instid0(VALU_DEP_1) | instskip(SKIP_1) | instid1(VALU_DEP_2)
	v_mul_f32_e64 v1, 0x2f800000, |v0|
	v_ashrrev_i32_e32 v3, 31, v0
	v_floor_f32_e32 v1, v1
	s_delay_alu instid0(VALU_DEP_1) | instskip(SKIP_1) | instid1(VALU_DEP_2)
	v_fma_f32 v2, 0xcf800000, v1, |v0|
	v_cvt_u32_f32_e32 v1, v1
	v_cvt_u32_f32_e32 v0, v2
	s_delay_alu instid0(VALU_DEP_2) | instskip(NEXT) | instid1(VALU_DEP_2)
	v_xor_b32_e32 v1, v1, v3
	v_xor_b32_e32 v0, v0, v3
	s_delay_alu instid0(VALU_DEP_1) | instskip(NEXT) | instid1(VALU_DEP_3)
	v_sub_co_u32 v0, vcc_lo, v0, v3
	v_sub_co_ci_u32_e32 v1, vcc_lo, v1, v3, vcc_lo
.LBB143_2045:
	s_mov_b32 s0, 0
	global_store_b64 v[4:5], v[0:1], off
.LBB143_2046:
	s_and_b32 vcc_lo, exec_lo, s0
	s_cbranch_vccz .LBB143_2055
; %bb.2047:
	v_and_b32_e64 v0, 0xff, s6
	s_delay_alu instid0(VALU_DEP_1)
	v_cmp_gt_i16_e32 vcc_lo, 0x80, v0
	s_cbranch_vccnz .LBB143_2049
; %bb.2048:
	v_cmp_ne_u16_e64 s0, 0x80, v0
	s_mov_b32 s2, 0
	s_mov_b32 s1, 0
	s_branch .LBB143_2050
.LBB143_2049:
	s_mov_b32 s2, -1
	s_mov_b32 s0, 0
                                        ; implicit-def: $sgpr1
.LBB143_2050:
	s_and_not1_b32 vcc_lo, exec_lo, s2
	s_cbranch_vccnz .LBB143_2052
; %bb.2051:
	v_cmp_ne_u16_e64 s0, 0, v0
	s_mov_b32 s1, 0
.LBB143_2052:
	s_delay_alu instid0(SALU_CYCLE_1) | instskip(NEXT) | instid1(VALU_DEP_2)
	v_mov_b32_e32 v0, s1
	s_and_not1_b32 vcc_lo, exec_lo, s0
	s_cbranch_vccnz .LBB143_2054
; %bb.2053:
	v_lshrrev_b16 v0, 3, s6
	s_and_b32 s0, s6, 7
	s_lshl_b32 s4, s6, 24
	s_clz_i32_u32 s1, s0
	s_delay_alu instid0(SALU_CYCLE_1) | instskip(SKIP_4) | instid1(VALU_DEP_1)
	s_min_u32 s1, s1, 32
	v_readfirstlane_b32 s2, v0
	s_sub_i32 s3, s1, 28
	s_sub_i32 s1, 29, s1
	s_lshl_b32 s3, s6, s3
	s_and_b32 s2, s2, 15
	s_and_b32 s3, s3, 7
	s_cmp_eq_u32 s2, 0
	s_cselect_b32 s1, s1, s2
	s_cselect_b32 s0, s3, s0
	s_lshl_b32 s1, s1, 23
	s_and_b32 s2, s4, 0x80000000
	s_add_i32 s1, s1, 0x3b800000
	s_lshl_b32 s0, s0, 20
	s_or_b32 s1, s2, s1
	s_delay_alu instid0(SALU_CYCLE_1) | instskip(NEXT) | instid1(SALU_CYCLE_1)
	s_or_b32 s0, s1, s0
	v_cvt_i32_f32_e32 v0, s0
.LBB143_2054:
	global_store_b32 v[4:5], v0, off
.LBB143_2055:
	s_mov_b32 s0, 0
.LBB143_2056:
	s_delay_alu instid0(SALU_CYCLE_1)
	s_and_not1_b32 vcc_lo, exec_lo, s0
	s_cbranch_vccnz .LBB143_2059
; %bb.2057:
	v_and_b32_e64 v0, 0xff, s6
	s_delay_alu instid0(VALU_DEP_1)
	v_cmp_gt_i16_e32 vcc_lo, 0x80, v0
	s_cbranch_vccnz .LBB143_2064
; %bb.2058:
	v_cmp_ne_u16_e64 s0, 0x80, v0
	s_mov_b32 s2, 0
	s_mov_b32 s1, 0
	s_branch .LBB143_2065
.LBB143_2059:
	s_mov_b32 s0, 0
.LBB143_2060:
	s_delay_alu instid0(SALU_CYCLE_1)
	s_and_not1_b32 vcc_lo, exec_lo, s0
	s_cbranch_vccnz .LBB143_2081
.LBB143_2061:
	v_cmp_lt_i16_e32 vcc_lo, 0, v6
	s_mov_b32 s0, 0
	s_mov_b32 s1, -1
	s_cbranch_vccz .LBB143_2076
; %bb.2062:
	v_and_b32_e64 v0, 0xff, s6
	s_delay_alu instid0(VALU_DEP_1)
	v_cmp_gt_i16_e32 vcc_lo, 0x80, v0
	s_cbranch_vccnz .LBB143_2070
; %bb.2063:
	v_cmp_ne_u16_e64 s0, 0x80, v0
	s_mov_b32 s2, 0
	s_mov_b32 s1, 0
	s_branch .LBB143_2071
.LBB143_2064:
	s_mov_b32 s2, -1
	s_mov_b32 s0, 0
                                        ; implicit-def: $sgpr1
.LBB143_2065:
	s_and_not1_b32 vcc_lo, exec_lo, s2
	s_cbranch_vccnz .LBB143_2067
; %bb.2066:
	v_cmp_ne_u16_e64 s0, 0, v0
	s_mov_b32 s1, 0
.LBB143_2067:
	s_delay_alu instid0(SALU_CYCLE_1) | instskip(NEXT) | instid1(VALU_DEP_2)
	v_mov_b32_e32 v0, s1
	s_and_not1_b32 vcc_lo, exec_lo, s0
	s_cbranch_vccnz .LBB143_2069
; %bb.2068:
	v_lshrrev_b16 v0, 3, s6
	s_and_b32 s0, s6, 7
	s_lshl_b32 s4, s6, 24
	s_clz_i32_u32 s1, s0
	s_delay_alu instid0(SALU_CYCLE_1) | instskip(SKIP_4) | instid1(VALU_DEP_1)
	s_min_u32 s1, s1, 32
	v_readfirstlane_b32 s2, v0
	s_sub_i32 s3, s1, 28
	s_sub_i32 s1, 29, s1
	s_lshl_b32 s3, s6, s3
	s_and_b32 s2, s2, 15
	s_and_b32 s3, s3, 7
	s_cmp_eq_u32 s2, 0
	s_cselect_b32 s1, s1, s2
	s_cselect_b32 s0, s3, s0
	s_lshl_b32 s1, s1, 23
	s_and_b32 s2, s4, 0x80000000
	s_add_i32 s1, s1, 0x3b800000
	s_lshl_b32 s0, s0, 20
	s_or_b32 s1, s2, s1
	s_delay_alu instid0(SALU_CYCLE_1) | instskip(NEXT) | instid1(SALU_CYCLE_1)
	s_or_b32 s0, s1, s0
	v_cvt_i32_f32_e32 v0, s0
.LBB143_2069:
	global_store_b16 v[4:5], v0, off
	s_cbranch_execnz .LBB143_2081
	s_branch .LBB143_2061
.LBB143_2070:
	s_mov_b32 s2, -1
                                        ; implicit-def: $sgpr1
.LBB143_2071:
	s_delay_alu instid0(SALU_CYCLE_1)
	s_and_not1_b32 vcc_lo, exec_lo, s2
	s_cbranch_vccnz .LBB143_2073
; %bb.2072:
	v_cmp_ne_u16_e64 s0, 0, v0
	s_mov_b32 s1, 0
.LBB143_2073:
	s_delay_alu instid0(SALU_CYCLE_1) | instskip(NEXT) | instid1(VALU_DEP_2)
	v_mov_b32_e32 v0, s1
	s_and_not1_b32 vcc_lo, exec_lo, s0
	s_cbranch_vccnz .LBB143_2075
; %bb.2074:
	v_lshrrev_b16 v0, 3, s6
	s_and_b32 s0, s6, 7
	s_lshl_b32 s4, s6, 24
	s_clz_i32_u32 s1, s0
	s_delay_alu instid0(SALU_CYCLE_1) | instskip(SKIP_4) | instid1(VALU_DEP_1)
	s_min_u32 s1, s1, 32
	v_readfirstlane_b32 s2, v0
	s_sub_i32 s3, s1, 28
	s_sub_i32 s1, 29, s1
	s_lshl_b32 s3, s6, s3
	s_and_b32 s2, s2, 15
	s_and_b32 s3, s3, 7
	s_cmp_eq_u32 s2, 0
	s_cselect_b32 s1, s1, s2
	s_cselect_b32 s0, s3, s0
	s_lshl_b32 s1, s1, 23
	s_and_b32 s2, s4, 0x80000000
	s_add_i32 s1, s1, 0x3b800000
	s_lshl_b32 s0, s0, 20
	s_or_b32 s1, s2, s1
	s_delay_alu instid0(SALU_CYCLE_1) | instskip(NEXT) | instid1(SALU_CYCLE_1)
	s_or_b32 s0, s1, s0
	v_cvt_i32_f32_e32 v0, s0
.LBB143_2075:
	s_mov_b32 s1, 0
	global_store_b8 v[4:5], v0, off
.LBB143_2076:
	s_and_b32 vcc_lo, exec_lo, s1
	s_cbranch_vccz .LBB143_2081
; %bb.2077:
	v_and_b32_e64 v0, 0xff, s6
	s_delay_alu instid0(VALU_DEP_1)
	v_cmp_gt_i16_e32 vcc_lo, 0x80, v0
	s_cbranch_vccnz .LBB143_2082
; %bb.2078:
	v_cmp_ne_u16_e64 s0, 0x80, v0
	s_mov_b32 s1, 0
	s_cbranch_execz .LBB143_2083
; %bb.2079:
	v_mov_b32_e32 v0, s1
	s_delay_alu instid0(VALU_DEP_2)
	s_and_not1_b32 vcc_lo, exec_lo, s0
	s_cbranch_vccnz .LBB143_2084
.LBB143_2080:
	v_lshrrev_b16 v0, 3, s6
	s_and_b32 s0, s6, 7
	s_lshl_b32 s3, s6, 24
	s_clz_i32_u32 s1, s0
	s_delay_alu instid0(SALU_CYCLE_1) | instskip(SKIP_4) | instid1(VALU_DEP_1)
	s_min_u32 s1, s1, 32
	v_readfirstlane_b32 s2, v0
	s_sub_i32 s4, s1, 28
	s_sub_i32 s1, 29, s1
	s_lshl_b32 s4, s6, s4
	s_and_b32 s2, s2, 15
	s_and_b32 s4, s4, 7
	s_cmp_eq_u32 s2, 0
	s_cselect_b32 s1, s1, s2
	s_cselect_b32 s0, s4, s0
	s_lshl_b32 s1, s1, 23
	s_and_b32 s2, s3, 0x80000000
	s_add_i32 s1, s1, 0x3b800000
	s_lshl_b32 s0, s0, 20
	s_or_b32 s1, s2, s1
	s_delay_alu instid0(SALU_CYCLE_1) | instskip(NEXT) | instid1(SALU_CYCLE_1)
	s_or_b32 s0, s1, s0
	v_trunc_f32_e32 v0, s0
	s_delay_alu instid0(VALU_DEP_1) | instskip(NEXT) | instid1(VALU_DEP_1)
	v_mul_f32_e64 v1, 0x2f800000, |v0|
	v_floor_f32_e32 v1, v1
	s_delay_alu instid0(VALU_DEP_1) | instskip(SKIP_1) | instid1(VALU_DEP_2)
	v_fma_f32 v1, 0xcf800000, v1, |v0|
	v_ashrrev_i32_e32 v0, 31, v0
	v_cvt_u32_f32_e32 v1, v1
	s_delay_alu instid0(VALU_DEP_1) | instskip(NEXT) | instid1(VALU_DEP_1)
	v_xor_b32_e32 v1, v1, v0
	v_sub_nc_u32_e32 v0, v1, v0
	global_store_b8 v[4:5], v0, off
	s_nop 0
	s_sendmsg sendmsg(MSG_DEALLOC_VGPRS)
	s_endpgm
.LBB143_2081:
	s_nop 0
	s_sendmsg sendmsg(MSG_DEALLOC_VGPRS)
	s_endpgm
.LBB143_2082:
	s_mov_b32 s0, 0
                                        ; implicit-def: $sgpr1
.LBB143_2083:
	v_cmp_ne_u16_e64 s0, 0, v0
	s_mov_b32 s1, 0
	s_delay_alu instid0(SALU_CYCLE_1) | instskip(NEXT) | instid1(VALU_DEP_2)
	v_mov_b32_e32 v0, s1
	s_and_not1_b32 vcc_lo, exec_lo, s0
	s_cbranch_vccz .LBB143_2080
.LBB143_2084:
	global_store_b8 v[4:5], v0, off
	s_nop 0
	s_sendmsg sendmsg(MSG_DEALLOC_VGPRS)
	s_endpgm
.LBB143_2085:
	s_mov_b32 s2, -1
	s_mov_b32 s1, 0
                                        ; implicit-def: $sgpr0
	s_branch .LBB143_2287
.LBB143_2086:
                                        ; implicit-def: $sgpr16
.LBB143_2087:
	s_mov_b32 s19, 0
.LBB143_2088:
	s_delay_alu instid0(SALU_CYCLE_1)
	s_and_b32 vcc_lo, exec_lo, s19
	s_cbranch_vccz .LBB143_2090
; %bb.2089:
	v_cmp_ne_u16_e64 s18, 0, v0
	s_mov_b32 s16, 0
.LBB143_2090:
	s_delay_alu instid0(VALU_DEP_1)
	s_and_not1_b32 vcc_lo, exec_lo, s18
	s_cbranch_vccnz .LBB143_2092
; %bb.2091:
	s_mov_b32 s16, s26
.LBB143_2092:
	s_delay_alu instid0(SALU_CYCLE_1) | instskip(NEXT) | instid1(SALU_CYCLE_1)
	s_bfe_u32 s18, s16, 0x10010
	s_add_i32 s18, s16, s18
	v_cmp_o_f32_e64 s16, s16, s16
	s_addk_i32 s18, 0x7fff
	s_delay_alu instid0(SALU_CYCLE_1) | instskip(NEXT) | instid1(VALU_DEP_1)
	s_lshr_b32 s18, s18, 16
	s_and_b32 s16, s16, exec_lo
	s_cselect_b32 s16, s18, 0x7fc0
	s_mov_b32 s18, 0
	v_mov_b32_e32 v0, s16
	s_mov_b32 s16, -1
	global_store_b32 v[10:11], v0, off
.LBB143_2093:
	s_and_b32 vcc_lo, exec_lo, s17
	s_cbranch_vccz .LBB143_2106
; %bb.2094:
	v_cmp_eq_u16_e32 vcc_lo, 44, v13
	s_mov_b32 s18, -1
	s_cbranch_vccz .LBB143_2106
; %bb.2095:
	v_and_b32_e64 v0, 0xff, s25
	s_delay_alu instid0(VALU_DEP_1)
	v_cmp_gt_i16_e32 vcc_lo, 0x80, v0
	v_readfirstlane_b32 s17, v0
	s_cbranch_vccnz .LBB143_2098
; %bb.2096:
	s_delay_alu instid0(VALU_DEP_1) | instskip(NEXT) | instid1(VALU_DEP_1)
	v_cmp_eq_u16_e64 s16, 0x80, s17
	s_and_b32 vcc_lo, exec_lo, s16
	s_cbranch_vccz .LBB143_2099
; %bb.2097:
	s_mov_b32 s18, 0
	s_mov_b32 s16, 0x7f800001
	s_branch .LBB143_2100
.LBB143_2098:
	s_mov_b32 s19, -1
	s_mov_b32 s18, 0
                                        ; implicit-def: $sgpr16
	s_branch .LBB143_2101
.LBB143_2099:
                                        ; implicit-def: $sgpr16
.LBB143_2100:
	s_mov_b32 s19, 0
.LBB143_2101:
	s_delay_alu instid0(SALU_CYCLE_1)
	s_and_b32 vcc_lo, exec_lo, s19
	s_cbranch_vccz .LBB143_2111
; %bb.2102:
	v_cmp_ne_u16_e64 s18, s17, 0
	s_and_b32 s16, 0xffff, s17
	s_delay_alu instid0(VALU_DEP_1)
	s_and_not1_b32 vcc_lo, exec_lo, s18
	s_cbranch_vccz .LBB143_2112
.LBB143_2103:
	v_mov_b32_e32 v0, 0xff
	s_bfe_u32 s17, s16, 0x80017
	s_delay_alu instid0(SALU_CYCLE_1)
	s_cmpk_eq_i32 s17, 0xff
	s_cbranch_scc1 .LBB143_2105
.LBB143_2104:
	s_lshr_b32 s18, s16, 23
	s_bitcmp1_b32 s16, 22
	s_cselect_b32 s19, -1, 0
	s_and_b32 s16, s16, 0x3fffff
	s_delay_alu instid0(SALU_CYCLE_1) | instskip(NEXT) | instid1(SALU_CYCLE_1)
	s_or_b32 s16, s17, s16
	s_cmp_lg_u32 s16, 0
	s_cselect_b32 s16, -1, 0
	s_delay_alu instid0(SALU_CYCLE_1) | instskip(NEXT) | instid1(SALU_CYCLE_1)
	s_and_b32 s16, s19, s16
	v_cndmask_b32_e64 v0, 0, 1, s16
	s_delay_alu instid0(VALU_DEP_1)
	v_add_nc_u32_e32 v0, s18, v0
.LBB143_2105:
	s_mov_b32 s16, -1
	s_mov_b32 s18, 0
	global_store_b8 v[10:11], v0, off
.LBB143_2106:
	s_mov_b32 s17, 0
.LBB143_2107:
	s_delay_alu instid0(SALU_CYCLE_1)
	s_and_b32 vcc_lo, exec_lo, s17
	s_cbranch_vccz .LBB143_2119
; %bb.2108:
	v_cmp_eq_u16_e32 vcc_lo, 29, v13
	s_mov_b32 s18, -1
	s_cbranch_vccz .LBB143_2119
; %bb.2109:
	v_and_b32_e64 v0, 0xff, s25
	s_delay_alu instid0(VALU_DEP_1)
	v_cmp_gt_i16_e32 vcc_lo, 0x80, v0
	s_cbranch_vccnz .LBB143_2113
; %bb.2110:
	v_cmp_ne_u16_e64 s18, 0x80, v0
	s_mov_b32 s19, 0
	s_mov_b64 s[16:17], 0
	s_branch .LBB143_2114
.LBB143_2111:
	s_and_not1_b32 vcc_lo, exec_lo, s18
	s_cbranch_vccnz .LBB143_2103
.LBB143_2112:
	s_mov_b32 s16, s28
	v_mov_b32_e32 v0, 0xff
	s_bfe_u32 s17, s16, 0x80017
	s_delay_alu instid0(SALU_CYCLE_1)
	s_cmpk_eq_i32 s17, 0xff
	s_cbranch_scc0 .LBB143_2104
	s_branch .LBB143_2105
.LBB143_2113:
	s_mov_b32 s19, -1
	s_mov_b32 s18, 0
                                        ; implicit-def: $sgpr16_sgpr17
.LBB143_2114:
	s_and_not1_b32 vcc_lo, exec_lo, s19
	s_cbranch_vccnz .LBB143_2116
; %bb.2115:
	v_cmp_ne_u16_e64 s18, 0, v0
	s_mov_b64 s[16:17], 0
.LBB143_2116:
	s_delay_alu instid0(SALU_CYCLE_1) | instskip(NEXT) | instid1(VALU_DEP_2)
	v_dual_mov_b32 v0, s16 :: v_dual_mov_b32 v1, s17
	s_and_not1_b32 vcc_lo, exec_lo, s18
	s_cbranch_vccnz .LBB143_2118
; %bb.2117:
	v_dual_mov_b32 v0, v8 :: v_dual_mov_b32 v1, v9
.LBB143_2118:
	s_mov_b32 s16, -1
	s_mov_b32 s18, 0
	global_store_b64 v[10:11], v[0:1], off
.LBB143_2119:
	s_mov_b32 s17, 0
.LBB143_2120:
	s_delay_alu instid0(SALU_CYCLE_1)
	s_and_b32 vcc_lo, exec_lo, s17
	s_cbranch_vccz .LBB143_2144
; %bb.2121:
	v_cmp_gt_i16_e32 vcc_lo, 27, v13
	s_mov_b32 s16, -1
	s_cbranch_vccnz .LBB143_2141
; %bb.2122:
	v_cmp_lt_i16_e32 vcc_lo, 27, v13
	s_cbranch_vccz .LBB143_2131
; %bb.2123:
	v_and_b32_e64 v0, 0xff, s25
	s_delay_alu instid0(VALU_DEP_1)
	v_cmp_gt_i16_e32 vcc_lo, 0x80, v0
	s_cbranch_vccnz .LBB143_2125
; %bb.2124:
	v_cmp_ne_u16_e64 s16, 0x80, v0
	s_mov_b32 s19, 0
	s_mov_b32 s17, 0
	s_branch .LBB143_2126
.LBB143_2125:
	s_mov_b32 s19, -1
	s_mov_b32 s16, 0
                                        ; implicit-def: $sgpr17
.LBB143_2126:
	s_and_not1_b32 vcc_lo, exec_lo, s19
	s_cbranch_vccnz .LBB143_2128
; %bb.2127:
	v_cmp_ne_u16_e64 s16, 0, v0
	s_mov_b32 s17, 0
.LBB143_2128:
	s_delay_alu instid0(SALU_CYCLE_1) | instskip(NEXT) | instid1(VALU_DEP_2)
	v_mov_b32_e32 v0, s17
	s_and_not1_b32 vcc_lo, exec_lo, s16
	s_cbranch_vccnz .LBB143_2130
; %bb.2129:
	v_mov_b32_e32 v0, v17
.LBB143_2130:
	s_mov_b32 s16, 0
	global_store_b32 v[10:11], v0, off
.LBB143_2131:
	s_and_b32 vcc_lo, exec_lo, s16
	s_cbranch_vccz .LBB143_2140
; %bb.2132:
	v_and_b32_e64 v0, 0xff, s25
	s_delay_alu instid0(VALU_DEP_1)
	v_cmp_gt_i16_e32 vcc_lo, 0x80, v0
	s_cbranch_vccnz .LBB143_2134
; %bb.2133:
	v_cmp_ne_u16_e64 s16, 0x80, v0
	s_mov_b32 s19, 0
	s_mov_b32 s17, 0
	s_branch .LBB143_2135
.LBB143_2134:
	s_mov_b32 s19, -1
	s_mov_b32 s16, 0
                                        ; implicit-def: $sgpr17
.LBB143_2135:
	s_and_not1_b32 vcc_lo, exec_lo, s19
	s_cbranch_vccnz .LBB143_2137
; %bb.2136:
	v_cmp_ne_u16_e64 s16, 0, v0
	s_mov_b32 s17, 0
.LBB143_2137:
	s_delay_alu instid0(SALU_CYCLE_1) | instskip(NEXT) | instid1(VALU_DEP_2)
	v_mov_b32_e32 v0, s17
	s_and_not1_b32 vcc_lo, exec_lo, s16
	s_cbranch_vccnz .LBB143_2139
; %bb.2138:
	v_mov_b32_e32 v0, v17
.LBB143_2139:
	global_store_b16 v[10:11], v0, off
.LBB143_2140:
	s_mov_b32 s16, 0
.LBB143_2141:
	s_delay_alu instid0(SALU_CYCLE_1)
	s_and_not1_b32 vcc_lo, exec_lo, s16
	s_cbranch_vccnz .LBB143_2143
; %bb.2142:
	v_mov_b32_e32 v0, s25
	global_store_b8 v[10:11], v0, off
.LBB143_2143:
	s_mov_b32 s16, -1
.LBB143_2144:
	s_mov_b32 s17, 0
.LBB143_2145:
	s_delay_alu instid0(SALU_CYCLE_1)
	s_and_b32 vcc_lo, exec_lo, s17
	s_cbranch_vccz .LBB143_2242
; %bb.2146:
	v_cmp_lt_i16_e32 vcc_lo, 22, v13
	s_mov_b32 s17, -1
	s_cbranch_vccz .LBB143_2214
; %bb.2147:
	v_cmp_gt_i16_e32 vcc_lo, 24, v13
	s_mov_b32 s16, -1
	s_cbranch_vccnz .LBB143_2191
; %bb.2148:
	v_cmp_lt_i16_e32 vcc_lo, 24, v13
	s_cbranch_vccz .LBB143_2168
; %bb.2149:
	v_and_b32_e64 v0, 0xff, s25
	s_delay_alu instid0(VALU_DEP_1)
	v_cmp_gt_i16_e32 vcc_lo, 0x80, v0
	s_cbranch_vccnz .LBB143_2152
; %bb.2150:
	v_cmp_eq_u16_e32 vcc_lo, 0x80, v0
	s_cbranch_vccz .LBB143_2153
; %bb.2151:
	s_mov_b32 s17, 0
	s_mov_b32 s16, 0x7f800001
	s_branch .LBB143_2154
.LBB143_2152:
	s_mov_b32 s19, -1
	s_mov_b32 s17, 0
                                        ; implicit-def: $sgpr16
	s_branch .LBB143_2155
.LBB143_2153:
                                        ; implicit-def: $sgpr16
.LBB143_2154:
	s_mov_b32 s19, 0
.LBB143_2155:
	s_delay_alu instid0(SALU_CYCLE_1)
	s_and_b32 vcc_lo, exec_lo, s19
	s_cbranch_vccz .LBB143_2158
; %bb.2156:
	v_cmp_ne_u16_e64 s17, 0, v0
	s_mov_b32 s16, 0
	s_delay_alu instid0(VALU_DEP_1)
	s_and_not1_b32 vcc_lo, exec_lo, s17
	s_cbranch_vccz .LBB143_2159
.LBB143_2157:
	v_mov_b32_e32 v1, 0x80
	s_and_b32 s17, s16, 0x7fffffff
	s_delay_alu instid0(SALU_CYCLE_1)
	s_cmp_gt_u32 s17, 0x477fffff
	s_cbranch_scc0 .LBB143_2160
	s_branch .LBB143_2167
.LBB143_2158:
	s_and_not1_b32 vcc_lo, exec_lo, s17
	s_cbranch_vccnz .LBB143_2157
.LBB143_2159:
	s_mov_b32 s16, s26
	v_mov_b32_e32 v1, 0x80
	s_and_b32 s17, s16, 0x7fffffff
	s_delay_alu instid0(SALU_CYCLE_1)
	s_cmp_gt_u32 s17, 0x477fffff
	s_cbranch_scc1 .LBB143_2167
.LBB143_2160:
	s_cmp_lt_u32 s17, 0x38000000
	s_cbranch_scc1 .LBB143_2162
; %bb.2161:
	s_bfe_u32 s17, s16, 0x10015
	s_mov_b32 s19, 0
	s_add_i32 s17, s16, s17
	s_delay_alu instid0(SALU_CYCLE_1) | instskip(NEXT) | instid1(SALU_CYCLE_1)
	s_add_i32 s17, s17, 0x88fffff
	s_lshr_b32 s39, s17, 21
	s_mov_b32 s17, -1
	s_branch .LBB143_2163
.LBB143_2162:
	s_mov_b32 s19, -1
	s_mov_b32 s17, 0
                                        ; implicit-def: $sgpr39
.LBB143_2163:
	v_mov_b32_e32 v0, s39
	s_and_not1_b32 vcc_lo, exec_lo, s19
                                        ; implicit-def: $sgpr19
	s_cbranch_vccnz .LBB143_2165
; %bb.2164:
	v_add_f32_e64 v0, 0x42800000, |s16|
	s_mov_b32 s19, 0
	s_delay_alu instid0(VALU_DEP_1) | instskip(NEXT) | instid1(VALU_DEP_1)
	v_and_b32_e32 v0, 0xff, v0
	v_cmp_ne_u32_e64 s17, 0, v0
.LBB143_2165:
	v_mov_b32_e32 v1, s19
	s_delay_alu instid0(VALU_DEP_2)
	s_and_not1_b32 vcc_lo, exec_lo, s17
	s_cbranch_vccnz .LBB143_2167
; %bb.2166:
	s_lshr_b32 s16, s16, 24
	s_delay_alu instid0(SALU_CYCLE_1) | instskip(NEXT) | instid1(SALU_CYCLE_1)
	s_and_b32 s16, s16, 0x80
	v_or_b32_e32 v1, s16, v0
.LBB143_2167:
	s_mov_b32 s16, 0
	global_store_b8 v[10:11], v1, off
.LBB143_2168:
	s_and_b32 vcc_lo, exec_lo, s16
	s_cbranch_vccz .LBB143_2190
; %bb.2169:
	v_and_b32_e64 v0, 0xff, s25
	s_delay_alu instid0(VALU_DEP_1)
	v_cmp_gt_i16_e32 vcc_lo, 0x80, v0
	s_cbranch_vccnz .LBB143_2172
; %bb.2170:
	v_cmp_eq_u16_e32 vcc_lo, 0x80, v0
	s_cbranch_vccz .LBB143_2173
; %bb.2171:
	s_mov_b32 s17, 0
	s_mov_b32 s16, 0x7f800001
	s_branch .LBB143_2174
.LBB143_2172:
	s_mov_b32 s19, -1
	s_mov_b32 s17, 0
                                        ; implicit-def: $sgpr16
	s_branch .LBB143_2175
.LBB143_2173:
	s_mov_b32 s17, -1
                                        ; implicit-def: $sgpr16
.LBB143_2174:
	s_mov_b32 s19, 0
.LBB143_2175:
	s_delay_alu instid0(SALU_CYCLE_1)
	s_and_b32 vcc_lo, exec_lo, s19
	s_cbranch_vccz .LBB143_2180
; %bb.2176:
	v_cmp_ne_u16_e64 s17, 0, v0
	s_mov_b32 s16, 0
	s_delay_alu instid0(VALU_DEP_1)
	s_and_not1_b32 vcc_lo, exec_lo, s17
	s_cbranch_vccz .LBB143_2181
.LBB143_2177:
	s_and_b32 s17, s16, 0x7fffffff
	s_delay_alu instid0(SALU_CYCLE_1)
	s_cmp_gt_u32 s17, 0x43efffff
	s_cbranch_scc1 .LBB143_2182
.LBB143_2178:
	s_cmp_lt_u32 s17, 0x3c800000
	s_cbranch_scc1 .LBB143_2183
; %bb.2179:
	s_bfe_u32 s19, s16, 0x10014
	s_delay_alu instid0(SALU_CYCLE_1) | instskip(NEXT) | instid1(SALU_CYCLE_1)
	s_add_i32 s19, s16, s19
	s_add_i32 s19, s19, 0x407ffff
	s_delay_alu instid0(SALU_CYCLE_1)
	s_and_b32 s39, s19, 0xff00000
	s_lshr_b32 s19, s19, 20
	s_cmp_lg_u32 s39, 0x7f00000
	s_cselect_b32 s39, s19, 0x7e
	s_mov_b32 s19, 0
	s_branch .LBB143_2184
.LBB143_2180:
	s_and_not1_b32 vcc_lo, exec_lo, s17
	s_cbranch_vccnz .LBB143_2177
.LBB143_2181:
	s_mov_b32 s16, s26
	s_delay_alu instid0(SALU_CYCLE_1) | instskip(NEXT) | instid1(SALU_CYCLE_1)
	s_and_b32 s17, s16, 0x7fffffff
	s_cmp_gt_u32 s17, 0x43efffff
	s_cbranch_scc0 .LBB143_2178
.LBB143_2182:
	s_mov_b32 s19, -1
                                        ; implicit-def: $vgpr0
	s_branch .LBB143_2187
.LBB143_2183:
	s_mov_b32 s19, -1
                                        ; implicit-def: $sgpr39
.LBB143_2184:
	v_mov_b32_e32 v0, s39
	s_and_not1_b32 vcc_lo, exec_lo, s19
	s_cbranch_vccnz .LBB143_2186
; %bb.2185:
	v_add_f32_e64 v0, 0x46800000, |s16|
.LBB143_2186:
	s_mov_b32 s19, 0
.LBB143_2187:
	s_delay_alu instid0(SALU_CYCLE_1)
	s_and_not1_b32 vcc_lo, exec_lo, s19
	s_cbranch_vccnz .LBB143_2189
; %bb.2188:
	s_cmp_gt_u32 s17, 0x7f800000
	s_movk_i32 s17, 0x7f
	s_delay_alu instid0(SALU_CYCLE_1) | instskip(NEXT) | instid1(SALU_CYCLE_1)
	s_cselect_b32 s17, s17, 0x7e
	v_mov_b32_e32 v0, s17
.LBB143_2189:
	s_lshr_b32 s16, s16, 24
	s_delay_alu instid0(SALU_CYCLE_1)
	s_and_b32 s16, s16, 0x80
	s_delay_alu instid0(VALU_DEP_1) | instid1(SALU_CYCLE_1)
	v_or_b32_e32 v0, s16, v0
	global_store_b8 v[10:11], v0, off
.LBB143_2190:
	s_mov_b32 s16, 0
.LBB143_2191:
	s_delay_alu instid0(SALU_CYCLE_1)
	s_and_not1_b32 vcc_lo, exec_lo, s16
	s_cbranch_vccnz .LBB143_2213
; %bb.2192:
	v_and_b32_e64 v0, 0xff, s25
	s_delay_alu instid0(VALU_DEP_1)
	v_cmp_gt_i16_e32 vcc_lo, 0x80, v0
	s_cbranch_vccnz .LBB143_2195
; %bb.2193:
	v_cmp_eq_u16_e32 vcc_lo, 0x80, v0
	s_cbranch_vccz .LBB143_2196
; %bb.2194:
	s_mov_b32 s17, 0
	s_mov_b32 s16, 0x7f800001
	s_branch .LBB143_2197
.LBB143_2195:
	s_mov_b32 s19, -1
	s_mov_b32 s17, 0
                                        ; implicit-def: $sgpr16
	s_branch .LBB143_2198
.LBB143_2196:
	s_mov_b32 s17, -1
                                        ; implicit-def: $sgpr16
.LBB143_2197:
	s_mov_b32 s19, 0
.LBB143_2198:
	s_delay_alu instid0(SALU_CYCLE_1)
	s_and_b32 vcc_lo, exec_lo, s19
	s_cbranch_vccz .LBB143_2203
; %bb.2199:
	v_cmp_ne_u16_e64 s17, 0, v0
	s_mov_b32 s16, 0
	s_delay_alu instid0(VALU_DEP_1)
	s_and_not1_b32 vcc_lo, exec_lo, s17
	s_cbranch_vccz .LBB143_2204
.LBB143_2200:
	s_and_b32 s17, s16, 0x7fffffff
	s_delay_alu instid0(SALU_CYCLE_1)
	s_cmp_gt_u32 s17, 0x477fffff
	s_cbranch_scc1 .LBB143_2205
.LBB143_2201:
	s_cmp_lt_u32 s17, 0x38800000
	s_cbranch_scc1 .LBB143_2206
; %bb.2202:
	s_bfe_u32 s19, s16, 0x10015
	s_delay_alu instid0(SALU_CYCLE_1) | instskip(NEXT) | instid1(SALU_CYCLE_1)
	s_add_i32 s19, s16, s19
	s_add_i32 s19, s19, 0x80fffff
	s_delay_alu instid0(SALU_CYCLE_1)
	s_lshr_b32 s39, s19, 21
	s_mov_b32 s19, 0
	s_branch .LBB143_2207
.LBB143_2203:
	s_and_not1_b32 vcc_lo, exec_lo, s17
	s_cbranch_vccnz .LBB143_2200
.LBB143_2204:
	s_mov_b32 s16, s26
	s_delay_alu instid0(SALU_CYCLE_1) | instskip(NEXT) | instid1(SALU_CYCLE_1)
	s_and_b32 s17, s16, 0x7fffffff
	s_cmp_gt_u32 s17, 0x477fffff
	s_cbranch_scc0 .LBB143_2201
.LBB143_2205:
	s_mov_b32 s19, -1
                                        ; implicit-def: $vgpr0
	s_branch .LBB143_2210
.LBB143_2206:
	s_mov_b32 s19, -1
                                        ; implicit-def: $sgpr39
.LBB143_2207:
	v_mov_b32_e32 v0, s39
	s_and_not1_b32 vcc_lo, exec_lo, s19
	s_cbranch_vccnz .LBB143_2209
; %bb.2208:
	v_add_f32_e64 v0, 0x43000000, |s16|
.LBB143_2209:
	s_mov_b32 s19, 0
.LBB143_2210:
	s_delay_alu instid0(SALU_CYCLE_1)
	s_and_not1_b32 vcc_lo, exec_lo, s19
	s_cbranch_vccnz .LBB143_2212
; %bb.2211:
	s_cmp_gt_u32 s17, 0x7f800000
	s_movk_i32 s17, 0x7f
	s_delay_alu instid0(SALU_CYCLE_1) | instskip(NEXT) | instid1(SALU_CYCLE_1)
	s_cselect_b32 s17, s17, 0x7c
	v_mov_b32_e32 v0, s17
.LBB143_2212:
	s_lshr_b32 s16, s16, 24
	s_delay_alu instid0(SALU_CYCLE_1)
	s_and_b32 s16, s16, 0x80
	s_delay_alu instid0(VALU_DEP_1) | instid1(SALU_CYCLE_1)
	v_or_b32_e32 v0, s16, v0
	global_store_b8 v[10:11], v0, off
.LBB143_2213:
	s_mov_b32 s17, 0
	s_mov_b32 s16, -1
.LBB143_2214:
	s_and_not1_b32 vcc_lo, exec_lo, s17
	s_cbranch_vccnz .LBB143_2242
; %bb.2215:
	v_cmp_lt_i16_e32 vcc_lo, 14, v13
	s_mov_b32 s17, -1
	s_cbranch_vccz .LBB143_2229
; %bb.2216:
	v_cmp_eq_u16_e32 vcc_lo, 15, v13
	s_mov_b32 s18, -1
	s_cbranch_vccz .LBB143_2228
; %bb.2217:
	v_and_b32_e64 v0, 0xff, s25
	s_delay_alu instid0(VALU_DEP_1)
	v_cmp_gt_i16_e32 vcc_lo, 0x80, v0
	s_cbranch_vccnz .LBB143_2220
; %bb.2218:
	v_cmp_eq_u16_e32 vcc_lo, 0x80, v0
	s_cbranch_vccz .LBB143_2221
; %bb.2219:
	s_mov_b32 s17, 0
	s_mov_b32 s16, 0x7f800001
	s_branch .LBB143_2222
.LBB143_2220:
	s_mov_b32 s17, 0
                                        ; implicit-def: $sgpr16
	s_branch .LBB143_2223
.LBB143_2221:
                                        ; implicit-def: $sgpr16
.LBB143_2222:
	s_mov_b32 s18, 0
.LBB143_2223:
	s_delay_alu instid0(SALU_CYCLE_1)
	s_and_b32 vcc_lo, exec_lo, s18
	s_cbranch_vccz .LBB143_2225
; %bb.2224:
	v_cmp_ne_u16_e64 s17, 0, v0
	s_mov_b32 s16, 0
.LBB143_2225:
	s_delay_alu instid0(VALU_DEP_1)
	s_and_not1_b32 vcc_lo, exec_lo, s17
	s_cbranch_vccnz .LBB143_2227
; %bb.2226:
	s_mov_b32 s16, s26
.LBB143_2227:
	s_delay_alu instid0(SALU_CYCLE_1) | instskip(SKIP_4) | instid1(SALU_CYCLE_1)
	s_bfe_u32 s17, s16, 0x10010
	s_mov_b32 s18, 0
	s_add_i32 s17, s16, s17
	v_cmp_o_f32_e64 s16, s16, s16
	s_addk_i32 s17, 0x7fff
	s_lshr_b32 s17, s17, 16
	s_delay_alu instid0(VALU_DEP_1) | instskip(SKIP_1) | instid1(SALU_CYCLE_1)
	s_and_b32 s16, s16, exec_lo
	s_cselect_b32 s16, s17, 0x7fc0
	v_mov_b32_e32 v0, s16
	s_mov_b32 s16, -1
	global_store_b16 v[10:11], v0, off
.LBB143_2228:
	s_mov_b32 s17, 0
.LBB143_2229:
	s_delay_alu instid0(SALU_CYCLE_1)
	s_and_b32 vcc_lo, exec_lo, s17
	s_cbranch_vccz .LBB143_2242
; %bb.2230:
	v_cmp_eq_u16_e32 vcc_lo, 11, v13
	s_mov_b32 s18, -1
	s_cbranch_vccz .LBB143_2242
; %bb.2231:
	v_and_b32_e64 v0, 0xff, s25
	s_delay_alu instid0(VALU_DEP_1)
	v_cmp_gt_i16_e32 vcc_lo, 0x80, v0
	s_cbranch_vccnz .LBB143_2234
; %bb.2232:
	v_cmp_eq_u16_e32 vcc_lo, 0x80, v0
	s_cbranch_vccz .LBB143_2235
; %bb.2233:
	s_mov_b32 s17, 0
	s_mov_b32 s16, -1
	s_branch .LBB143_2236
.LBB143_2234:
	s_mov_b32 s17, 0
                                        ; implicit-def: $sgpr16
	s_branch .LBB143_2237
.LBB143_2235:
	s_mov_b32 s17, -1
                                        ; implicit-def: $sgpr16
.LBB143_2236:
	s_mov_b32 s18, 0
.LBB143_2237:
	s_delay_alu instid0(SALU_CYCLE_1)
	s_and_b32 vcc_lo, exec_lo, s18
	s_cbranch_vccz .LBB143_2239
; %bb.2238:
	v_cmp_ne_u16_e64 s17, 0, v0
	s_mov_b32 s16, 0
.LBB143_2239:
	s_delay_alu instid0(VALU_DEP_1)
	s_and_not1_b32 vcc_lo, exec_lo, s17
	s_cbranch_vccnz .LBB143_2241
; %bb.2240:
	s_mov_b32 s16, s27
.LBB143_2241:
	s_delay_alu instid0(SALU_CYCLE_1)
	v_cndmask_b32_e64 v0, 0, 1, s16
	s_mov_b32 s16, -1
	s_mov_b32 s18, 0
	global_store_b8 v[10:11], v0, off
.LBB143_2242:
.LBB143_2243:
	s_and_not1_b32 vcc_lo, exec_lo, s16
	s_cbranch_vccnz .LBB143_1630
.LBB143_2244:
	v_add_nc_u32_e32 v16, 0x80, v16
	s_mov_b32 s16, -1
.LBB143_2245:
	s_and_not1_b32 s17, s36, exec_lo
	s_and_b32 s18, s18, exec_lo
	s_or_not1_b32 s39, s16, exec_lo
	s_or_b32 s18, s17, s18
.LBB143_2246:
	s_or_b32 exec_lo, exec_lo, s38
	s_mov_b32 s16, 0
	s_mov_b32 s17, 0
                                        ; implicit-def: $vgpr10_vgpr11
	s_and_saveexec_b32 s19, s39
	s_cbranch_execz .LBB143_2570
; %bb.2247:
	v_cmp_gt_i32_e32 vcc_lo, s30, v16
	s_mov_b32 s38, s18
                                        ; implicit-def: $vgpr10_vgpr11
	s_and_saveexec_b32 s30, vcc_lo
	s_cbranch_execz .LBB143_2569
; %bb.2248:
	s_and_not1_b32 vcc_lo, exec_lo, s23
	s_cbranch_vccnz .LBB143_2253
; %bb.2249:
	v_mov_b32_e32 v0, 0
	s_and_not1_b32 vcc_lo, exec_lo, s33
	s_cbranch_vccnz .LBB143_2258
; %bb.2250:
	s_add_i32 s33, s31, 1
	s_cmp_eq_u32 s21, 2
	s_mov_b32 s31, 0
	s_cbranch_scc1 .LBB143_2254
; %bb.2251:
	v_dual_mov_b32 v0, 0 :: v_dual_mov_b32 v1, v16
	s_and_b32 s31, s33, 28
	s_mov_b32 s38, 0
	s_mov_b64 s[16:17], s[2:3]
.LBB143_2252:                           ; =>This Inner Loop Header: Depth=1
	s_clause 0x1
	s_load_b256 s[40:47], s[16:17], 0x4
	s_load_b128 s[48:51], s[16:17], 0x24
	s_load_b128 s[52:55], s[14:15], 0x0
	s_add_u32 s16, s16, 48
	s_addc_u32 s17, s17, 0
	s_add_i32 s38, s38, 4
	s_add_u32 s14, s14, 16
	s_addc_u32 s15, s15, 0
	s_cmp_eq_u32 s31, s38
	s_waitcnt lgkmcnt(0)
	v_mul_hi_u32 v2, s41, v1
	s_delay_alu instid0(VALU_DEP_1) | instskip(NEXT) | instid1(VALU_DEP_1)
	v_add_nc_u32_e32 v2, v1, v2
	v_lshrrev_b32_e32 v2, s42, v2
	s_delay_alu instid0(VALU_DEP_1) | instskip(SKIP_1) | instid1(VALU_DEP_2)
	v_mul_hi_u32 v3, s44, v2
	v_mul_lo_u32 v18, v2, s40
	v_add_nc_u32_e32 v3, v2, v3
	s_delay_alu instid0(VALU_DEP_2) | instskip(NEXT) | instid1(VALU_DEP_2)
	v_sub_nc_u32_e32 v18, v1, v18
	v_lshrrev_b32_e32 v3, s45, v3
	s_delay_alu instid0(VALU_DEP_2) | instskip(NEXT) | instid1(VALU_DEP_2)
	v_mul_lo_u32 v18, v18, s52
	v_mul_hi_u32 v10, s47, v3
	v_mul_lo_u32 v19, v3, s43
	s_delay_alu instid0(VALU_DEP_2) | instskip(NEXT) | instid1(VALU_DEP_2)
	v_add_nc_u32_e32 v10, v3, v10
	v_sub_nc_u32_e32 v2, v2, v19
	s_delay_alu instid0(VALU_DEP_2) | instskip(NEXT) | instid1(VALU_DEP_2)
	v_lshrrev_b32_e32 v10, s48, v10
	v_mul_lo_u32 v2, v2, s53
	s_delay_alu instid0(VALU_DEP_2) | instskip(NEXT) | instid1(VALU_DEP_2)
	v_mul_hi_u32 v11, s50, v10
	v_add3_u32 v0, v18, v0, v2
	s_delay_alu instid0(VALU_DEP_2) | instskip(NEXT) | instid1(VALU_DEP_1)
	v_add_nc_u32_e32 v11, v10, v11
	v_lshrrev_b32_e32 v1, s51, v11
	v_mul_lo_u32 v11, v10, s46
	s_delay_alu instid0(VALU_DEP_2) | instskip(NEXT) | instid1(VALU_DEP_2)
	v_mul_lo_u32 v20, v1, s49
	v_sub_nc_u32_e32 v3, v3, v11
	s_delay_alu instid0(VALU_DEP_2) | instskip(NEXT) | instid1(VALU_DEP_2)
	v_sub_nc_u32_e32 v10, v10, v20
	v_mul_lo_u32 v3, v3, s54
	s_delay_alu instid0(VALU_DEP_2) | instskip(NEXT) | instid1(VALU_DEP_1)
	v_mul_lo_u32 v10, v10, s55
	v_add3_u32 v0, v3, v0, v10
	s_cbranch_scc0 .LBB143_2252
	s_branch .LBB143_2255
.LBB143_2253:
	s_mov_b32 s14, -1
                                        ; implicit-def: $vgpr0
	s_branch .LBB143_2259
.LBB143_2254:
	v_mov_b32_e32 v1, v16
.LBB143_2255:
	s_and_b32 s33, s33, 3
	s_delay_alu instid0(SALU_CYCLE_1)
	s_cmp_eq_u32 s33, 0
	s_cbranch_scc1 .LBB143_2258
; %bb.2256:
	s_lshl_b32 s14, s31, 2
	s_mul_i32 s16, s31, 12
	s_add_u32 s14, s14, s2
	s_addc_u32 s15, s3, 0
	s_add_u32 s14, s14, 0xc4
	s_addc_u32 s15, s15, 0
	;; [unrolled: 2-line block ×3, first 2 shown]
.LBB143_2257:                           ; =>This Inner Loop Header: Depth=1
	s_clause 0x1
	s_load_b64 s[38:39], s[16:17], 0x4
	s_load_b32 s31, s[16:17], 0xc
	s_add_u32 s16, s16, 12
	s_addc_u32 s17, s17, 0
	s_waitcnt lgkmcnt(0)
	v_mul_hi_u32 v2, s39, v1
	s_load_b32 s39, s[14:15], 0x0
	s_add_u32 s14, s14, 4
	s_addc_u32 s15, s15, 0
	s_add_i32 s33, s33, -1
	s_delay_alu instid0(SALU_CYCLE_1) | instskip(NEXT) | instid1(VALU_DEP_1)
	s_cmp_lg_u32 s33, 0
	v_add_nc_u32_e32 v2, v1, v2
	s_delay_alu instid0(VALU_DEP_1) | instskip(NEXT) | instid1(VALU_DEP_1)
	v_lshrrev_b32_e32 v10, s31, v2
	v_mul_lo_u32 v2, v10, s38
	s_delay_alu instid0(VALU_DEP_1) | instskip(SKIP_1) | instid1(VALU_DEP_1)
	v_sub_nc_u32_e32 v1, v1, v2
	s_waitcnt lgkmcnt(0)
	v_mad_u64_u32 v[2:3], null, v1, s39, v[0:1]
	v_mov_b32_e32 v1, v10
	s_delay_alu instid0(VALU_DEP_2)
	v_mov_b32_e32 v0, v2
	s_cbranch_scc1 .LBB143_2257
.LBB143_2258:
	s_mov_b32 s14, 0
.LBB143_2259:
	s_delay_alu instid0(SALU_CYCLE_1)
	s_and_not1_b32 vcc_lo, exec_lo, s14
	s_cbranch_vccnz .LBB143_2262
; %bb.2260:
	s_waitcnt lgkmcnt(0)
	v_mul_hi_u32 v0, s5, v16
	s_and_not1_b32 vcc_lo, exec_lo, s29
	s_delay_alu instid0(VALU_DEP_1) | instskip(NEXT) | instid1(VALU_DEP_1)
	v_add_nc_u32_e32 v0, v16, v0
	v_lshrrev_b32_e32 v1, s6, v0
	s_delay_alu instid0(VALU_DEP_1) | instskip(NEXT) | instid1(VALU_DEP_1)
	v_mul_lo_u32 v0, v1, s4
	v_sub_nc_u32_e32 v0, v16, v0
	s_delay_alu instid0(VALU_DEP_1)
	v_mul_lo_u32 v0, v0, s10
	s_cbranch_vccnz .LBB143_2262
; %bb.2261:
	v_mul_hi_u32 v2, s12, v1
	s_delay_alu instid0(VALU_DEP_1) | instskip(NEXT) | instid1(VALU_DEP_1)
	v_add_nc_u32_e32 v2, v1, v2
	v_lshrrev_b32_e32 v2, s13, v2
	s_delay_alu instid0(VALU_DEP_1) | instskip(NEXT) | instid1(VALU_DEP_1)
	v_mul_lo_u32 v2, v2, s7
	v_sub_nc_u32_e32 v3, v1, v2
	s_delay_alu instid0(VALU_DEP_1) | instskip(NEXT) | instid1(VALU_DEP_1)
	v_mad_u64_u32 v[1:2], null, v3, s11, v[0:1]
	v_mov_b32_e32 v0, v1
.LBB143_2262:
	v_cmp_gt_i16_e32 vcc_lo, 11, v13
	s_waitcnt lgkmcnt(0)
	s_delay_alu instid0(VALU_DEP_2) | instskip(NEXT) | instid1(VALU_DEP_1)
	v_add_co_u32 v10, s4, s8, v0
	v_add_co_ci_u32_e64 v11, null, s9, 0, s4
	s_mov_b32 s6, 0
	s_mov_b32 s5, -1
	s_mov_b32 s4, s18
	s_cbranch_vccnz .LBB143_2568
; %bb.2263:
	v_cmp_lt_i16_e32 vcc_lo, 25, v13
	s_mov_b32 s4, s18
	s_cbranch_vccz .LBB143_2481
; %bb.2264:
	v_cmp_lt_i16_e32 vcc_lo, 28, v13
	s_mov_b32 s4, s18
	s_cbranch_vccz .LBB143_2457
	;; [unrolled: 4-line block ×4, first 2 shown]
; %bb.2267:
	v_cmp_eq_u16_e32 vcc_lo, 46, v13
	s_mov_b32 s4, -1
	s_cbranch_vccz .LBB143_2278
; %bb.2268:
	v_and_b32_e64 v0, 0xff, s25
	s_delay_alu instid0(VALU_DEP_1)
	v_cmp_gt_i16_e32 vcc_lo, 0x80, v0
	s_cbranch_vccnz .LBB143_2271
; %bb.2269:
	v_cmp_eq_u16_e32 vcc_lo, 0x80, v0
	s_cbranch_vccz .LBB143_2272
; %bb.2270:
	s_mov_b32 s5, 0
	s_mov_b32 s4, 0x7f800001
	s_branch .LBB143_2273
.LBB143_2271:
	s_mov_b32 s6, -1
	s_mov_b32 s5, 0
.LBB143_2272:
                                        ; implicit-def: $sgpr4
.LBB143_2273:
	s_and_b32 vcc_lo, exec_lo, s6
	s_cbranch_vccz .LBB143_2275
; %bb.2274:
	v_cmp_ne_u16_e64 s5, 0, v0
	s_mov_b32 s4, 0
.LBB143_2275:
	s_delay_alu instid0(VALU_DEP_1)
	s_and_not1_b32 vcc_lo, exec_lo, s5
	s_cbranch_vccnz .LBB143_2277
; %bb.2276:
	s_mov_b32 s4, s26
.LBB143_2277:
	s_delay_alu instid0(SALU_CYCLE_1) | instskip(NEXT) | instid1(SALU_CYCLE_1)
	s_bfe_u32 s5, s4, 0x10010
	s_add_i32 s5, s4, s5
	v_cmp_o_f32_e64 s4, s4, s4
	s_addk_i32 s5, 0x7fff
	s_delay_alu instid0(SALU_CYCLE_1) | instskip(NEXT) | instid1(VALU_DEP_1)
	s_lshr_b32 s5, s5, 16
	s_and_b32 s4, s4, exec_lo
	s_cselect_b32 s4, s5, 0x7fc0
	s_delay_alu instid0(SALU_CYCLE_1)
	v_mov_b32_e32 v0, s4
	s_mov_b32 s4, 0
	global_store_b32 v[10:11], v0, off
.LBB143_2278:
	s_mov_b32 s5, 0
.LBB143_2279:
	s_delay_alu instid0(SALU_CYCLE_1)
	s_and_b32 vcc_lo, exec_lo, s5
	s_cbranch_vccz .LBB143_2443
; %bb.2280:
	v_cmp_eq_u16_e32 vcc_lo, 44, v13
	s_mov_b32 s4, -1
	s_cbranch_vccz .LBB143_2443
; %bb.2281:
	v_and_b32_e64 v0, 0xff, s25
	s_delay_alu instid0(VALU_DEP_1)
	v_cmp_gt_i16_e32 vcc_lo, 0x80, v0
	v_readfirstlane_b32 s5, v0
	s_cbranch_vccnz .LBB143_2284
; %bb.2282:
	s_delay_alu instid0(VALU_DEP_1) | instskip(NEXT) | instid1(VALU_DEP_1)
	v_cmp_eq_u16_e64 s4, 0x80, s5
	s_and_b32 vcc_lo, exec_lo, s4
	s_cbranch_vccz .LBB143_2436
; %bb.2283:
	s_mov_b32 s6, 0
	s_mov_b32 s4, 0x7f800001
	s_branch .LBB143_2437
.LBB143_2284:
	s_mov_b32 s7, -1
	s_mov_b32 s6, 0
                                        ; implicit-def: $sgpr4
	s_branch .LBB143_2438
.LBB143_2285:
                                        ; implicit-def: $sgpr0
.LBB143_2286:
	s_mov_b32 s2, 0
.LBB143_2287:
	s_delay_alu instid0(SALU_CYCLE_1)
	s_and_b32 vcc_lo, exec_lo, s2
	s_cbranch_vccz .LBB143_2289
; %bb.2288:
	v_cmp_ne_u16_e64 s1, 0, v0
	s_mov_b32 s0, 0
.LBB143_2289:
	s_delay_alu instid0(VALU_DEP_1)
	s_and_not1_b32 vcc_lo, exec_lo, s1
	s_cbranch_vccnz .LBB143_2291
; %bb.2290:
	v_lshrrev_b16 v0, 3, s6
	s_and_b32 s0, s6, 7
	s_lshl_b32 s5, s6, 24
	s_clz_i32_u32 s1, s0
	s_delay_alu instid0(SALU_CYCLE_1) | instskip(SKIP_4) | instid1(VALU_DEP_1)
	s_min_u32 s1, s1, 32
	v_readfirstlane_b32 s2, v0
	s_sub_i32 s3, s1, 28
	s_sub_i32 s1, 29, s1
	s_lshl_b32 s3, s6, s3
	s_and_b32 s2, s2, 15
	s_and_b32 s3, s3, 7
	s_cmp_eq_u32 s2, 0
	s_cselect_b32 s1, s1, s2
	s_cselect_b32 s0, s3, s0
	s_lshl_b32 s1, s1, 23
	s_and_b32 s2, s5, 0x80000000
	s_add_i32 s1, s1, 0x3b800000
	s_lshl_b32 s0, s0, 20
	s_or_b32 s1, s2, s1
	s_delay_alu instid0(SALU_CYCLE_1)
	s_or_b32 s0, s1, s0
.LBB143_2291:
	s_delay_alu instid0(SALU_CYCLE_1) | instskip(NEXT) | instid1(SALU_CYCLE_1)
	s_bfe_u32 s1, s0, 0x10010
	s_add_i32 s1, s0, s1
	v_cmp_o_f32_e64 s0, s0, s0
	s_addk_i32 s1, 0x7fff
	s_delay_alu instid0(SALU_CYCLE_1) | instskip(NEXT) | instid1(VALU_DEP_1)
	s_lshr_b32 s1, s1, 16
	s_and_b32 s0, s0, exec_lo
	s_cselect_b32 s0, s1, 0x7fc0
	s_delay_alu instid0(SALU_CYCLE_1)
	v_mov_b32_e32 v0, s0
	s_mov_b32 s0, 0
	global_store_b32 v[4:5], v0, off
.LBB143_2292:
	s_mov_b32 s1, 0
.LBB143_2293:
	s_delay_alu instid0(SALU_CYCLE_1)
	s_and_b32 vcc_lo, exec_lo, s1
	s_cbranch_vccz .LBB143_2306
; %bb.2294:
	v_cmp_eq_u16_e32 vcc_lo, 44, v6
	s_mov_b32 s0, -1
	s_cbranch_vccz .LBB143_2306
; %bb.2295:
	v_and_b32_e64 v0, 0xff, s6
	s_delay_alu instid0(VALU_DEP_1)
	v_cmp_gt_i16_e32 vcc_lo, 0x80, v0
	v_readfirstlane_b32 s1, v0
	s_cbranch_vccnz .LBB143_2298
; %bb.2296:
	s_delay_alu instid0(VALU_DEP_1) | instskip(NEXT) | instid1(VALU_DEP_1)
	v_cmp_eq_u16_e64 s0, 0x80, s1
	s_and_b32 vcc_lo, exec_lo, s0
	s_cbranch_vccz .LBB143_2299
; %bb.2297:
	s_mov_b32 s2, 0
	s_mov_b32 s0, 0x7f800001
	s_branch .LBB143_2300
.LBB143_2298:
	s_mov_b32 s3, -1
	s_mov_b32 s2, 0
                                        ; implicit-def: $sgpr0
	s_branch .LBB143_2301
.LBB143_2299:
	s_mov_b32 s2, -1
                                        ; implicit-def: $sgpr0
.LBB143_2300:
	s_mov_b32 s3, 0
.LBB143_2301:
	s_delay_alu instid0(SALU_CYCLE_1)
	s_and_b32 vcc_lo, exec_lo, s3
	s_cbranch_vccz .LBB143_2311
; %bb.2302:
	v_cmp_ne_u16_e64 s2, s1, 0
	s_and_b32 s0, 0xffff, s1
	s_delay_alu instid0(VALU_DEP_1)
	s_and_not1_b32 vcc_lo, exec_lo, s2
	s_cbranch_vccz .LBB143_2312
.LBB143_2303:
	v_mov_b32_e32 v0, 0xff
	s_bfe_u32 s1, s0, 0x80017
	s_delay_alu instid0(SALU_CYCLE_1)
	s_cmpk_eq_i32 s1, 0xff
	s_cbranch_scc1 .LBB143_2305
.LBB143_2304:
	s_lshr_b32 s2, s0, 23
	s_bitcmp1_b32 s0, 22
	s_cselect_b32 s3, -1, 0
	s_and_b32 s0, s0, 0x3fffff
	s_delay_alu instid0(SALU_CYCLE_1) | instskip(NEXT) | instid1(SALU_CYCLE_1)
	s_or_b32 s0, s1, s0
	s_cmp_lg_u32 s0, 0
	s_cselect_b32 s0, -1, 0
	s_delay_alu instid0(SALU_CYCLE_1) | instskip(NEXT) | instid1(SALU_CYCLE_1)
	s_and_b32 s0, s3, s0
	v_cndmask_b32_e64 v0, 0, 1, s0
	s_delay_alu instid0(VALU_DEP_1)
	v_add_nc_u32_e32 v0, s2, v0
.LBB143_2305:
	s_mov_b32 s0, 0
	global_store_b8 v[4:5], v0, off
.LBB143_2306:
	s_mov_b32 s1, 0
.LBB143_2307:
	s_delay_alu instid0(SALU_CYCLE_1)
	s_and_b32 vcc_lo, exec_lo, s1
	s_cbranch_vccz .LBB143_2319
; %bb.2308:
	v_cmp_eq_u16_e32 vcc_lo, 29, v6
	s_mov_b32 s0, -1
	s_cbranch_vccz .LBB143_2319
; %bb.2309:
	v_and_b32_e64 v0, 0xff, s6
	s_delay_alu instid0(VALU_DEP_1)
	v_cmp_gt_i16_e32 vcc_lo, 0x80, v0
	s_cbranch_vccnz .LBB143_2313
; %bb.2310:
	v_cmp_ne_u16_e64 s2, 0x80, v0
	s_mov_b32 s3, 0
	s_mov_b64 s[0:1], 0
	s_branch .LBB143_2314
.LBB143_2311:
	s_and_not1_b32 vcc_lo, exec_lo, s2
	s_cbranch_vccnz .LBB143_2303
.LBB143_2312:
	v_lshrrev_b16 v0, 3, s6
	s_and_b32 s0, s6, 7
	s_delay_alu instid0(SALU_CYCLE_1) | instskip(NEXT) | instid1(SALU_CYCLE_1)
	s_clz_i32_u32 s1, s0
	s_min_u32 s1, s1, 32
	s_delay_alu instid0(VALU_DEP_1) | instskip(SKIP_3) | instid1(VALU_DEP_1)
	v_readfirstlane_b32 s2, v0
	s_sub_i32 s3, s1, 28
	s_sub_i32 s1, 29, s1
	s_lshl_b32 s3, s6, s3
	s_and_b32 s2, s2, 15
	s_and_b32 s3, s3, 7
	s_cmp_eq_u32 s2, 0
	s_cselect_b32 s0, s3, s0
	s_cselect_b32 s1, s1, s2
	s_lshl_b32 s0, s0, 20
	s_lshl_b32 s1, s1, 23
	s_delay_alu instid0(SALU_CYCLE_1) | instskip(NEXT) | instid1(SALU_CYCLE_1)
	s_or_b32 s0, s1, s0
	s_add_i32 s0, s0, 0x3b800000
	v_mov_b32_e32 v0, 0xff
	s_bfe_u32 s1, s0, 0x80017
	s_delay_alu instid0(SALU_CYCLE_1)
	s_cmpk_eq_i32 s1, 0xff
	s_cbranch_scc0 .LBB143_2304
	s_branch .LBB143_2305
.LBB143_2313:
	s_mov_b32 s3, -1
	s_mov_b32 s2, 0
                                        ; implicit-def: $sgpr0_sgpr1
.LBB143_2314:
	s_and_not1_b32 vcc_lo, exec_lo, s3
	s_cbranch_vccnz .LBB143_2316
; %bb.2315:
	v_cmp_ne_u16_e64 s2, 0, v0
	s_mov_b64 s[0:1], 0
.LBB143_2316:
	s_delay_alu instid0(SALU_CYCLE_1) | instskip(NEXT) | instid1(VALU_DEP_2)
	v_dual_mov_b32 v0, s0 :: v_dual_mov_b32 v1, s1
	s_and_not1_b32 vcc_lo, exec_lo, s2
	s_cbranch_vccnz .LBB143_2318
; %bb.2317:
	v_lshrrev_b16 v0, 3, s6
	s_and_b32 s0, s6, 7
	s_lshl_b32 s3, s6, 24
	s_clz_i32_u32 s1, s0
	s_delay_alu instid0(SALU_CYCLE_1) | instskip(SKIP_4) | instid1(VALU_DEP_1)
	s_min_u32 s1, s1, 32
	v_readfirstlane_b32 s2, v0
	s_sub_i32 s5, s1, 28
	s_sub_i32 s1, 29, s1
	s_lshl_b32 s5, s6, s5
	s_and_b32 s2, s2, 15
	s_and_b32 s5, s5, 7
	s_cmp_eq_u32 s2, 0
	s_cselect_b32 s1, s1, s2
	s_cselect_b32 s0, s5, s0
	s_lshl_b32 s1, s1, 23
	s_and_b32 s2, s3, 0x80000000
	s_add_i32 s1, s1, 0x3b800000
	s_lshl_b32 s0, s0, 20
	s_or_b32 s1, s2, s1
	s_delay_alu instid0(SALU_CYCLE_1) | instskip(NEXT) | instid1(SALU_CYCLE_1)
	s_or_b32 s0, s1, s0
	v_trunc_f32_e32 v0, s0
	s_delay_alu instid0(VALU_DEP_1) | instskip(NEXT) | instid1(VALU_DEP_1)
	v_mul_f32_e32 v1, 0x2f800000, v0
	v_floor_f32_e32 v1, v1
	s_delay_alu instid0(VALU_DEP_1) | instskip(SKIP_1) | instid1(VALU_DEP_2)
	v_fmamk_f32 v0, v1, 0xcf800000, v0
	v_cvt_u32_f32_e32 v1, v1
	v_cvt_u32_f32_e32 v0, v0
.LBB143_2318:
	s_mov_b32 s0, 0
	global_store_b64 v[4:5], v[0:1], off
.LBB143_2319:
	s_mov_b32 s1, 0
.LBB143_2320:
	s_delay_alu instid0(SALU_CYCLE_1)
	s_and_b32 vcc_lo, exec_lo, s1
	s_cbranch_vccz .LBB143_2343
; %bb.2321:
	v_cmp_gt_i16_e32 vcc_lo, 27, v6
	s_mov_b32 s1, -1
	s_cbranch_vccnz .LBB143_2341
; %bb.2322:
	v_cmp_lt_i16_e32 vcc_lo, 27, v6
	s_cbranch_vccz .LBB143_2331
; %bb.2323:
	v_and_b32_e64 v0, 0xff, s6
	s_delay_alu instid0(VALU_DEP_1)
	v_cmp_gt_i16_e32 vcc_lo, 0x80, v0
	s_cbranch_vccnz .LBB143_2325
; %bb.2324:
	v_cmp_ne_u16_e64 s1, 0x80, v0
	s_mov_b32 s3, 0
	s_mov_b32 s2, 0
	s_branch .LBB143_2326
.LBB143_2325:
	s_mov_b32 s3, -1
	s_mov_b32 s1, 0
                                        ; implicit-def: $sgpr2
.LBB143_2326:
	s_and_not1_b32 vcc_lo, exec_lo, s3
	s_cbranch_vccnz .LBB143_2328
; %bb.2327:
	v_cmp_ne_u16_e64 s1, 0, v0
	s_mov_b32 s2, 0
.LBB143_2328:
	s_delay_alu instid0(SALU_CYCLE_1) | instskip(NEXT) | instid1(VALU_DEP_2)
	v_mov_b32_e32 v0, s2
	s_and_not1_b32 vcc_lo, exec_lo, s1
	s_cbranch_vccnz .LBB143_2330
; %bb.2329:
	v_lshrrev_b16 v0, 3, s6
	s_and_b32 s1, s6, 7
	s_lshl_b32 s10, s6, 24
	s_clz_i32_u32 s2, s1
	s_delay_alu instid0(SALU_CYCLE_1) | instskip(SKIP_4) | instid1(VALU_DEP_1)
	s_min_u32 s2, s2, 32
	v_readfirstlane_b32 s3, v0
	s_sub_i32 s5, s2, 28
	s_sub_i32 s2, 29, s2
	s_lshl_b32 s5, s6, s5
	s_and_b32 s3, s3, 15
	s_and_b32 s5, s5, 7
	s_cmp_eq_u32 s3, 0
	s_cselect_b32 s2, s2, s3
	s_cselect_b32 s1, s5, s1
	s_lshl_b32 s2, s2, 23
	s_and_b32 s3, s10, 0x80000000
	s_add_i32 s2, s2, 0x3b800000
	s_lshl_b32 s1, s1, 20
	s_or_b32 s2, s3, s2
	s_delay_alu instid0(SALU_CYCLE_1) | instskip(NEXT) | instid1(SALU_CYCLE_1)
	s_or_b32 s1, s2, s1
	v_cvt_u32_f32_e32 v0, s1
.LBB143_2330:
	s_mov_b32 s1, 0
	global_store_b32 v[4:5], v0, off
.LBB143_2331:
	s_and_b32 vcc_lo, exec_lo, s1
	s_cbranch_vccz .LBB143_2340
; %bb.2332:
	v_and_b32_e64 v0, 0xff, s6
	s_delay_alu instid0(VALU_DEP_1)
	v_cmp_gt_i16_e32 vcc_lo, 0x80, v0
	s_cbranch_vccnz .LBB143_2334
; %bb.2333:
	v_cmp_ne_u16_e64 s1, 0x80, v0
	s_mov_b32 s3, 0
	s_mov_b32 s2, 0
	s_branch .LBB143_2335
.LBB143_2334:
	s_mov_b32 s3, -1
	s_mov_b32 s1, 0
                                        ; implicit-def: $sgpr2
.LBB143_2335:
	s_and_not1_b32 vcc_lo, exec_lo, s3
	s_cbranch_vccnz .LBB143_2337
; %bb.2336:
	v_cmp_ne_u16_e64 s1, 0, v0
	s_mov_b32 s2, 0
.LBB143_2337:
	s_delay_alu instid0(SALU_CYCLE_1) | instskip(NEXT) | instid1(VALU_DEP_2)
	v_mov_b32_e32 v0, s2
	s_and_not1_b32 vcc_lo, exec_lo, s1
	s_cbranch_vccnz .LBB143_2339
; %bb.2338:
	v_lshrrev_b16 v0, 3, s6
	s_and_b32 s1, s6, 7
	s_lshl_b32 s10, s6, 24
	s_clz_i32_u32 s2, s1
	s_delay_alu instid0(SALU_CYCLE_1) | instskip(SKIP_4) | instid1(VALU_DEP_1)
	s_min_u32 s2, s2, 32
	v_readfirstlane_b32 s3, v0
	s_sub_i32 s5, s2, 28
	s_sub_i32 s2, 29, s2
	s_lshl_b32 s5, s6, s5
	s_and_b32 s3, s3, 15
	s_and_b32 s5, s5, 7
	s_cmp_eq_u32 s3, 0
	s_cselect_b32 s2, s2, s3
	s_cselect_b32 s1, s5, s1
	s_lshl_b32 s2, s2, 23
	s_and_b32 s3, s10, 0x80000000
	s_add_i32 s2, s2, 0x3b800000
	s_lshl_b32 s1, s1, 20
	s_or_b32 s2, s3, s2
	s_delay_alu instid0(SALU_CYCLE_1) | instskip(NEXT) | instid1(SALU_CYCLE_1)
	s_or_b32 s1, s2, s1
	v_cvt_u32_f32_e32 v0, s1
.LBB143_2339:
	global_store_b16 v[4:5], v0, off
.LBB143_2340:
	s_mov_b32 s1, 0
.LBB143_2341:
	s_delay_alu instid0(SALU_CYCLE_1)
	s_and_not1_b32 vcc_lo, exec_lo, s1
	s_cbranch_vccnz .LBB143_2343
; %bb.2342:
	v_mov_b32_e32 v0, s6
	global_store_b8 v[4:5], v0, off
.LBB143_2343:
	s_mov_b32 s1, 0
.LBB143_2344:
	s_delay_alu instid0(SALU_CYCLE_1)
	s_and_b32 vcc_lo, exec_lo, s1
	s_cbranch_vccz .LBB143_2430
; %bb.2345:
	v_cmp_lt_i16_e32 vcc_lo, 22, v6
	s_mov_b32 s1, -1
	s_cbranch_vccz .LBB143_2413
; %bb.2346:
	v_cmp_gt_i16_e32 vcc_lo, 24, v6
	s_cbranch_vccnz .LBB143_2390
; %bb.2347:
	v_cmp_lt_i16_e32 vcc_lo, 24, v6
	s_cbranch_vccz .LBB143_2367
; %bb.2348:
	v_and_b32_e64 v0, 0xff, s6
	s_delay_alu instid0(VALU_DEP_1)
	v_cmp_gt_i16_e32 vcc_lo, 0x80, v0
	s_cbranch_vccnz .LBB143_2351
; %bb.2349:
	v_cmp_eq_u16_e32 vcc_lo, 0x80, v0
	s_cbranch_vccz .LBB143_2352
; %bb.2350:
	s_mov_b32 s2, 0
	s_mov_b32 s1, 0x7f800001
	s_branch .LBB143_2353
.LBB143_2351:
	s_mov_b32 s3, -1
	s_mov_b32 s2, 0
                                        ; implicit-def: $sgpr1
	s_branch .LBB143_2354
.LBB143_2352:
	s_mov_b32 s2, -1
                                        ; implicit-def: $sgpr1
.LBB143_2353:
	s_mov_b32 s3, 0
.LBB143_2354:
	s_delay_alu instid0(SALU_CYCLE_1)
	s_and_b32 vcc_lo, exec_lo, s3
	s_cbranch_vccz .LBB143_2357
; %bb.2355:
	v_cmp_ne_u16_e64 s2, 0, v0
	s_mov_b32 s1, 0
	s_delay_alu instid0(VALU_DEP_1)
	s_and_not1_b32 vcc_lo, exec_lo, s2
	s_cbranch_vccz .LBB143_2358
.LBB143_2356:
	v_mov_b32_e32 v1, 0x80
	s_and_b32 s2, s1, 0x7fffffff
	s_delay_alu instid0(SALU_CYCLE_1)
	s_cmp_gt_u32 s2, 0x477fffff
	s_cbranch_scc0 .LBB143_2359
	s_branch .LBB143_2366
.LBB143_2357:
	s_and_not1_b32 vcc_lo, exec_lo, s2
	s_cbranch_vccnz .LBB143_2356
.LBB143_2358:
	v_lshrrev_b16 v0, 3, s6
	s_and_b32 s1, s6, 7
	s_lshl_b32 s5, s6, 24
	s_clz_i32_u32 s2, s1
	s_delay_alu instid0(SALU_CYCLE_1) | instskip(SKIP_4) | instid1(VALU_DEP_1)
	s_min_u32 s2, s2, 32
	v_readfirstlane_b32 s3, v0
	s_sub_i32 s4, s2, 28
	s_sub_i32 s2, 29, s2
	s_lshl_b32 s4, s6, s4
	s_and_b32 s3, s3, 15
	s_and_b32 s4, s4, 7
	s_cmp_eq_u32 s3, 0
	s_cselect_b32 s2, s2, s3
	s_cselect_b32 s1, s4, s1
	s_lshl_b32 s2, s2, 23
	s_and_b32 s3, s5, 0x80000000
	s_add_i32 s2, s2, 0x3b800000
	s_lshl_b32 s1, s1, 20
	s_or_b32 s2, s3, s2
	s_delay_alu instid0(SALU_CYCLE_1) | instskip(SKIP_2) | instid1(SALU_CYCLE_1)
	s_or_b32 s1, s2, s1
	v_mov_b32_e32 v1, 0x80
	s_and_b32 s2, s1, 0x7fffffff
	s_cmp_gt_u32 s2, 0x477fffff
	s_cbranch_scc1 .LBB143_2366
.LBB143_2359:
	s_cmp_gt_u32 s2, 0x37ffffff
	s_cbranch_scc0 .LBB143_2361
; %bb.2360:
	s_bfe_u32 s2, s1, 0x10015
	s_mov_b32 s3, 0
	s_add_i32 s2, s1, s2
	s_delay_alu instid0(SALU_CYCLE_1) | instskip(NEXT) | instid1(SALU_CYCLE_1)
	s_add_i32 s2, s2, 0x88fffff
	s_lshr_b32 s4, s2, 21
	s_mov_b32 s2, -1
	s_branch .LBB143_2362
.LBB143_2361:
	s_mov_b32 s3, -1
	s_mov_b32 s2, 0
                                        ; implicit-def: $sgpr4
.LBB143_2362:
	v_mov_b32_e32 v0, s4
	s_and_not1_b32 vcc_lo, exec_lo, s3
                                        ; implicit-def: $sgpr3
	s_cbranch_vccnz .LBB143_2364
; %bb.2363:
	v_add_f32_e64 v0, 0x42800000, |s1|
	s_mov_b32 s3, 0
	s_delay_alu instid0(VALU_DEP_1) | instskip(NEXT) | instid1(VALU_DEP_1)
	v_and_b32_e32 v0, 0xff, v0
	v_cmp_ne_u32_e64 s2, 0, v0
.LBB143_2364:
	v_mov_b32_e32 v1, s3
	s_delay_alu instid0(VALU_DEP_2)
	s_and_not1_b32 vcc_lo, exec_lo, s2
	s_cbranch_vccnz .LBB143_2366
; %bb.2365:
	s_lshr_b32 s1, s1, 24
	s_delay_alu instid0(SALU_CYCLE_1) | instskip(NEXT) | instid1(SALU_CYCLE_1)
	s_and_b32 s1, s1, 0x80
	v_or_b32_e32 v1, s1, v0
.LBB143_2366:
	s_mov_b32 s1, 0
	global_store_b8 v[4:5], v1, off
.LBB143_2367:
	s_and_b32 vcc_lo, exec_lo, s1
	s_cbranch_vccz .LBB143_2389
; %bb.2368:
	v_and_b32_e64 v0, 0xff, s6
	s_delay_alu instid0(VALU_DEP_1)
	v_cmp_gt_i16_e32 vcc_lo, 0x80, v0
	s_cbranch_vccnz .LBB143_2371
; %bb.2369:
	v_cmp_eq_u16_e32 vcc_lo, 0x80, v0
	s_cbranch_vccz .LBB143_2372
; %bb.2370:
	s_mov_b32 s2, 0
	s_mov_b32 s1, 0x7f800001
	s_branch .LBB143_2373
.LBB143_2371:
	s_mov_b32 s3, -1
	s_mov_b32 s2, 0
                                        ; implicit-def: $sgpr1
	s_branch .LBB143_2374
.LBB143_2372:
	s_mov_b32 s2, -1
                                        ; implicit-def: $sgpr1
.LBB143_2373:
	s_mov_b32 s3, 0
.LBB143_2374:
	s_delay_alu instid0(SALU_CYCLE_1)
	s_and_b32 vcc_lo, exec_lo, s3
	s_cbranch_vccz .LBB143_2379
; %bb.2375:
	v_cmp_ne_u16_e64 s2, 0, v0
	s_mov_b32 s1, 0
	s_delay_alu instid0(VALU_DEP_1)
	s_and_not1_b32 vcc_lo, exec_lo, s2
	s_cbranch_vccz .LBB143_2380
.LBB143_2376:
	s_and_b32 s2, s1, 0x7fffffff
	s_delay_alu instid0(SALU_CYCLE_1)
	s_cmp_lt_u32 s2, 0x43f00000
	s_cbranch_scc0 .LBB143_2381
.LBB143_2377:
	s_cmp_gt_u32 s2, 0x3c7fffff
	s_cbranch_scc0 .LBB143_2382
; %bb.2378:
	s_bfe_u32 s3, s1, 0x10014
	s_delay_alu instid0(SALU_CYCLE_1) | instskip(NEXT) | instid1(SALU_CYCLE_1)
	s_add_i32 s3, s1, s3
	s_add_i32 s3, s3, 0x407ffff
	s_delay_alu instid0(SALU_CYCLE_1)
	s_and_b32 s4, s3, 0xff00000
	s_lshr_b32 s3, s3, 20
	s_cmp_lg_u32 s4, 0x7f00000
	s_cselect_b32 s4, s3, 0x7e
	s_mov_b32 s3, 0
	s_branch .LBB143_2383
.LBB143_2379:
	s_and_not1_b32 vcc_lo, exec_lo, s2
	s_cbranch_vccnz .LBB143_2376
.LBB143_2380:
	v_lshrrev_b16 v0, 3, s6
	s_and_b32 s1, s6, 7
	s_lshl_b32 s5, s6, 24
	s_clz_i32_u32 s2, s1
	s_delay_alu instid0(SALU_CYCLE_1) | instskip(SKIP_4) | instid1(VALU_DEP_1)
	s_min_u32 s2, s2, 32
	v_readfirstlane_b32 s3, v0
	s_sub_i32 s4, s2, 28
	s_sub_i32 s2, 29, s2
	s_lshl_b32 s4, s6, s4
	s_and_b32 s3, s3, 15
	s_and_b32 s4, s4, 7
	s_cmp_eq_u32 s3, 0
	s_cselect_b32 s2, s2, s3
	s_cselect_b32 s1, s4, s1
	s_lshl_b32 s2, s2, 23
	s_and_b32 s3, s5, 0x80000000
	s_add_i32 s2, s2, 0x3b800000
	s_lshl_b32 s1, s1, 20
	s_or_b32 s2, s3, s2
	s_delay_alu instid0(SALU_CYCLE_1) | instskip(NEXT) | instid1(SALU_CYCLE_1)
	s_or_b32 s1, s2, s1
	s_and_b32 s2, s1, 0x7fffffff
	s_delay_alu instid0(SALU_CYCLE_1)
	s_cmp_lt_u32 s2, 0x43f00000
	s_cbranch_scc1 .LBB143_2377
.LBB143_2381:
	s_mov_b32 s3, -1
                                        ; implicit-def: $vgpr0
	s_branch .LBB143_2386
.LBB143_2382:
	s_mov_b32 s3, -1
                                        ; implicit-def: $sgpr4
.LBB143_2383:
	v_mov_b32_e32 v0, s4
	s_and_not1_b32 vcc_lo, exec_lo, s3
	s_cbranch_vccnz .LBB143_2385
; %bb.2384:
	v_add_f32_e64 v0, 0x46800000, |s1|
.LBB143_2385:
	s_mov_b32 s3, 0
.LBB143_2386:
	s_delay_alu instid0(SALU_CYCLE_1)
	s_and_not1_b32 vcc_lo, exec_lo, s3
	s_cbranch_vccnz .LBB143_2388
; %bb.2387:
	s_cmp_gt_u32 s2, 0x7f800000
	s_movk_i32 s2, 0x7f
	s_delay_alu instid0(SALU_CYCLE_1) | instskip(NEXT) | instid1(SALU_CYCLE_1)
	s_cselect_b32 s2, s2, 0x7e
	v_mov_b32_e32 v0, s2
.LBB143_2388:
	s_lshr_b32 s1, s1, 24
	s_delay_alu instid0(SALU_CYCLE_1)
	s_and_b32 s1, s1, 0x80
	s_delay_alu instid0(VALU_DEP_1) | instid1(SALU_CYCLE_1)
	v_or_b32_e32 v0, s1, v0
	global_store_b8 v[4:5], v0, off
.LBB143_2389:
	s_mov_b32 s1, 0
.LBB143_2390:
	s_delay_alu instid0(SALU_CYCLE_1)
	s_and_not1_b32 vcc_lo, exec_lo, s1
	s_cbranch_vccnz .LBB143_2412
; %bb.2391:
	v_and_b32_e64 v0, 0xff, s6
	s_delay_alu instid0(VALU_DEP_1)
	v_cmp_gt_i16_e32 vcc_lo, 0x80, v0
	s_cbranch_vccnz .LBB143_2394
; %bb.2392:
	v_cmp_eq_u16_e32 vcc_lo, 0x80, v0
	s_cbranch_vccz .LBB143_2395
; %bb.2393:
	s_mov_b32 s2, 0
	s_mov_b32 s1, 0x7f800001
	s_branch .LBB143_2396
.LBB143_2394:
	s_mov_b32 s3, -1
	s_mov_b32 s2, 0
                                        ; implicit-def: $sgpr1
	s_branch .LBB143_2397
.LBB143_2395:
	s_mov_b32 s2, -1
                                        ; implicit-def: $sgpr1
.LBB143_2396:
	s_mov_b32 s3, 0
.LBB143_2397:
	s_delay_alu instid0(SALU_CYCLE_1)
	s_and_b32 vcc_lo, exec_lo, s3
	s_cbranch_vccz .LBB143_2402
; %bb.2398:
	v_cmp_ne_u16_e64 s2, 0, v0
	s_mov_b32 s1, 0
	s_delay_alu instid0(VALU_DEP_1)
	s_and_not1_b32 vcc_lo, exec_lo, s2
	s_cbranch_vccz .LBB143_2403
.LBB143_2399:
	s_and_b32 s2, s1, 0x7fffffff
	s_delay_alu instid0(SALU_CYCLE_1)
	s_cmp_lt_u32 s2, 0x47800000
	s_cbranch_scc0 .LBB143_2404
.LBB143_2400:
	s_cmp_gt_u32 s2, 0x387fffff
	s_cbranch_scc0 .LBB143_2405
; %bb.2401:
	s_bfe_u32 s3, s1, 0x10015
	s_delay_alu instid0(SALU_CYCLE_1) | instskip(NEXT) | instid1(SALU_CYCLE_1)
	s_add_i32 s3, s1, s3
	s_add_i32 s3, s3, 0x80fffff
	s_delay_alu instid0(SALU_CYCLE_1)
	s_lshr_b32 s4, s3, 21
	s_mov_b32 s3, 0
	s_branch .LBB143_2406
.LBB143_2402:
	s_and_not1_b32 vcc_lo, exec_lo, s2
	s_cbranch_vccnz .LBB143_2399
.LBB143_2403:
	v_lshrrev_b16 v0, 3, s6
	s_and_b32 s1, s6, 7
	s_lshl_b32 s5, s6, 24
	s_clz_i32_u32 s2, s1
	s_delay_alu instid0(SALU_CYCLE_1) | instskip(SKIP_4) | instid1(VALU_DEP_1)
	s_min_u32 s2, s2, 32
	v_readfirstlane_b32 s3, v0
	s_sub_i32 s4, s2, 28
	s_sub_i32 s2, 29, s2
	s_lshl_b32 s4, s6, s4
	s_and_b32 s3, s3, 15
	s_and_b32 s4, s4, 7
	s_cmp_eq_u32 s3, 0
	s_cselect_b32 s2, s2, s3
	s_cselect_b32 s1, s4, s1
	s_lshl_b32 s2, s2, 23
	s_and_b32 s3, s5, 0x80000000
	s_add_i32 s2, s2, 0x3b800000
	s_lshl_b32 s1, s1, 20
	s_or_b32 s2, s3, s2
	s_delay_alu instid0(SALU_CYCLE_1) | instskip(NEXT) | instid1(SALU_CYCLE_1)
	s_or_b32 s1, s2, s1
	s_and_b32 s2, s1, 0x7fffffff
	s_delay_alu instid0(SALU_CYCLE_1)
	s_cmp_lt_u32 s2, 0x47800000
	s_cbranch_scc1 .LBB143_2400
.LBB143_2404:
	s_mov_b32 s3, -1
                                        ; implicit-def: $vgpr0
	s_branch .LBB143_2409
.LBB143_2405:
	s_mov_b32 s3, -1
                                        ; implicit-def: $sgpr4
.LBB143_2406:
	v_mov_b32_e32 v0, s4
	s_and_not1_b32 vcc_lo, exec_lo, s3
	s_cbranch_vccnz .LBB143_2408
; %bb.2407:
	v_add_f32_e64 v0, 0x43000000, |s1|
.LBB143_2408:
	s_mov_b32 s3, 0
.LBB143_2409:
	s_delay_alu instid0(SALU_CYCLE_1)
	s_and_not1_b32 vcc_lo, exec_lo, s3
	s_cbranch_vccnz .LBB143_2411
; %bb.2410:
	s_cmp_gt_u32 s2, 0x7f800000
	s_movk_i32 s2, 0x7f
	s_delay_alu instid0(SALU_CYCLE_1) | instskip(NEXT) | instid1(SALU_CYCLE_1)
	s_cselect_b32 s2, s2, 0x7c
	v_mov_b32_e32 v0, s2
.LBB143_2411:
	s_lshr_b32 s1, s1, 24
	s_delay_alu instid0(SALU_CYCLE_1)
	s_and_b32 s1, s1, 0x80
	s_delay_alu instid0(VALU_DEP_1) | instid1(SALU_CYCLE_1)
	v_or_b32_e32 v0, s1, v0
	global_store_b8 v[4:5], v0, off
.LBB143_2412:
	s_mov_b32 s1, 0
.LBB143_2413:
	s_delay_alu instid0(SALU_CYCLE_1)
	s_and_not1_b32 vcc_lo, exec_lo, s1
	s_mov_b32 s4, 0
	s_cbranch_vccnz .LBB143_2430
; %bb.2414:
	v_cmp_lt_i16_e32 vcc_lo, 14, v6
	s_mov_b32 s1, -1
	s_cbranch_vccz .LBB143_2428
; %bb.2415:
	v_cmp_eq_u16_e32 vcc_lo, 15, v6
	s_mov_b32 s0, -1
	s_cbranch_vccz .LBB143_2427
; %bb.2416:
	v_and_b32_e64 v0, 0xff, s6
	s_delay_alu instid0(VALU_DEP_1)
	v_cmp_gt_i16_e32 vcc_lo, 0x80, v0
	s_cbranch_vccnz .LBB143_2419
; %bb.2417:
	v_cmp_eq_u16_e32 vcc_lo, 0x80, v0
	s_cbranch_vccz .LBB143_2420
; %bb.2418:
	s_mov_b32 s1, 0
	s_mov_b32 s0, 0x7f800001
	s_branch .LBB143_2421
.LBB143_2419:
	s_mov_b32 s2, -1
	s_mov_b32 s1, 0
                                        ; implicit-def: $sgpr0
	s_branch .LBB143_2422
.LBB143_2420:
                                        ; implicit-def: $sgpr0
.LBB143_2421:
	s_mov_b32 s2, 0
.LBB143_2422:
	s_delay_alu instid0(SALU_CYCLE_1)
	s_and_b32 vcc_lo, exec_lo, s2
	s_cbranch_vccz .LBB143_2424
; %bb.2423:
	v_cmp_ne_u16_e64 s1, 0, v0
	s_mov_b32 s0, 0
.LBB143_2424:
	s_delay_alu instid0(VALU_DEP_1)
	s_and_not1_b32 vcc_lo, exec_lo, s1
	s_cbranch_vccnz .LBB143_2426
; %bb.2425:
	v_lshrrev_b16 v0, 3, s6
	s_and_b32 s0, s6, 7
	s_lshl_b32 s4, s6, 24
	s_clz_i32_u32 s1, s0
	s_delay_alu instid0(SALU_CYCLE_1) | instskip(SKIP_4) | instid1(VALU_DEP_1)
	s_min_u32 s1, s1, 32
	v_readfirstlane_b32 s2, v0
	s_sub_i32 s3, s1, 28
	s_sub_i32 s1, 29, s1
	s_lshl_b32 s3, s6, s3
	s_and_b32 s2, s2, 15
	s_and_b32 s3, s3, 7
	s_cmp_eq_u32 s2, 0
	s_cselect_b32 s1, s1, s2
	s_cselect_b32 s0, s3, s0
	s_lshl_b32 s1, s1, 23
	s_and_b32 s2, s4, 0x80000000
	s_add_i32 s1, s1, 0x3b800000
	s_lshl_b32 s0, s0, 20
	s_or_b32 s1, s2, s1
	s_delay_alu instid0(SALU_CYCLE_1)
	s_or_b32 s0, s1, s0
.LBB143_2426:
	s_delay_alu instid0(SALU_CYCLE_1) | instskip(NEXT) | instid1(SALU_CYCLE_1)
	s_bfe_u32 s1, s0, 0x10010
	s_add_i32 s1, s0, s1
	v_cmp_o_f32_e64 s0, s0, s0
	s_addk_i32 s1, 0x7fff
	s_delay_alu instid0(SALU_CYCLE_1) | instskip(NEXT) | instid1(VALU_DEP_1)
	s_lshr_b32 s1, s1, 16
	s_and_b32 s0, s0, exec_lo
	s_cselect_b32 s0, s1, 0x7fc0
	s_delay_alu instid0(SALU_CYCLE_1)
	v_mov_b32_e32 v0, s0
	s_mov_b32 s0, 0
	global_store_b16 v[4:5], v0, off
.LBB143_2427:
	s_mov_b32 s1, 0
.LBB143_2428:
	s_delay_alu instid0(SALU_CYCLE_1)
	s_and_b32 vcc_lo, exec_lo, s1
	s_mov_b32 s4, 0
	s_cbranch_vccz .LBB143_2430
; %bb.2429:
	v_cmp_ne_u16_e64 s0, 11, v6
	s_mov_b32 s4, -1
.LBB143_2430:
	s_delay_alu instid0(VALU_DEP_1)
	s_and_b32 vcc_lo, exec_lo, s0
	s_cbranch_vccnz .LBB143_2432
.LBB143_2431:
	s_mov_b32 s0, 0
	s_branch .LBB143_1939
.LBB143_2432:
	s_cbranch_execnz .LBB143_2434
; %bb.2433:
	s_mov_b32 s4, 0
	s_or_b32 s7, s7, exec_lo
	s_branch .LBB143_2431
.LBB143_2434:
	s_trap 2
	s_sendmsg_rtn_b32 s0, sendmsg(MSG_RTN_GET_DOORBELL)
	s_mov_b32 ttmp2, m0
	s_waitcnt lgkmcnt(0)
	s_and_b32 s0, s0, 0x3ff
	s_delay_alu instid0(SALU_CYCLE_1) | instskip(NEXT) | instid1(SALU_CYCLE_1)
	s_bitset1_b32 s0, 10
	s_mov_b32 m0, s0
	s_sendmsg sendmsg(MSG_INTERRUPT)
	s_mov_b32 m0, ttmp2
.LBB143_2435:                           ; =>This Inner Loop Header: Depth=1
	s_sethalt 5
	s_branch .LBB143_2435
.LBB143_2436:
	s_mov_b32 s6, -1
                                        ; implicit-def: $sgpr4
.LBB143_2437:
	s_mov_b32 s7, 0
.LBB143_2438:
	s_delay_alu instid0(SALU_CYCLE_1)
	s_and_b32 vcc_lo, exec_lo, s7
	s_cbranch_vccz .LBB143_2448
; %bb.2439:
	v_cmp_ne_u16_e64 s6, s5, 0
	s_and_b32 s4, 0xffff, s5
	s_delay_alu instid0(VALU_DEP_1)
	s_and_not1_b32 vcc_lo, exec_lo, s6
	s_cbranch_vccz .LBB143_2449
.LBB143_2440:
	v_mov_b32_e32 v0, 0xff
	s_bfe_u32 s5, s4, 0x80017
	s_delay_alu instid0(SALU_CYCLE_1)
	s_cmpk_eq_i32 s5, 0xff
	s_cbranch_scc1 .LBB143_2442
.LBB143_2441:
	s_lshr_b32 s6, s4, 23
	s_bitcmp1_b32 s4, 22
	s_cselect_b32 s7, -1, 0
	s_and_b32 s4, s4, 0x3fffff
	s_delay_alu instid0(SALU_CYCLE_1) | instskip(NEXT) | instid1(SALU_CYCLE_1)
	s_or_b32 s4, s5, s4
	s_cmp_lg_u32 s4, 0
	s_cselect_b32 s4, -1, 0
	s_delay_alu instid0(SALU_CYCLE_1) | instskip(NEXT) | instid1(SALU_CYCLE_1)
	s_and_b32 s4, s7, s4
	v_cndmask_b32_e64 v0, 0, 1, s4
	s_delay_alu instid0(VALU_DEP_1)
	v_add_nc_u32_e32 v0, s6, v0
.LBB143_2442:
	s_mov_b32 s4, 0
	global_store_b8 v[10:11], v0, off
.LBB143_2443:
	s_mov_b32 s5, 0
.LBB143_2444:
	s_delay_alu instid0(SALU_CYCLE_1)
	s_and_b32 vcc_lo, exec_lo, s5
	s_cbranch_vccz .LBB143_2456
; %bb.2445:
	v_cmp_eq_u16_e32 vcc_lo, 29, v13
	s_mov_b32 s4, -1
	s_cbranch_vccz .LBB143_2456
; %bb.2446:
	v_and_b32_e64 v0, 0xff, s25
	s_delay_alu instid0(VALU_DEP_1)
	v_cmp_gt_i16_e32 vcc_lo, 0x80, v0
	s_cbranch_vccnz .LBB143_2450
; %bb.2447:
	v_cmp_ne_u16_e64 s6, 0x80, v0
	s_mov_b32 s7, 0
	s_mov_b64 s[4:5], 0
	s_branch .LBB143_2451
.LBB143_2448:
	s_and_not1_b32 vcc_lo, exec_lo, s6
	s_cbranch_vccnz .LBB143_2440
.LBB143_2449:
	s_mov_b32 s4, s28
	v_mov_b32_e32 v0, 0xff
	s_bfe_u32 s5, s4, 0x80017
	s_delay_alu instid0(SALU_CYCLE_1)
	s_cmpk_eq_i32 s5, 0xff
	s_cbranch_scc0 .LBB143_2441
	s_branch .LBB143_2442
.LBB143_2450:
	s_mov_b32 s7, -1
	s_mov_b32 s6, 0
                                        ; implicit-def: $sgpr4_sgpr5
.LBB143_2451:
	s_and_not1_b32 vcc_lo, exec_lo, s7
	s_cbranch_vccnz .LBB143_2453
; %bb.2452:
	v_cmp_ne_u16_e64 s6, 0, v0
	s_mov_b64 s[4:5], 0
.LBB143_2453:
	s_delay_alu instid0(SALU_CYCLE_1) | instskip(NEXT) | instid1(VALU_DEP_2)
	v_dual_mov_b32 v0, s4 :: v_dual_mov_b32 v1, s5
	s_and_not1_b32 vcc_lo, exec_lo, s6
	s_cbranch_vccnz .LBB143_2455
; %bb.2454:
	v_dual_mov_b32 v0, v8 :: v_dual_mov_b32 v1, v9
.LBB143_2455:
	s_mov_b32 s4, 0
	global_store_b64 v[10:11], v[0:1], off
.LBB143_2456:
	s_mov_b32 s5, 0
.LBB143_2457:
	s_delay_alu instid0(SALU_CYCLE_1)
	s_and_b32 vcc_lo, exec_lo, s5
	s_cbranch_vccz .LBB143_2480
; %bb.2458:
	v_cmp_gt_i16_e32 vcc_lo, 27, v13
	s_mov_b32 s5, -1
	s_cbranch_vccnz .LBB143_2478
; %bb.2459:
	v_cmp_lt_i16_e32 vcc_lo, 27, v13
	s_cbranch_vccz .LBB143_2468
; %bb.2460:
	v_and_b32_e64 v0, 0xff, s25
	s_delay_alu instid0(VALU_DEP_1)
	v_cmp_gt_i16_e32 vcc_lo, 0x80, v0
	s_cbranch_vccnz .LBB143_2462
; %bb.2461:
	v_cmp_ne_u16_e64 s5, 0x80, v0
	s_mov_b32 s7, 0
	s_mov_b32 s6, 0
	s_branch .LBB143_2463
.LBB143_2462:
	s_mov_b32 s7, -1
	s_mov_b32 s5, 0
                                        ; implicit-def: $sgpr6
.LBB143_2463:
	s_and_not1_b32 vcc_lo, exec_lo, s7
	s_cbranch_vccnz .LBB143_2465
; %bb.2464:
	v_cmp_ne_u16_e64 s5, 0, v0
	s_mov_b32 s6, 0
.LBB143_2465:
	s_delay_alu instid0(SALU_CYCLE_1) | instskip(NEXT) | instid1(VALU_DEP_2)
	v_mov_b32_e32 v0, s6
	s_and_not1_b32 vcc_lo, exec_lo, s5
	s_cbranch_vccnz .LBB143_2467
; %bb.2466:
	v_mov_b32_e32 v0, v17
.LBB143_2467:
	s_mov_b32 s5, 0
	global_store_b32 v[10:11], v0, off
.LBB143_2468:
	s_and_b32 vcc_lo, exec_lo, s5
	s_cbranch_vccz .LBB143_2477
; %bb.2469:
	v_and_b32_e64 v0, 0xff, s25
	s_delay_alu instid0(VALU_DEP_1)
	v_cmp_gt_i16_e32 vcc_lo, 0x80, v0
	s_cbranch_vccnz .LBB143_2471
; %bb.2470:
	v_cmp_ne_u16_e64 s5, 0x80, v0
	s_mov_b32 s7, 0
	s_mov_b32 s6, 0
	s_branch .LBB143_2472
.LBB143_2471:
	s_mov_b32 s7, -1
	s_mov_b32 s5, 0
                                        ; implicit-def: $sgpr6
.LBB143_2472:
	s_and_not1_b32 vcc_lo, exec_lo, s7
	s_cbranch_vccnz .LBB143_2474
; %bb.2473:
	v_cmp_ne_u16_e64 s5, 0, v0
	s_mov_b32 s6, 0
.LBB143_2474:
	s_delay_alu instid0(SALU_CYCLE_1) | instskip(NEXT) | instid1(VALU_DEP_2)
	v_mov_b32_e32 v0, s6
	s_and_not1_b32 vcc_lo, exec_lo, s5
	s_cbranch_vccnz .LBB143_2476
; %bb.2475:
	v_mov_b32_e32 v0, v17
.LBB143_2476:
	global_store_b16 v[10:11], v0, off
.LBB143_2477:
	s_mov_b32 s5, 0
.LBB143_2478:
	s_delay_alu instid0(SALU_CYCLE_1)
	s_and_not1_b32 vcc_lo, exec_lo, s5
	s_cbranch_vccnz .LBB143_2480
; %bb.2479:
	v_mov_b32_e32 v0, s25
	global_store_b8 v[10:11], v0, off
.LBB143_2480:
	s_mov_b32 s5, 0
.LBB143_2481:
	s_delay_alu instid0(SALU_CYCLE_1)
	s_and_b32 vcc_lo, exec_lo, s5
	s_mov_b32 s5, 0
	s_cbranch_vccz .LBB143_2488
; %bb.2482:
	v_cmp_lt_i16_e32 vcc_lo, 22, v13
	s_mov_b32 s6, -1
	s_cbranch_vccz .LBB143_2551
; %bb.2483:
	v_cmp_gt_i16_e32 vcc_lo, 24, v13
	s_cbranch_vccnz .LBB143_2528
; %bb.2484:
	v_cmp_lt_i16_e32 vcc_lo, 24, v13
	s_cbranch_vccz .LBB143_2505
; %bb.2485:
	v_and_b32_e64 v0, 0xff, s25
	s_delay_alu instid0(VALU_DEP_1)
	v_cmp_gt_i16_e32 vcc_lo, 0x80, v0
	s_cbranch_vccnz .LBB143_2489
; %bb.2486:
	v_cmp_eq_u16_e32 vcc_lo, 0x80, v0
	s_cbranch_vccz .LBB143_2490
; %bb.2487:
	s_mov_b32 s7, 0
	s_mov_b32 s6, 0x7f800001
	s_branch .LBB143_2491
.LBB143_2488:
	s_mov_b32 s6, 0
	s_branch .LBB143_2568
.LBB143_2489:
	s_mov_b32 s8, -1
	s_mov_b32 s7, 0
                                        ; implicit-def: $sgpr6
	s_branch .LBB143_2492
.LBB143_2490:
	s_mov_b32 s7, -1
                                        ; implicit-def: $sgpr6
.LBB143_2491:
	s_mov_b32 s8, 0
.LBB143_2492:
	s_delay_alu instid0(SALU_CYCLE_1)
	s_and_b32 vcc_lo, exec_lo, s8
	s_cbranch_vccz .LBB143_2495
; %bb.2493:
	v_cmp_ne_u16_e64 s7, 0, v0
	s_mov_b32 s6, 0
	s_delay_alu instid0(VALU_DEP_1)
	s_and_not1_b32 vcc_lo, exec_lo, s7
	s_cbranch_vccz .LBB143_2496
.LBB143_2494:
	v_mov_b32_e32 v1, 0x80
	s_and_b32 s7, s6, 0x7fffffff
	s_delay_alu instid0(SALU_CYCLE_1)
	s_cmp_gt_u32 s7, 0x477fffff
	s_cbranch_scc0 .LBB143_2497
	s_branch .LBB143_2504
.LBB143_2495:
	s_and_not1_b32 vcc_lo, exec_lo, s7
	s_cbranch_vccnz .LBB143_2494
.LBB143_2496:
	s_mov_b32 s6, s26
	v_mov_b32_e32 v1, 0x80
	s_and_b32 s7, s6, 0x7fffffff
	s_delay_alu instid0(SALU_CYCLE_1)
	s_cmp_gt_u32 s7, 0x477fffff
	s_cbranch_scc1 .LBB143_2504
.LBB143_2497:
	s_cmp_lt_u32 s7, 0x38000000
	s_cbranch_scc1 .LBB143_2499
; %bb.2498:
	s_bfe_u32 s7, s6, 0x10015
	s_mov_b32 s8, 0
	s_add_i32 s7, s6, s7
	s_delay_alu instid0(SALU_CYCLE_1) | instskip(NEXT) | instid1(SALU_CYCLE_1)
	s_add_i32 s7, s7, 0x88fffff
	s_lshr_b32 s9, s7, 21
	s_mov_b32 s7, -1
	s_branch .LBB143_2500
.LBB143_2499:
	s_mov_b32 s8, -1
	s_mov_b32 s7, 0
                                        ; implicit-def: $sgpr9
.LBB143_2500:
	v_mov_b32_e32 v0, s9
	s_and_not1_b32 vcc_lo, exec_lo, s8
                                        ; implicit-def: $sgpr8
	s_cbranch_vccnz .LBB143_2502
; %bb.2501:
	v_add_f32_e64 v0, 0x42800000, |s6|
	s_mov_b32 s8, 0
	s_delay_alu instid0(VALU_DEP_1) | instskip(NEXT) | instid1(VALU_DEP_1)
	v_and_b32_e32 v0, 0xff, v0
	v_cmp_ne_u32_e64 s7, 0, v0
.LBB143_2502:
	v_mov_b32_e32 v1, s8
	s_delay_alu instid0(VALU_DEP_2)
	s_and_not1_b32 vcc_lo, exec_lo, s7
	s_cbranch_vccnz .LBB143_2504
; %bb.2503:
	s_lshr_b32 s6, s6, 24
	s_delay_alu instid0(SALU_CYCLE_1) | instskip(NEXT) | instid1(SALU_CYCLE_1)
	s_and_b32 s6, s6, 0x80
	v_or_b32_e32 v1, s6, v0
.LBB143_2504:
	s_mov_b32 s6, 0
	global_store_b8 v[10:11], v1, off
.LBB143_2505:
	s_and_b32 vcc_lo, exec_lo, s6
	s_cbranch_vccz .LBB143_2527
; %bb.2506:
	v_and_b32_e64 v0, 0xff, s25
	s_delay_alu instid0(VALU_DEP_1)
	v_cmp_gt_i16_e32 vcc_lo, 0x80, v0
	s_cbranch_vccnz .LBB143_2509
; %bb.2507:
	v_cmp_eq_u16_e32 vcc_lo, 0x80, v0
	s_cbranch_vccz .LBB143_2510
; %bb.2508:
	s_mov_b32 s7, 0
	s_mov_b32 s6, 0x7f800001
	s_branch .LBB143_2511
.LBB143_2509:
	s_mov_b32 s8, -1
	s_mov_b32 s7, 0
                                        ; implicit-def: $sgpr6
	s_branch .LBB143_2512
.LBB143_2510:
	s_mov_b32 s7, -1
                                        ; implicit-def: $sgpr6
.LBB143_2511:
	s_mov_b32 s8, 0
.LBB143_2512:
	s_delay_alu instid0(SALU_CYCLE_1)
	s_and_b32 vcc_lo, exec_lo, s8
	s_cbranch_vccz .LBB143_2517
; %bb.2513:
	v_cmp_ne_u16_e64 s7, 0, v0
	s_mov_b32 s6, 0
	s_delay_alu instid0(VALU_DEP_1)
	s_and_not1_b32 vcc_lo, exec_lo, s7
	s_cbranch_vccz .LBB143_2518
.LBB143_2514:
	s_and_b32 s7, s6, 0x7fffffff
	s_delay_alu instid0(SALU_CYCLE_1)
	s_cmp_gt_u32 s7, 0x43efffff
	s_cbranch_scc1 .LBB143_2519
.LBB143_2515:
	s_cmp_lt_u32 s7, 0x3c800000
	s_cbranch_scc1 .LBB143_2520
; %bb.2516:
	s_bfe_u32 s8, s6, 0x10014
	s_delay_alu instid0(SALU_CYCLE_1) | instskip(NEXT) | instid1(SALU_CYCLE_1)
	s_add_i32 s8, s6, s8
	s_add_i32 s8, s8, 0x407ffff
	s_delay_alu instid0(SALU_CYCLE_1)
	s_and_b32 s9, s8, 0xff00000
	s_lshr_b32 s8, s8, 20
	s_cmp_lg_u32 s9, 0x7f00000
	s_cselect_b32 s9, s8, 0x7e
	s_mov_b32 s8, 0
	s_branch .LBB143_2521
.LBB143_2517:
	s_and_not1_b32 vcc_lo, exec_lo, s7
	s_cbranch_vccnz .LBB143_2514
.LBB143_2518:
	s_mov_b32 s6, s26
	s_delay_alu instid0(SALU_CYCLE_1) | instskip(NEXT) | instid1(SALU_CYCLE_1)
	s_and_b32 s7, s6, 0x7fffffff
	s_cmp_gt_u32 s7, 0x43efffff
	s_cbranch_scc0 .LBB143_2515
.LBB143_2519:
	s_mov_b32 s8, -1
                                        ; implicit-def: $vgpr0
	s_branch .LBB143_2524
.LBB143_2520:
	s_mov_b32 s8, -1
                                        ; implicit-def: $sgpr9
.LBB143_2521:
	v_mov_b32_e32 v0, s9
	s_and_not1_b32 vcc_lo, exec_lo, s8
	s_cbranch_vccnz .LBB143_2523
; %bb.2522:
	v_add_f32_e64 v0, 0x46800000, |s6|
.LBB143_2523:
	s_mov_b32 s8, 0
.LBB143_2524:
	s_delay_alu instid0(SALU_CYCLE_1)
	s_and_not1_b32 vcc_lo, exec_lo, s8
	s_cbranch_vccnz .LBB143_2526
; %bb.2525:
	s_cmp_gt_u32 s7, 0x7f800000
	s_movk_i32 s7, 0x7f
	s_delay_alu instid0(SALU_CYCLE_1) | instskip(NEXT) | instid1(SALU_CYCLE_1)
	s_cselect_b32 s7, s7, 0x7e
	v_mov_b32_e32 v0, s7
.LBB143_2526:
	s_lshr_b32 s6, s6, 24
	s_delay_alu instid0(SALU_CYCLE_1)
	s_and_b32 s6, s6, 0x80
	s_delay_alu instid0(VALU_DEP_1) | instid1(SALU_CYCLE_1)
	v_or_b32_e32 v0, s6, v0
	global_store_b8 v[10:11], v0, off
.LBB143_2527:
	s_mov_b32 s6, 0
.LBB143_2528:
	s_delay_alu instid0(SALU_CYCLE_1)
	s_and_not1_b32 vcc_lo, exec_lo, s6
	s_cbranch_vccnz .LBB143_2532
; %bb.2529:
	v_and_b32_e64 v0, 0xff, s25
	s_delay_alu instid0(VALU_DEP_1)
	v_cmp_gt_i16_e32 vcc_lo, 0x80, v0
	s_cbranch_vccnz .LBB143_2533
; %bb.2530:
	v_cmp_eq_u16_e32 vcc_lo, 0x80, v0
	s_cbranch_vccz .LBB143_2534
; %bb.2531:
	s_mov_b32 s7, 0
	s_mov_b32 s6, 0x7f800001
	s_branch .LBB143_2535
.LBB143_2532:
	s_mov_b32 s6, 0
	s_branch .LBB143_2551
.LBB143_2533:
	s_mov_b32 s8, -1
	s_mov_b32 s7, 0
                                        ; implicit-def: $sgpr6
	s_branch .LBB143_2536
.LBB143_2534:
	s_mov_b32 s7, -1
                                        ; implicit-def: $sgpr6
.LBB143_2535:
	s_mov_b32 s8, 0
.LBB143_2536:
	s_delay_alu instid0(SALU_CYCLE_1)
	s_and_b32 vcc_lo, exec_lo, s8
	s_cbranch_vccz .LBB143_2541
; %bb.2537:
	v_cmp_ne_u16_e64 s7, 0, v0
	s_mov_b32 s6, 0
	s_delay_alu instid0(VALU_DEP_1)
	s_and_not1_b32 vcc_lo, exec_lo, s7
	s_cbranch_vccz .LBB143_2542
.LBB143_2538:
	s_and_b32 s7, s6, 0x7fffffff
	s_delay_alu instid0(SALU_CYCLE_1)
	s_cmp_gt_u32 s7, 0x477fffff
	s_cbranch_scc1 .LBB143_2543
.LBB143_2539:
	s_cmp_lt_u32 s7, 0x38800000
	s_cbranch_scc1 .LBB143_2544
; %bb.2540:
	s_bfe_u32 s8, s6, 0x10015
	s_delay_alu instid0(SALU_CYCLE_1) | instskip(NEXT) | instid1(SALU_CYCLE_1)
	s_add_i32 s8, s6, s8
	s_add_i32 s8, s8, 0x80fffff
	s_delay_alu instid0(SALU_CYCLE_1)
	s_lshr_b32 s9, s8, 21
	s_mov_b32 s8, 0
	s_branch .LBB143_2545
.LBB143_2541:
	s_and_not1_b32 vcc_lo, exec_lo, s7
	s_cbranch_vccnz .LBB143_2538
.LBB143_2542:
	s_mov_b32 s6, s26
	s_delay_alu instid0(SALU_CYCLE_1) | instskip(NEXT) | instid1(SALU_CYCLE_1)
	s_and_b32 s7, s6, 0x7fffffff
	s_cmp_gt_u32 s7, 0x477fffff
	s_cbranch_scc0 .LBB143_2539
.LBB143_2543:
	s_mov_b32 s8, -1
                                        ; implicit-def: $vgpr0
	s_branch .LBB143_2548
.LBB143_2544:
	s_mov_b32 s8, -1
                                        ; implicit-def: $sgpr9
.LBB143_2545:
	v_mov_b32_e32 v0, s9
	s_and_not1_b32 vcc_lo, exec_lo, s8
	s_cbranch_vccnz .LBB143_2547
; %bb.2546:
	v_add_f32_e64 v0, 0x43000000, |s6|
.LBB143_2547:
	s_mov_b32 s8, 0
.LBB143_2548:
	s_delay_alu instid0(SALU_CYCLE_1)
	s_and_not1_b32 vcc_lo, exec_lo, s8
	s_cbranch_vccnz .LBB143_2550
; %bb.2549:
	s_cmp_gt_u32 s7, 0x7f800000
	s_movk_i32 s7, 0x7f
	s_delay_alu instid0(SALU_CYCLE_1) | instskip(NEXT) | instid1(SALU_CYCLE_1)
	s_cselect_b32 s7, s7, 0x7c
	v_mov_b32_e32 v0, s7
.LBB143_2550:
	s_lshr_b32 s6, s6, 24
	s_delay_alu instid0(SALU_CYCLE_1)
	s_and_b32 s6, s6, 0x80
	s_delay_alu instid0(VALU_DEP_1) | instid1(SALU_CYCLE_1)
	v_or_b32_e32 v0, s6, v0
	s_mov_b32 s6, 0
	global_store_b8 v[10:11], v0, off
.LBB143_2551:
	s_and_not1_b32 vcc_lo, exec_lo, s6
	s_mov_b32 s6, 0
	s_cbranch_vccnz .LBB143_2568
; %bb.2552:
	v_cmp_lt_i16_e32 vcc_lo, 14, v13
	s_mov_b32 s6, -1
	s_cbranch_vccz .LBB143_2566
; %bb.2553:
	v_cmp_eq_u16_e32 vcc_lo, 15, v13
	s_mov_b32 s4, -1
	s_cbranch_vccz .LBB143_2565
; %bb.2554:
	v_and_b32_e64 v0, 0xff, s25
	s_delay_alu instid0(VALU_DEP_1)
	v_cmp_gt_i16_e32 vcc_lo, 0x80, v0
	s_cbranch_vccnz .LBB143_2557
; %bb.2555:
	v_cmp_eq_u16_e32 vcc_lo, 0x80, v0
	s_cbranch_vccz .LBB143_2558
; %bb.2556:
	s_mov_b32 s6, 0
	s_mov_b32 s4, 0x7f800001
	s_branch .LBB143_2559
.LBB143_2557:
	s_mov_b32 s7, -1
	s_mov_b32 s6, 0
                                        ; implicit-def: $sgpr4
	s_branch .LBB143_2560
.LBB143_2558:
                                        ; implicit-def: $sgpr4
.LBB143_2559:
	s_mov_b32 s7, 0
.LBB143_2560:
	s_delay_alu instid0(SALU_CYCLE_1)
	s_and_b32 vcc_lo, exec_lo, s7
	s_cbranch_vccz .LBB143_2562
; %bb.2561:
	v_cmp_ne_u16_e64 s6, 0, v0
	s_mov_b32 s4, 0
.LBB143_2562:
	s_delay_alu instid0(VALU_DEP_1)
	s_and_not1_b32 vcc_lo, exec_lo, s6
	s_cbranch_vccnz .LBB143_2564
; %bb.2563:
	s_mov_b32 s4, s26
.LBB143_2564:
	s_delay_alu instid0(SALU_CYCLE_1) | instskip(NEXT) | instid1(SALU_CYCLE_1)
	s_bfe_u32 s6, s4, 0x10010
	s_add_i32 s6, s4, s6
	v_cmp_o_f32_e64 s4, s4, s4
	s_addk_i32 s6, 0x7fff
	s_delay_alu instid0(SALU_CYCLE_1) | instskip(NEXT) | instid1(VALU_DEP_1)
	s_lshr_b32 s6, s6, 16
	s_and_b32 s4, s4, exec_lo
	s_cselect_b32 s4, s6, 0x7fc0
	s_delay_alu instid0(SALU_CYCLE_1)
	v_mov_b32_e32 v0, s4
	s_mov_b32 s4, 0
	global_store_b16 v[10:11], v0, off
.LBB143_2565:
	s_mov_b32 s6, 0
.LBB143_2566:
	s_delay_alu instid0(SALU_CYCLE_1)
	s_and_b32 vcc_lo, exec_lo, s6
	s_mov_b32 s6, 0
	s_cbranch_vccz .LBB143_2568
; %bb.2567:
	v_cmp_ne_u16_e32 vcc_lo, 11, v13
	s_and_not1_b32 s4, s4, exec_lo
	s_mov_b32 s6, -1
	s_and_b32 s7, vcc_lo, exec_lo
	s_delay_alu instid0(SALU_CYCLE_1)
	s_or_b32 s4, s4, s7
.LBB143_2568:
	s_and_b32 s17, s5, exec_lo
	s_and_not1_b32 s5, s18, exec_lo
	s_and_b32 s4, s4, exec_lo
	s_and_b32 s16, s6, exec_lo
	s_or_b32 s38, s5, s4
.LBB143_2569:
	s_or_b32 exec_lo, exec_lo, s30
	s_waitcnt lgkmcnt(0)
	s_and_not1_b32 s4, s18, exec_lo
	s_and_b32 s5, s38, exec_lo
	s_and_b32 s17, s17, exec_lo
	;; [unrolled: 1-line block ×3, first 2 shown]
	s_or_b32 s18, s4, s5
.LBB143_2570:
	s_or_b32 exec_lo, exec_lo, s19
	s_waitcnt lgkmcnt(0)
	s_and_not1_b32 s4, s36, exec_lo
	s_and_b32 s5, s18, exec_lo
	s_and_b32 s17, s17, exec_lo
	;; [unrolled: 1-line block ×3, first 2 shown]
	s_or_b32 s36, s4, s5
.LBB143_2571:
	s_or_b32 exec_lo, exec_lo, s37
	s_waitcnt lgkmcnt(0)
	s_and_not1_b32 s4, s34, exec_lo
	s_and_b32 s5, s36, exec_lo
	s_and_b32 s17, s17, exec_lo
	;; [unrolled: 1-line block ×3, first 2 shown]
	s_or_b32 s34, s4, s5
	s_or_b32 exec_lo, exec_lo, s35
	s_mov_b32 s6, 0
	s_and_saveexec_b32 s4, s34
	s_cbranch_execz .LBB143_328
.LBB143_2572:
	s_cbranch_execnz .LBB143_2574
; %bb.2573:
	s_mov_b32 s6, exec_lo
	s_and_not1_b32 s36, s36, exec_lo
	s_or_b32 exec_lo, exec_lo, s4
	s_and_saveexec_b32 s4, s36
	s_cbranch_execnz .LBB143_329
	s_branch .LBB143_337
.LBB143_2574:
	s_trap 2
	s_sendmsg_rtn_b32 s0, sendmsg(MSG_RTN_GET_DOORBELL)
	s_mov_b32 ttmp2, m0
	s_waitcnt lgkmcnt(0)
	s_and_b32 s0, s0, 0x3ff
	s_delay_alu instid0(SALU_CYCLE_1) | instskip(NEXT) | instid1(SALU_CYCLE_1)
	s_bitset1_b32 s0, 10
	s_mov_b32 m0, s0
	s_sendmsg sendmsg(MSG_INTERRUPT)
	s_mov_b32 m0, ttmp2
.LBB143_2575:                           ; =>This Inner Loop Header: Depth=1
	s_sethalt 5
	s_branch .LBB143_2575
	.section	.rodata,"a",@progbits
	.p2align	6, 0x0
	.amdhsa_kernel _ZN2at6native32elementwise_kernel_manual_unrollILi128ELi4EZNS0_15gpu_kernel_implINS0_11FillFunctorIN3c1015Float8_e4m3fnuzEEEEEvRNS_18TensorIteratorBaseERKT_EUlibE0_EEviT1_
		.amdhsa_group_segment_fixed_size 0
		.amdhsa_private_segment_fixed_size 0
		.amdhsa_kernarg_size 288
		.amdhsa_user_sgpr_count 15
		.amdhsa_user_sgpr_dispatch_ptr 0
		.amdhsa_user_sgpr_queue_ptr 0
		.amdhsa_user_sgpr_kernarg_segment_ptr 1
		.amdhsa_user_sgpr_dispatch_id 0
		.amdhsa_user_sgpr_private_segment_size 0
		.amdhsa_wavefront_size32 1
		.amdhsa_uses_dynamic_stack 0
		.amdhsa_enable_private_segment 0
		.amdhsa_system_sgpr_workgroup_id_x 1
		.amdhsa_system_sgpr_workgroup_id_y 0
		.amdhsa_system_sgpr_workgroup_id_z 0
		.amdhsa_system_sgpr_workgroup_info 0
		.amdhsa_system_vgpr_workitem_id 0
		.amdhsa_next_free_vgpr 21
		.amdhsa_next_free_sgpr 60
		.amdhsa_reserve_vcc 1
		.amdhsa_float_round_mode_32 0
		.amdhsa_float_round_mode_16_64 0
		.amdhsa_float_denorm_mode_32 3
		.amdhsa_float_denorm_mode_16_64 3
		.amdhsa_dx10_clamp 1
		.amdhsa_ieee_mode 1
		.amdhsa_fp16_overflow 0
		.amdhsa_workgroup_processor_mode 1
		.amdhsa_memory_ordered 1
		.amdhsa_forward_progress 0
		.amdhsa_shared_vgpr_count 0
		.amdhsa_exception_fp_ieee_invalid_op 0
		.amdhsa_exception_fp_denorm_src 0
		.amdhsa_exception_fp_ieee_div_zero 0
		.amdhsa_exception_fp_ieee_overflow 0
		.amdhsa_exception_fp_ieee_underflow 0
		.amdhsa_exception_fp_ieee_inexact 0
		.amdhsa_exception_int_div_zero 0
	.end_amdhsa_kernel
	.section	.text._ZN2at6native32elementwise_kernel_manual_unrollILi128ELi4EZNS0_15gpu_kernel_implINS0_11FillFunctorIN3c1015Float8_e4m3fnuzEEEEEvRNS_18TensorIteratorBaseERKT_EUlibE0_EEviT1_,"axG",@progbits,_ZN2at6native32elementwise_kernel_manual_unrollILi128ELi4EZNS0_15gpu_kernel_implINS0_11FillFunctorIN3c1015Float8_e4m3fnuzEEEEEvRNS_18TensorIteratorBaseERKT_EUlibE0_EEviT1_,comdat
.Lfunc_end143:
	.size	_ZN2at6native32elementwise_kernel_manual_unrollILi128ELi4EZNS0_15gpu_kernel_implINS0_11FillFunctorIN3c1015Float8_e4m3fnuzEEEEEvRNS_18TensorIteratorBaseERKT_EUlibE0_EEviT1_, .Lfunc_end143-_ZN2at6native32elementwise_kernel_manual_unrollILi128ELi4EZNS0_15gpu_kernel_implINS0_11FillFunctorIN3c1015Float8_e4m3fnuzEEEEEvRNS_18TensorIteratorBaseERKT_EUlibE0_EEviT1_
                                        ; -- End function
	.section	.AMDGPU.csdata,"",@progbits
; Kernel info:
; codeLenInByte = 48900
; NumSgprs: 62
; NumVgprs: 21
; ScratchSize: 0
; MemoryBound: 0
; FloatMode: 240
; IeeeMode: 1
; LDSByteSize: 0 bytes/workgroup (compile time only)
; SGPRBlocks: 7
; VGPRBlocks: 2
; NumSGPRsForWavesPerEU: 62
; NumVGPRsForWavesPerEU: 21
; Occupancy: 16
; WaveLimiterHint : 1
; COMPUTE_PGM_RSRC2:SCRATCH_EN: 0
; COMPUTE_PGM_RSRC2:USER_SGPR: 15
; COMPUTE_PGM_RSRC2:TRAP_HANDLER: 0
; COMPUTE_PGM_RSRC2:TGID_X_EN: 1
; COMPUTE_PGM_RSRC2:TGID_Y_EN: 0
; COMPUTE_PGM_RSRC2:TGID_Z_EN: 0
; COMPUTE_PGM_RSRC2:TIDIG_COMP_CNT: 0
	.section	.text._ZN2at6native29vectorized_elementwise_kernelILi16ENS0_11FillFunctorIN3c1014Float8_e8m0fnuEEESt5arrayIPcLm1EEEEviT0_T1_,"axG",@progbits,_ZN2at6native29vectorized_elementwise_kernelILi16ENS0_11FillFunctorIN3c1014Float8_e8m0fnuEEESt5arrayIPcLm1EEEEviT0_T1_,comdat
	.protected	_ZN2at6native29vectorized_elementwise_kernelILi16ENS0_11FillFunctorIN3c1014Float8_e8m0fnuEEESt5arrayIPcLm1EEEEviT0_T1_ ; -- Begin function _ZN2at6native29vectorized_elementwise_kernelILi16ENS0_11FillFunctorIN3c1014Float8_e8m0fnuEEESt5arrayIPcLm1EEEEviT0_T1_
	.globl	_ZN2at6native29vectorized_elementwise_kernelILi16ENS0_11FillFunctorIN3c1014Float8_e8m0fnuEEESt5arrayIPcLm1EEEEviT0_T1_
	.p2align	8
	.type	_ZN2at6native29vectorized_elementwise_kernelILi16ENS0_11FillFunctorIN3c1014Float8_e8m0fnuEEESt5arrayIPcLm1EEEEviT0_T1_,@function
_ZN2at6native29vectorized_elementwise_kernelILi16ENS0_11FillFunctorIN3c1014Float8_e8m0fnuEEESt5arrayIPcLm1EEEEviT0_T1_: ; @_ZN2at6native29vectorized_elementwise_kernelILi16ENS0_11FillFunctorIN3c1014Float8_e8m0fnuEEESt5arrayIPcLm1EEEEviT0_T1_
; %bb.0:
	s_load_b128 s[0:3], s[0:1], 0x0
	s_lshl_b32 s4, s15, 12
	s_waitcnt lgkmcnt(0)
	s_sub_i32 s0, s0, s4
	s_delay_alu instid0(SALU_CYCLE_1)
	s_cmpk_gt_i32 s0, 0xfff
	s_cbranch_scc0 .LBB144_4
; %bb.1:
	v_lshlrev_b16 v1, 8, s1
	v_and_b32_e64 v2, 0xff, s1
	v_dual_mov_b32 v8, s1 :: v_dual_lshlrev_b32 v7, 4, v0
	s_ashr_i32 s5, s4, 31
	s_add_u32 s8, s2, s4
	s_delay_alu instid0(VALU_DEP_2) | instskip(SKIP_1) | instid1(VALU_DEP_1)
	v_or_b32_e32 v6, v2, v1
	s_addc_u32 s9, s3, s5
	v_and_b32_e32 v1, 0xffff, v6
	v_lshlrev_b32_e32 v2, 16, v6
	s_delay_alu instid0(VALU_DEP_1) | instskip(SKIP_1) | instid1(VALU_DEP_1)
	v_or_b32_e32 v3, v1, v2
	v_add_co_u32 v1, s5, s8, v7
	v_add_co_ci_u32_e64 v2, null, s9, 0, s5
	s_delay_alu instid0(VALU_DEP_3) | instskip(SKIP_1) | instid1(VALU_DEP_4)
	v_mov_b32_e32 v5, v3
	v_mov_b32_e32 v4, v3
	v_add_co_u32 v1, vcc_lo, v1, 15
	s_delay_alu instid0(VALU_DEP_4)
	v_add_co_ci_u32_e32 v2, vcc_lo, 0, v2, vcc_lo
	s_mov_b32 s5, -1
	s_clause 0x2
	global_store_b8 v7, v8, s[8:9] offset:14
	global_store_b16 v7, v6, s[8:9] offset:12
	global_store_b96 v7, v[3:5], s[8:9]
	s_cbranch_execz .LBB144_5
; %bb.2:
	s_and_saveexec_b32 s0, s5
	s_cbranch_execz .LBB144_24
.LBB144_3:
	v_mov_b32_e32 v0, s1
	global_store_b8 v[1:2], v0, off
	s_nop 0
	s_sendmsg sendmsg(MSG_DEALLOC_VGPRS)
	s_endpgm
.LBB144_4:
	s_mov_b32 s5, 0
                                        ; implicit-def: $vgpr1_vgpr2
.LBB144_5:
	s_mov_b32 s6, exec_lo
	v_cmpx_gt_i32_e64 s0, v0
	s_cbranch_execz .LBB144_25
; %bb.6:
	v_or_b32_e32 v1, 0x100, v0
	v_or_b32_e32 v2, s4, v0
	s_delay_alu instid0(VALU_DEP_2) | instskip(SKIP_2) | instid1(SALU_CYCLE_1)
	v_dual_mov_b32 v3, s1 :: v_dual_mov_b32 v0, v1
	global_store_b8 v2, v3, s[2:3]
	s_or_b32 exec_lo, exec_lo, s6
	s_mov_b32 s6, exec_lo
	v_cmpx_gt_i32_e64 s0, v0
	s_cbranch_execnz .LBB144_26
.LBB144_7:
	s_or_b32 exec_lo, exec_lo, s6
	s_delay_alu instid0(SALU_CYCLE_1)
	s_mov_b32 s6, exec_lo
	v_cmpx_gt_i32_e64 s0, v0
	s_cbranch_execz .LBB144_27
.LBB144_8:
	v_dual_mov_b32 v2, s1 :: v_dual_add_nc_u32 v1, s4, v0
	v_add_nc_u32_e32 v0, 0x100, v0
	global_store_b8 v1, v2, s[2:3]
	s_or_b32 exec_lo, exec_lo, s6
	s_delay_alu instid0(SALU_CYCLE_1)
	s_mov_b32 s6, exec_lo
	v_cmpx_gt_i32_e64 s0, v0
	s_cbranch_execnz .LBB144_28
.LBB144_9:
	s_or_b32 exec_lo, exec_lo, s6
	s_delay_alu instid0(SALU_CYCLE_1)
	s_mov_b32 s6, exec_lo
	v_cmpx_gt_i32_e64 s0, v0
	s_cbranch_execz .LBB144_29
.LBB144_10:
	v_dual_mov_b32 v2, s1 :: v_dual_add_nc_u32 v1, s4, v0
	v_add_nc_u32_e32 v0, 0x100, v0
	global_store_b8 v1, v2, s[2:3]
	s_or_b32 exec_lo, exec_lo, s6
	s_delay_alu instid0(SALU_CYCLE_1)
	s_mov_b32 s6, exec_lo
	v_cmpx_gt_i32_e64 s0, v0
	s_cbranch_execnz .LBB144_30
.LBB144_11:
	s_or_b32 exec_lo, exec_lo, s6
	s_delay_alu instid0(SALU_CYCLE_1)
	s_mov_b32 s6, exec_lo
	v_cmpx_gt_i32_e64 s0, v0
	s_cbranch_execz .LBB144_31
.LBB144_12:
	v_dual_mov_b32 v2, s1 :: v_dual_add_nc_u32 v1, s4, v0
	v_add_nc_u32_e32 v0, 0x100, v0
	global_store_b8 v1, v2, s[2:3]
	s_or_b32 exec_lo, exec_lo, s6
	s_delay_alu instid0(SALU_CYCLE_1)
	s_mov_b32 s6, exec_lo
	v_cmpx_gt_i32_e64 s0, v0
	s_cbranch_execnz .LBB144_32
.LBB144_13:
	s_or_b32 exec_lo, exec_lo, s6
	s_delay_alu instid0(SALU_CYCLE_1)
	s_mov_b32 s6, exec_lo
	v_cmpx_gt_i32_e64 s0, v0
	s_cbranch_execz .LBB144_33
.LBB144_14:
	v_dual_mov_b32 v2, s1 :: v_dual_add_nc_u32 v1, s4, v0
	v_add_nc_u32_e32 v0, 0x100, v0
	global_store_b8 v1, v2, s[2:3]
	s_or_b32 exec_lo, exec_lo, s6
	s_delay_alu instid0(SALU_CYCLE_1)
	s_mov_b32 s6, exec_lo
	v_cmpx_gt_i32_e64 s0, v0
	s_cbranch_execnz .LBB144_34
.LBB144_15:
	s_or_b32 exec_lo, exec_lo, s6
	s_delay_alu instid0(SALU_CYCLE_1)
	s_mov_b32 s6, exec_lo
	v_cmpx_gt_i32_e64 s0, v0
	s_cbranch_execz .LBB144_35
.LBB144_16:
	v_dual_mov_b32 v2, s1 :: v_dual_add_nc_u32 v1, s4, v0
	v_add_nc_u32_e32 v0, 0x100, v0
	global_store_b8 v1, v2, s[2:3]
	s_or_b32 exec_lo, exec_lo, s6
	s_delay_alu instid0(SALU_CYCLE_1)
	s_mov_b32 s6, exec_lo
	v_cmpx_gt_i32_e64 s0, v0
	s_cbranch_execnz .LBB144_36
.LBB144_17:
	s_or_b32 exec_lo, exec_lo, s6
	s_delay_alu instid0(SALU_CYCLE_1)
	s_mov_b32 s6, exec_lo
	v_cmpx_gt_i32_e64 s0, v0
	s_cbranch_execz .LBB144_37
.LBB144_18:
	v_dual_mov_b32 v2, s1 :: v_dual_add_nc_u32 v1, s4, v0
	v_add_nc_u32_e32 v0, 0x100, v0
	global_store_b8 v1, v2, s[2:3]
	s_or_b32 exec_lo, exec_lo, s6
	s_delay_alu instid0(SALU_CYCLE_1)
	s_mov_b32 s6, exec_lo
	v_cmpx_gt_i32_e64 s0, v0
	s_cbranch_execnz .LBB144_38
.LBB144_19:
	s_or_b32 exec_lo, exec_lo, s6
	s_delay_alu instid0(SALU_CYCLE_1)
	s_mov_b32 s6, exec_lo
	v_cmpx_gt_i32_e64 s0, v0
	s_cbranch_execz .LBB144_21
.LBB144_20:
	v_dual_mov_b32 v2, s1 :: v_dual_add_nc_u32 v1, s4, v0
	v_add_nc_u32_e32 v0, 0x100, v0
	global_store_b8 v1, v2, s[2:3]
.LBB144_21:
	s_or_b32 exec_lo, exec_lo, s6
	v_cmp_gt_i32_e32 vcc_lo, s0, v0
                                        ; implicit-def: $vgpr1_vgpr2
	s_and_saveexec_b32 s0, vcc_lo
; %bb.22:
	v_add_nc_u32_e32 v0, s4, v0
	s_or_b32 s5, s5, exec_lo
	s_delay_alu instid0(VALU_DEP_1) | instskip(NEXT) | instid1(VALU_DEP_1)
	v_add_co_u32 v1, s2, s2, v0
	v_add_co_ci_u32_e64 v2, null, s3, 0, s2
; %bb.23:
	s_or_b32 exec_lo, exec_lo, s0
	s_and_saveexec_b32 s0, s5
	s_cbranch_execnz .LBB144_3
.LBB144_24:
	s_nop 0
	s_sendmsg sendmsg(MSG_DEALLOC_VGPRS)
	s_endpgm
.LBB144_25:
	s_or_b32 exec_lo, exec_lo, s6
	s_delay_alu instid0(SALU_CYCLE_1)
	s_mov_b32 s6, exec_lo
	v_cmpx_gt_i32_e64 s0, v0
	s_cbranch_execz .LBB144_7
.LBB144_26:
	v_dual_mov_b32 v2, s1 :: v_dual_add_nc_u32 v1, s4, v0
	v_add_nc_u32_e32 v0, 0x100, v0
	global_store_b8 v1, v2, s[2:3]
	s_or_b32 exec_lo, exec_lo, s6
	s_delay_alu instid0(SALU_CYCLE_1)
	s_mov_b32 s6, exec_lo
	v_cmpx_gt_i32_e64 s0, v0
	s_cbranch_execnz .LBB144_8
.LBB144_27:
	s_or_b32 exec_lo, exec_lo, s6
	s_delay_alu instid0(SALU_CYCLE_1)
	s_mov_b32 s6, exec_lo
	v_cmpx_gt_i32_e64 s0, v0
	s_cbranch_execz .LBB144_9
.LBB144_28:
	v_dual_mov_b32 v2, s1 :: v_dual_add_nc_u32 v1, s4, v0
	v_add_nc_u32_e32 v0, 0x100, v0
	global_store_b8 v1, v2, s[2:3]
	s_or_b32 exec_lo, exec_lo, s6
	s_delay_alu instid0(SALU_CYCLE_1)
	s_mov_b32 s6, exec_lo
	v_cmpx_gt_i32_e64 s0, v0
	s_cbranch_execnz .LBB144_10
.LBB144_29:
	s_or_b32 exec_lo, exec_lo, s6
	s_delay_alu instid0(SALU_CYCLE_1)
	s_mov_b32 s6, exec_lo
	v_cmpx_gt_i32_e64 s0, v0
	s_cbranch_execz .LBB144_11
.LBB144_30:
	v_dual_mov_b32 v2, s1 :: v_dual_add_nc_u32 v1, s4, v0
	v_add_nc_u32_e32 v0, 0x100, v0
	global_store_b8 v1, v2, s[2:3]
	s_or_b32 exec_lo, exec_lo, s6
	s_delay_alu instid0(SALU_CYCLE_1)
	s_mov_b32 s6, exec_lo
	v_cmpx_gt_i32_e64 s0, v0
	s_cbranch_execnz .LBB144_12
.LBB144_31:
	s_or_b32 exec_lo, exec_lo, s6
	s_delay_alu instid0(SALU_CYCLE_1)
	s_mov_b32 s6, exec_lo
	v_cmpx_gt_i32_e64 s0, v0
	s_cbranch_execz .LBB144_13
.LBB144_32:
	v_dual_mov_b32 v2, s1 :: v_dual_add_nc_u32 v1, s4, v0
	v_add_nc_u32_e32 v0, 0x100, v0
	global_store_b8 v1, v2, s[2:3]
	s_or_b32 exec_lo, exec_lo, s6
	s_delay_alu instid0(SALU_CYCLE_1)
	s_mov_b32 s6, exec_lo
	v_cmpx_gt_i32_e64 s0, v0
	s_cbranch_execnz .LBB144_14
.LBB144_33:
	s_or_b32 exec_lo, exec_lo, s6
	s_delay_alu instid0(SALU_CYCLE_1)
	s_mov_b32 s6, exec_lo
	v_cmpx_gt_i32_e64 s0, v0
	s_cbranch_execz .LBB144_15
.LBB144_34:
	v_dual_mov_b32 v2, s1 :: v_dual_add_nc_u32 v1, s4, v0
	v_add_nc_u32_e32 v0, 0x100, v0
	global_store_b8 v1, v2, s[2:3]
	s_or_b32 exec_lo, exec_lo, s6
	s_delay_alu instid0(SALU_CYCLE_1)
	s_mov_b32 s6, exec_lo
	v_cmpx_gt_i32_e64 s0, v0
	s_cbranch_execnz .LBB144_16
.LBB144_35:
	s_or_b32 exec_lo, exec_lo, s6
	s_delay_alu instid0(SALU_CYCLE_1)
	s_mov_b32 s6, exec_lo
	v_cmpx_gt_i32_e64 s0, v0
	s_cbranch_execz .LBB144_17
.LBB144_36:
	v_dual_mov_b32 v2, s1 :: v_dual_add_nc_u32 v1, s4, v0
	v_add_nc_u32_e32 v0, 0x100, v0
	global_store_b8 v1, v2, s[2:3]
	s_or_b32 exec_lo, exec_lo, s6
	s_delay_alu instid0(SALU_CYCLE_1)
	s_mov_b32 s6, exec_lo
	v_cmpx_gt_i32_e64 s0, v0
	s_cbranch_execnz .LBB144_18
.LBB144_37:
	s_or_b32 exec_lo, exec_lo, s6
	s_delay_alu instid0(SALU_CYCLE_1)
	s_mov_b32 s6, exec_lo
	v_cmpx_gt_i32_e64 s0, v0
	s_cbranch_execz .LBB144_19
.LBB144_38:
	v_dual_mov_b32 v2, s1 :: v_dual_add_nc_u32 v1, s4, v0
	v_add_nc_u32_e32 v0, 0x100, v0
	global_store_b8 v1, v2, s[2:3]
	s_or_b32 exec_lo, exec_lo, s6
	s_delay_alu instid0(SALU_CYCLE_1)
	s_mov_b32 s6, exec_lo
	v_cmpx_gt_i32_e64 s0, v0
	s_cbranch_execz .LBB144_21
	s_branch .LBB144_20
	.section	.rodata,"a",@progbits
	.p2align	6, 0x0
	.amdhsa_kernel _ZN2at6native29vectorized_elementwise_kernelILi16ENS0_11FillFunctorIN3c1014Float8_e8m0fnuEEESt5arrayIPcLm1EEEEviT0_T1_
		.amdhsa_group_segment_fixed_size 0
		.amdhsa_private_segment_fixed_size 0
		.amdhsa_kernarg_size 16
		.amdhsa_user_sgpr_count 15
		.amdhsa_user_sgpr_dispatch_ptr 0
		.amdhsa_user_sgpr_queue_ptr 0
		.amdhsa_user_sgpr_kernarg_segment_ptr 1
		.amdhsa_user_sgpr_dispatch_id 0
		.amdhsa_user_sgpr_private_segment_size 0
		.amdhsa_wavefront_size32 1
		.amdhsa_uses_dynamic_stack 0
		.amdhsa_enable_private_segment 0
		.amdhsa_system_sgpr_workgroup_id_x 1
		.amdhsa_system_sgpr_workgroup_id_y 0
		.amdhsa_system_sgpr_workgroup_id_z 0
		.amdhsa_system_sgpr_workgroup_info 0
		.amdhsa_system_vgpr_workitem_id 0
		.amdhsa_next_free_vgpr 9
		.amdhsa_next_free_sgpr 16
		.amdhsa_reserve_vcc 1
		.amdhsa_float_round_mode_32 0
		.amdhsa_float_round_mode_16_64 0
		.amdhsa_float_denorm_mode_32 3
		.amdhsa_float_denorm_mode_16_64 3
		.amdhsa_dx10_clamp 1
		.amdhsa_ieee_mode 1
		.amdhsa_fp16_overflow 0
		.amdhsa_workgroup_processor_mode 1
		.amdhsa_memory_ordered 1
		.amdhsa_forward_progress 0
		.amdhsa_shared_vgpr_count 0
		.amdhsa_exception_fp_ieee_invalid_op 0
		.amdhsa_exception_fp_denorm_src 0
		.amdhsa_exception_fp_ieee_div_zero 0
		.amdhsa_exception_fp_ieee_overflow 0
		.amdhsa_exception_fp_ieee_underflow 0
		.amdhsa_exception_fp_ieee_inexact 0
		.amdhsa_exception_int_div_zero 0
	.end_amdhsa_kernel
	.section	.text._ZN2at6native29vectorized_elementwise_kernelILi16ENS0_11FillFunctorIN3c1014Float8_e8m0fnuEEESt5arrayIPcLm1EEEEviT0_T1_,"axG",@progbits,_ZN2at6native29vectorized_elementwise_kernelILi16ENS0_11FillFunctorIN3c1014Float8_e8m0fnuEEESt5arrayIPcLm1EEEEviT0_T1_,comdat
.Lfunc_end144:
	.size	_ZN2at6native29vectorized_elementwise_kernelILi16ENS0_11FillFunctorIN3c1014Float8_e8m0fnuEEESt5arrayIPcLm1EEEEviT0_T1_, .Lfunc_end144-_ZN2at6native29vectorized_elementwise_kernelILi16ENS0_11FillFunctorIN3c1014Float8_e8m0fnuEEESt5arrayIPcLm1EEEEviT0_T1_
                                        ; -- End function
	.section	.AMDGPU.csdata,"",@progbits
; Kernel info:
; codeLenInByte = 1336
; NumSgprs: 18
; NumVgprs: 9
; ScratchSize: 0
; MemoryBound: 0
; FloatMode: 240
; IeeeMode: 1
; LDSByteSize: 0 bytes/workgroup (compile time only)
; SGPRBlocks: 2
; VGPRBlocks: 1
; NumSGPRsForWavesPerEU: 18
; NumVGPRsForWavesPerEU: 9
; Occupancy: 16
; WaveLimiterHint : 0
; COMPUTE_PGM_RSRC2:SCRATCH_EN: 0
; COMPUTE_PGM_RSRC2:USER_SGPR: 15
; COMPUTE_PGM_RSRC2:TRAP_HANDLER: 0
; COMPUTE_PGM_RSRC2:TGID_X_EN: 1
; COMPUTE_PGM_RSRC2:TGID_Y_EN: 0
; COMPUTE_PGM_RSRC2:TGID_Z_EN: 0
; COMPUTE_PGM_RSRC2:TIDIG_COMP_CNT: 0
	.section	.text._ZN2at6native29vectorized_elementwise_kernelILi8ENS0_11FillFunctorIN3c1014Float8_e8m0fnuEEESt5arrayIPcLm1EEEEviT0_T1_,"axG",@progbits,_ZN2at6native29vectorized_elementwise_kernelILi8ENS0_11FillFunctorIN3c1014Float8_e8m0fnuEEESt5arrayIPcLm1EEEEviT0_T1_,comdat
	.protected	_ZN2at6native29vectorized_elementwise_kernelILi8ENS0_11FillFunctorIN3c1014Float8_e8m0fnuEEESt5arrayIPcLm1EEEEviT0_T1_ ; -- Begin function _ZN2at6native29vectorized_elementwise_kernelILi8ENS0_11FillFunctorIN3c1014Float8_e8m0fnuEEESt5arrayIPcLm1EEEEviT0_T1_
	.globl	_ZN2at6native29vectorized_elementwise_kernelILi8ENS0_11FillFunctorIN3c1014Float8_e8m0fnuEEESt5arrayIPcLm1EEEEviT0_T1_
	.p2align	8
	.type	_ZN2at6native29vectorized_elementwise_kernelILi8ENS0_11FillFunctorIN3c1014Float8_e8m0fnuEEESt5arrayIPcLm1EEEEviT0_T1_,@function
_ZN2at6native29vectorized_elementwise_kernelILi8ENS0_11FillFunctorIN3c1014Float8_e8m0fnuEEESt5arrayIPcLm1EEEEviT0_T1_: ; @_ZN2at6native29vectorized_elementwise_kernelILi8ENS0_11FillFunctorIN3c1014Float8_e8m0fnuEEESt5arrayIPcLm1EEEEviT0_T1_
; %bb.0:
	s_load_b128 s[0:3], s[0:1], 0x0
	s_lshl_b32 s4, s15, 12
	s_mov_b32 s5, -1
	s_waitcnt lgkmcnt(0)
	s_sub_i32 s0, s0, s4
	s_delay_alu instid0(SALU_CYCLE_1)
	s_cmpk_gt_i32 s0, 0xfff
	s_cbranch_scc0 .LBB145_2
; %bb.1:
	s_ashr_i32 s5, s4, 31
	s_add_u32 s6, s2, s4
	s_addc_u32 s7, s3, s5
	s_and_b32 s5, s1, 0xff
	s_delay_alu instid0(SALU_CYCLE_1)
	s_mul_i32 s8, s5, 0x1010101
	s_mov_b32 s5, 0
	s_mov_b32 s9, s8
	v_mov_b32_e32 v1, s8
	v_dual_mov_b32 v2, s9 :: v_dual_lshlrev_b32 v3, 3, v0
	s_clause 0x1
	global_store_b64 v3, v[1:2], s[6:7]
	global_store_b64 v3, v[1:2], s[6:7] offset:2048
.LBB145_2:
	s_and_not1_b32 vcc_lo, exec_lo, s5
	s_cbranch_vccnz .LBB145_20
; %bb.3:
	s_mov_b32 s5, exec_lo
	v_cmpx_gt_i32_e64 s0, v0
	s_cbranch_execnz .LBB145_21
; %bb.4:
	s_or_b32 exec_lo, exec_lo, s5
	s_delay_alu instid0(SALU_CYCLE_1)
	s_mov_b32 s5, exec_lo
	v_cmpx_gt_i32_e64 s0, v0
	s_cbranch_execnz .LBB145_22
.LBB145_5:
	s_or_b32 exec_lo, exec_lo, s5
	s_delay_alu instid0(SALU_CYCLE_1)
	s_mov_b32 s5, exec_lo
	v_cmpx_gt_i32_e64 s0, v0
	s_cbranch_execnz .LBB145_23
.LBB145_6:
	s_or_b32 exec_lo, exec_lo, s5
	s_delay_alu instid0(SALU_CYCLE_1)
	s_mov_b32 s5, exec_lo
	v_cmpx_gt_i32_e64 s0, v0
	s_cbranch_execnz .LBB145_24
.LBB145_7:
	s_or_b32 exec_lo, exec_lo, s5
	s_delay_alu instid0(SALU_CYCLE_1)
	s_mov_b32 s5, exec_lo
	v_cmpx_gt_i32_e64 s0, v0
	s_cbranch_execnz .LBB145_25
.LBB145_8:
	s_or_b32 exec_lo, exec_lo, s5
	s_delay_alu instid0(SALU_CYCLE_1)
	s_mov_b32 s5, exec_lo
	v_cmpx_gt_i32_e64 s0, v0
	s_cbranch_execnz .LBB145_26
.LBB145_9:
	s_or_b32 exec_lo, exec_lo, s5
	s_delay_alu instid0(SALU_CYCLE_1)
	s_mov_b32 s5, exec_lo
	v_cmpx_gt_i32_e64 s0, v0
	s_cbranch_execnz .LBB145_27
.LBB145_10:
	s_or_b32 exec_lo, exec_lo, s5
	s_delay_alu instid0(SALU_CYCLE_1)
	s_mov_b32 s5, exec_lo
	v_cmpx_gt_i32_e64 s0, v0
	s_cbranch_execnz .LBB145_28
.LBB145_11:
	s_or_b32 exec_lo, exec_lo, s5
	s_delay_alu instid0(SALU_CYCLE_1)
	s_mov_b32 s5, exec_lo
	v_cmpx_gt_i32_e64 s0, v0
	s_cbranch_execnz .LBB145_29
.LBB145_12:
	s_or_b32 exec_lo, exec_lo, s5
	s_delay_alu instid0(SALU_CYCLE_1)
	s_mov_b32 s5, exec_lo
	v_cmpx_gt_i32_e64 s0, v0
	s_cbranch_execnz .LBB145_30
.LBB145_13:
	s_or_b32 exec_lo, exec_lo, s5
	s_delay_alu instid0(SALU_CYCLE_1)
	s_mov_b32 s5, exec_lo
	v_cmpx_gt_i32_e64 s0, v0
	s_cbranch_execnz .LBB145_31
.LBB145_14:
	s_or_b32 exec_lo, exec_lo, s5
	s_delay_alu instid0(SALU_CYCLE_1)
	s_mov_b32 s5, exec_lo
	v_cmpx_gt_i32_e64 s0, v0
	s_cbranch_execnz .LBB145_32
.LBB145_15:
	s_or_b32 exec_lo, exec_lo, s5
	s_delay_alu instid0(SALU_CYCLE_1)
	s_mov_b32 s5, exec_lo
	v_cmpx_gt_i32_e64 s0, v0
	s_cbranch_execnz .LBB145_33
.LBB145_16:
	s_or_b32 exec_lo, exec_lo, s5
	s_delay_alu instid0(SALU_CYCLE_1)
	s_mov_b32 s5, exec_lo
	v_cmpx_gt_i32_e64 s0, v0
	s_cbranch_execnz .LBB145_34
.LBB145_17:
	s_or_b32 exec_lo, exec_lo, s5
	s_delay_alu instid0(SALU_CYCLE_1)
	s_mov_b32 s5, exec_lo
	v_cmpx_gt_i32_e64 s0, v0
	s_cbranch_execnz .LBB145_35
.LBB145_18:
	s_or_b32 exec_lo, exec_lo, s5
	v_cmp_gt_i32_e32 vcc_lo, s0, v0
	s_and_saveexec_b32 s0, vcc_lo
	s_cbranch_execz .LBB145_20
.LBB145_19:
	v_dual_mov_b32 v1, s1 :: v_dual_add_nc_u32 v0, s4, v0
	global_store_b8 v0, v1, s[2:3]
.LBB145_20:
	s_nop 0
	s_sendmsg sendmsg(MSG_DEALLOC_VGPRS)
	s_endpgm
.LBB145_21:
	v_or_b32_e32 v1, 0x100, v0
	v_or_b32_e32 v2, s4, v0
	s_delay_alu instid0(VALU_DEP_2) | instskip(SKIP_2) | instid1(SALU_CYCLE_1)
	v_dual_mov_b32 v3, s1 :: v_dual_mov_b32 v0, v1
	global_store_b8 v2, v3, s[2:3]
	s_or_b32 exec_lo, exec_lo, s5
	s_mov_b32 s5, exec_lo
	v_cmpx_gt_i32_e64 s0, v0
	s_cbranch_execz .LBB145_5
.LBB145_22:
	v_dual_mov_b32 v2, s1 :: v_dual_add_nc_u32 v1, s4, v0
	v_add_nc_u32_e32 v0, 0x100, v0
	global_store_b8 v1, v2, s[2:3]
	s_or_b32 exec_lo, exec_lo, s5
	s_delay_alu instid0(SALU_CYCLE_1)
	s_mov_b32 s5, exec_lo
	v_cmpx_gt_i32_e64 s0, v0
	s_cbranch_execz .LBB145_6
.LBB145_23:
	v_dual_mov_b32 v2, s1 :: v_dual_add_nc_u32 v1, s4, v0
	v_add_nc_u32_e32 v0, 0x100, v0
	global_store_b8 v1, v2, s[2:3]
	s_or_b32 exec_lo, exec_lo, s5
	s_delay_alu instid0(SALU_CYCLE_1)
	s_mov_b32 s5, exec_lo
	v_cmpx_gt_i32_e64 s0, v0
	s_cbranch_execz .LBB145_7
.LBB145_24:
	v_dual_mov_b32 v2, s1 :: v_dual_add_nc_u32 v1, s4, v0
	v_add_nc_u32_e32 v0, 0x100, v0
	global_store_b8 v1, v2, s[2:3]
	s_or_b32 exec_lo, exec_lo, s5
	s_delay_alu instid0(SALU_CYCLE_1)
	s_mov_b32 s5, exec_lo
	v_cmpx_gt_i32_e64 s0, v0
	s_cbranch_execz .LBB145_8
.LBB145_25:
	v_dual_mov_b32 v2, s1 :: v_dual_add_nc_u32 v1, s4, v0
	v_add_nc_u32_e32 v0, 0x100, v0
	global_store_b8 v1, v2, s[2:3]
	s_or_b32 exec_lo, exec_lo, s5
	s_delay_alu instid0(SALU_CYCLE_1)
	s_mov_b32 s5, exec_lo
	v_cmpx_gt_i32_e64 s0, v0
	s_cbranch_execz .LBB145_9
.LBB145_26:
	v_dual_mov_b32 v2, s1 :: v_dual_add_nc_u32 v1, s4, v0
	v_add_nc_u32_e32 v0, 0x100, v0
	global_store_b8 v1, v2, s[2:3]
	s_or_b32 exec_lo, exec_lo, s5
	s_delay_alu instid0(SALU_CYCLE_1)
	s_mov_b32 s5, exec_lo
	v_cmpx_gt_i32_e64 s0, v0
	s_cbranch_execz .LBB145_10
.LBB145_27:
	v_dual_mov_b32 v2, s1 :: v_dual_add_nc_u32 v1, s4, v0
	v_add_nc_u32_e32 v0, 0x100, v0
	global_store_b8 v1, v2, s[2:3]
	s_or_b32 exec_lo, exec_lo, s5
	s_delay_alu instid0(SALU_CYCLE_1)
	s_mov_b32 s5, exec_lo
	v_cmpx_gt_i32_e64 s0, v0
	s_cbranch_execz .LBB145_11
.LBB145_28:
	v_dual_mov_b32 v2, s1 :: v_dual_add_nc_u32 v1, s4, v0
	v_add_nc_u32_e32 v0, 0x100, v0
	global_store_b8 v1, v2, s[2:3]
	s_or_b32 exec_lo, exec_lo, s5
	s_delay_alu instid0(SALU_CYCLE_1)
	s_mov_b32 s5, exec_lo
	v_cmpx_gt_i32_e64 s0, v0
	s_cbranch_execz .LBB145_12
.LBB145_29:
	v_dual_mov_b32 v2, s1 :: v_dual_add_nc_u32 v1, s4, v0
	v_add_nc_u32_e32 v0, 0x100, v0
	global_store_b8 v1, v2, s[2:3]
	s_or_b32 exec_lo, exec_lo, s5
	s_delay_alu instid0(SALU_CYCLE_1)
	s_mov_b32 s5, exec_lo
	v_cmpx_gt_i32_e64 s0, v0
	s_cbranch_execz .LBB145_13
.LBB145_30:
	v_dual_mov_b32 v2, s1 :: v_dual_add_nc_u32 v1, s4, v0
	v_add_nc_u32_e32 v0, 0x100, v0
	global_store_b8 v1, v2, s[2:3]
	s_or_b32 exec_lo, exec_lo, s5
	s_delay_alu instid0(SALU_CYCLE_1)
	s_mov_b32 s5, exec_lo
	v_cmpx_gt_i32_e64 s0, v0
	s_cbranch_execz .LBB145_14
.LBB145_31:
	v_dual_mov_b32 v2, s1 :: v_dual_add_nc_u32 v1, s4, v0
	v_add_nc_u32_e32 v0, 0x100, v0
	global_store_b8 v1, v2, s[2:3]
	s_or_b32 exec_lo, exec_lo, s5
	s_delay_alu instid0(SALU_CYCLE_1)
	s_mov_b32 s5, exec_lo
	v_cmpx_gt_i32_e64 s0, v0
	s_cbranch_execz .LBB145_15
.LBB145_32:
	v_dual_mov_b32 v2, s1 :: v_dual_add_nc_u32 v1, s4, v0
	v_add_nc_u32_e32 v0, 0x100, v0
	global_store_b8 v1, v2, s[2:3]
	s_or_b32 exec_lo, exec_lo, s5
	s_delay_alu instid0(SALU_CYCLE_1)
	s_mov_b32 s5, exec_lo
	v_cmpx_gt_i32_e64 s0, v0
	s_cbranch_execz .LBB145_16
.LBB145_33:
	v_dual_mov_b32 v2, s1 :: v_dual_add_nc_u32 v1, s4, v0
	v_add_nc_u32_e32 v0, 0x100, v0
	global_store_b8 v1, v2, s[2:3]
	s_or_b32 exec_lo, exec_lo, s5
	s_delay_alu instid0(SALU_CYCLE_1)
	s_mov_b32 s5, exec_lo
	v_cmpx_gt_i32_e64 s0, v0
	s_cbranch_execz .LBB145_17
.LBB145_34:
	v_dual_mov_b32 v2, s1 :: v_dual_add_nc_u32 v1, s4, v0
	v_add_nc_u32_e32 v0, 0x100, v0
	global_store_b8 v1, v2, s[2:3]
	s_or_b32 exec_lo, exec_lo, s5
	s_delay_alu instid0(SALU_CYCLE_1)
	s_mov_b32 s5, exec_lo
	v_cmpx_gt_i32_e64 s0, v0
	s_cbranch_execz .LBB145_18
.LBB145_35:
	v_dual_mov_b32 v2, s1 :: v_dual_add_nc_u32 v1, s4, v0
	v_add_nc_u32_e32 v0, 0x100, v0
	global_store_b8 v1, v2, s[2:3]
	s_or_b32 exec_lo, exec_lo, s5
	v_cmp_gt_i32_e32 vcc_lo, s0, v0
	s_and_saveexec_b32 s0, vcc_lo
	s_cbranch_execnz .LBB145_19
	s_branch .LBB145_20
	.section	.rodata,"a",@progbits
	.p2align	6, 0x0
	.amdhsa_kernel _ZN2at6native29vectorized_elementwise_kernelILi8ENS0_11FillFunctorIN3c1014Float8_e8m0fnuEEESt5arrayIPcLm1EEEEviT0_T1_
		.amdhsa_group_segment_fixed_size 0
		.amdhsa_private_segment_fixed_size 0
		.amdhsa_kernarg_size 16
		.amdhsa_user_sgpr_count 15
		.amdhsa_user_sgpr_dispatch_ptr 0
		.amdhsa_user_sgpr_queue_ptr 0
		.amdhsa_user_sgpr_kernarg_segment_ptr 1
		.amdhsa_user_sgpr_dispatch_id 0
		.amdhsa_user_sgpr_private_segment_size 0
		.amdhsa_wavefront_size32 1
		.amdhsa_uses_dynamic_stack 0
		.amdhsa_enable_private_segment 0
		.amdhsa_system_sgpr_workgroup_id_x 1
		.amdhsa_system_sgpr_workgroup_id_y 0
		.amdhsa_system_sgpr_workgroup_id_z 0
		.amdhsa_system_sgpr_workgroup_info 0
		.amdhsa_system_vgpr_workitem_id 0
		.amdhsa_next_free_vgpr 4
		.amdhsa_next_free_sgpr 16
		.amdhsa_reserve_vcc 1
		.amdhsa_float_round_mode_32 0
		.amdhsa_float_round_mode_16_64 0
		.amdhsa_float_denorm_mode_32 3
		.amdhsa_float_denorm_mode_16_64 3
		.amdhsa_dx10_clamp 1
		.amdhsa_ieee_mode 1
		.amdhsa_fp16_overflow 0
		.amdhsa_workgroup_processor_mode 1
		.amdhsa_memory_ordered 1
		.amdhsa_forward_progress 0
		.amdhsa_shared_vgpr_count 0
		.amdhsa_exception_fp_ieee_invalid_op 0
		.amdhsa_exception_fp_denorm_src 0
		.amdhsa_exception_fp_ieee_div_zero 0
		.amdhsa_exception_fp_ieee_overflow 0
		.amdhsa_exception_fp_ieee_underflow 0
		.amdhsa_exception_fp_ieee_inexact 0
		.amdhsa_exception_int_div_zero 0
	.end_amdhsa_kernel
	.section	.text._ZN2at6native29vectorized_elementwise_kernelILi8ENS0_11FillFunctorIN3c1014Float8_e8m0fnuEEESt5arrayIPcLm1EEEEviT0_T1_,"axG",@progbits,_ZN2at6native29vectorized_elementwise_kernelILi8ENS0_11FillFunctorIN3c1014Float8_e8m0fnuEEESt5arrayIPcLm1EEEEviT0_T1_,comdat
.Lfunc_end145:
	.size	_ZN2at6native29vectorized_elementwise_kernelILi8ENS0_11FillFunctorIN3c1014Float8_e8m0fnuEEESt5arrayIPcLm1EEEEviT0_T1_, .Lfunc_end145-_ZN2at6native29vectorized_elementwise_kernelILi8ENS0_11FillFunctorIN3c1014Float8_e8m0fnuEEESt5arrayIPcLm1EEEEviT0_T1_
                                        ; -- End function
	.section	.AMDGPU.csdata,"",@progbits
; Kernel info:
; codeLenInByte = 1232
; NumSgprs: 18
; NumVgprs: 4
; ScratchSize: 0
; MemoryBound: 0
; FloatMode: 240
; IeeeMode: 1
; LDSByteSize: 0 bytes/workgroup (compile time only)
; SGPRBlocks: 2
; VGPRBlocks: 0
; NumSGPRsForWavesPerEU: 18
; NumVGPRsForWavesPerEU: 4
; Occupancy: 16
; WaveLimiterHint : 1
; COMPUTE_PGM_RSRC2:SCRATCH_EN: 0
; COMPUTE_PGM_RSRC2:USER_SGPR: 15
; COMPUTE_PGM_RSRC2:TRAP_HANDLER: 0
; COMPUTE_PGM_RSRC2:TGID_X_EN: 1
; COMPUTE_PGM_RSRC2:TGID_Y_EN: 0
; COMPUTE_PGM_RSRC2:TGID_Z_EN: 0
; COMPUTE_PGM_RSRC2:TIDIG_COMP_CNT: 0
	.section	.text._ZN2at6native29vectorized_elementwise_kernelILi4ENS0_11FillFunctorIN3c1014Float8_e8m0fnuEEESt5arrayIPcLm1EEEEviT0_T1_,"axG",@progbits,_ZN2at6native29vectorized_elementwise_kernelILi4ENS0_11FillFunctorIN3c1014Float8_e8m0fnuEEESt5arrayIPcLm1EEEEviT0_T1_,comdat
	.protected	_ZN2at6native29vectorized_elementwise_kernelILi4ENS0_11FillFunctorIN3c1014Float8_e8m0fnuEEESt5arrayIPcLm1EEEEviT0_T1_ ; -- Begin function _ZN2at6native29vectorized_elementwise_kernelILi4ENS0_11FillFunctorIN3c1014Float8_e8m0fnuEEESt5arrayIPcLm1EEEEviT0_T1_
	.globl	_ZN2at6native29vectorized_elementwise_kernelILi4ENS0_11FillFunctorIN3c1014Float8_e8m0fnuEEESt5arrayIPcLm1EEEEviT0_T1_
	.p2align	8
	.type	_ZN2at6native29vectorized_elementwise_kernelILi4ENS0_11FillFunctorIN3c1014Float8_e8m0fnuEEESt5arrayIPcLm1EEEEviT0_T1_,@function
_ZN2at6native29vectorized_elementwise_kernelILi4ENS0_11FillFunctorIN3c1014Float8_e8m0fnuEEESt5arrayIPcLm1EEEEviT0_T1_: ; @_ZN2at6native29vectorized_elementwise_kernelILi4ENS0_11FillFunctorIN3c1014Float8_e8m0fnuEEESt5arrayIPcLm1EEEEviT0_T1_
; %bb.0:
	s_load_b128 s[0:3], s[0:1], 0x0
	s_lshl_b32 s4, s15, 12
	s_mov_b32 s5, -1
	s_waitcnt lgkmcnt(0)
	s_sub_i32 s0, s0, s4
	s_delay_alu instid0(SALU_CYCLE_1)
	s_cmpk_gt_i32 s0, 0xfff
	s_cbranch_scc0 .LBB146_2
; %bb.1:
	s_ashr_i32 s5, s4, 31
	s_add_u32 s6, s2, s4
	s_addc_u32 s7, s3, s5
	s_and_b32 s5, s1, 0xff
	s_delay_alu instid0(SALU_CYCLE_1) | instskip(NEXT) | instid1(SALU_CYCLE_1)
	s_mul_i32 s5, s5, 0x1010101
	v_dual_mov_b32 v2, s5 :: v_dual_lshlrev_b32 v1, 2, v0
	s_mov_b32 s5, 0
	s_clause 0x3
	global_store_b32 v1, v2, s[6:7]
	global_store_b32 v1, v2, s[6:7] offset:1024
	global_store_b32 v1, v2, s[6:7] offset:2048
	;; [unrolled: 1-line block ×3, first 2 shown]
.LBB146_2:
	s_and_not1_b32 vcc_lo, exec_lo, s5
	s_cbranch_vccnz .LBB146_20
; %bb.3:
	s_mov_b32 s5, exec_lo
	v_cmpx_gt_i32_e64 s0, v0
	s_cbranch_execnz .LBB146_21
; %bb.4:
	s_or_b32 exec_lo, exec_lo, s5
	s_delay_alu instid0(SALU_CYCLE_1)
	s_mov_b32 s5, exec_lo
	v_cmpx_gt_i32_e64 s0, v0
	s_cbranch_execnz .LBB146_22
.LBB146_5:
	s_or_b32 exec_lo, exec_lo, s5
	s_delay_alu instid0(SALU_CYCLE_1)
	s_mov_b32 s5, exec_lo
	v_cmpx_gt_i32_e64 s0, v0
	s_cbranch_execnz .LBB146_23
.LBB146_6:
	s_or_b32 exec_lo, exec_lo, s5
	s_delay_alu instid0(SALU_CYCLE_1)
	s_mov_b32 s5, exec_lo
	v_cmpx_gt_i32_e64 s0, v0
	s_cbranch_execnz .LBB146_24
.LBB146_7:
	s_or_b32 exec_lo, exec_lo, s5
	s_delay_alu instid0(SALU_CYCLE_1)
	s_mov_b32 s5, exec_lo
	v_cmpx_gt_i32_e64 s0, v0
	s_cbranch_execnz .LBB146_25
.LBB146_8:
	s_or_b32 exec_lo, exec_lo, s5
	s_delay_alu instid0(SALU_CYCLE_1)
	s_mov_b32 s5, exec_lo
	v_cmpx_gt_i32_e64 s0, v0
	s_cbranch_execnz .LBB146_26
.LBB146_9:
	s_or_b32 exec_lo, exec_lo, s5
	s_delay_alu instid0(SALU_CYCLE_1)
	s_mov_b32 s5, exec_lo
	v_cmpx_gt_i32_e64 s0, v0
	s_cbranch_execnz .LBB146_27
.LBB146_10:
	s_or_b32 exec_lo, exec_lo, s5
	s_delay_alu instid0(SALU_CYCLE_1)
	s_mov_b32 s5, exec_lo
	v_cmpx_gt_i32_e64 s0, v0
	s_cbranch_execnz .LBB146_28
.LBB146_11:
	s_or_b32 exec_lo, exec_lo, s5
	s_delay_alu instid0(SALU_CYCLE_1)
	s_mov_b32 s5, exec_lo
	v_cmpx_gt_i32_e64 s0, v0
	s_cbranch_execnz .LBB146_29
.LBB146_12:
	s_or_b32 exec_lo, exec_lo, s5
	s_delay_alu instid0(SALU_CYCLE_1)
	s_mov_b32 s5, exec_lo
	v_cmpx_gt_i32_e64 s0, v0
	s_cbranch_execnz .LBB146_30
.LBB146_13:
	s_or_b32 exec_lo, exec_lo, s5
	s_delay_alu instid0(SALU_CYCLE_1)
	s_mov_b32 s5, exec_lo
	v_cmpx_gt_i32_e64 s0, v0
	s_cbranch_execnz .LBB146_31
.LBB146_14:
	s_or_b32 exec_lo, exec_lo, s5
	s_delay_alu instid0(SALU_CYCLE_1)
	s_mov_b32 s5, exec_lo
	v_cmpx_gt_i32_e64 s0, v0
	s_cbranch_execnz .LBB146_32
.LBB146_15:
	s_or_b32 exec_lo, exec_lo, s5
	s_delay_alu instid0(SALU_CYCLE_1)
	s_mov_b32 s5, exec_lo
	v_cmpx_gt_i32_e64 s0, v0
	s_cbranch_execnz .LBB146_33
.LBB146_16:
	s_or_b32 exec_lo, exec_lo, s5
	s_delay_alu instid0(SALU_CYCLE_1)
	s_mov_b32 s5, exec_lo
	v_cmpx_gt_i32_e64 s0, v0
	s_cbranch_execnz .LBB146_34
.LBB146_17:
	s_or_b32 exec_lo, exec_lo, s5
	s_delay_alu instid0(SALU_CYCLE_1)
	s_mov_b32 s5, exec_lo
	v_cmpx_gt_i32_e64 s0, v0
	s_cbranch_execnz .LBB146_35
.LBB146_18:
	s_or_b32 exec_lo, exec_lo, s5
	v_cmp_gt_i32_e32 vcc_lo, s0, v0
	s_and_saveexec_b32 s0, vcc_lo
	s_cbranch_execz .LBB146_20
.LBB146_19:
	v_dual_mov_b32 v1, s1 :: v_dual_add_nc_u32 v0, s4, v0
	global_store_b8 v0, v1, s[2:3]
.LBB146_20:
	s_nop 0
	s_sendmsg sendmsg(MSG_DEALLOC_VGPRS)
	s_endpgm
.LBB146_21:
	v_or_b32_e32 v1, 0x100, v0
	v_or_b32_e32 v2, s4, v0
	s_delay_alu instid0(VALU_DEP_2) | instskip(SKIP_2) | instid1(SALU_CYCLE_1)
	v_dual_mov_b32 v3, s1 :: v_dual_mov_b32 v0, v1
	global_store_b8 v2, v3, s[2:3]
	s_or_b32 exec_lo, exec_lo, s5
	s_mov_b32 s5, exec_lo
	v_cmpx_gt_i32_e64 s0, v0
	s_cbranch_execz .LBB146_5
.LBB146_22:
	v_dual_mov_b32 v2, s1 :: v_dual_add_nc_u32 v1, s4, v0
	v_add_nc_u32_e32 v0, 0x100, v0
	global_store_b8 v1, v2, s[2:3]
	s_or_b32 exec_lo, exec_lo, s5
	s_delay_alu instid0(SALU_CYCLE_1)
	s_mov_b32 s5, exec_lo
	v_cmpx_gt_i32_e64 s0, v0
	s_cbranch_execz .LBB146_6
.LBB146_23:
	v_dual_mov_b32 v2, s1 :: v_dual_add_nc_u32 v1, s4, v0
	v_add_nc_u32_e32 v0, 0x100, v0
	global_store_b8 v1, v2, s[2:3]
	s_or_b32 exec_lo, exec_lo, s5
	s_delay_alu instid0(SALU_CYCLE_1)
	s_mov_b32 s5, exec_lo
	v_cmpx_gt_i32_e64 s0, v0
	s_cbranch_execz .LBB146_7
.LBB146_24:
	v_dual_mov_b32 v2, s1 :: v_dual_add_nc_u32 v1, s4, v0
	v_add_nc_u32_e32 v0, 0x100, v0
	global_store_b8 v1, v2, s[2:3]
	s_or_b32 exec_lo, exec_lo, s5
	s_delay_alu instid0(SALU_CYCLE_1)
	s_mov_b32 s5, exec_lo
	v_cmpx_gt_i32_e64 s0, v0
	s_cbranch_execz .LBB146_8
.LBB146_25:
	v_dual_mov_b32 v2, s1 :: v_dual_add_nc_u32 v1, s4, v0
	v_add_nc_u32_e32 v0, 0x100, v0
	global_store_b8 v1, v2, s[2:3]
	s_or_b32 exec_lo, exec_lo, s5
	s_delay_alu instid0(SALU_CYCLE_1)
	s_mov_b32 s5, exec_lo
	v_cmpx_gt_i32_e64 s0, v0
	s_cbranch_execz .LBB146_9
.LBB146_26:
	v_dual_mov_b32 v2, s1 :: v_dual_add_nc_u32 v1, s4, v0
	v_add_nc_u32_e32 v0, 0x100, v0
	global_store_b8 v1, v2, s[2:3]
	s_or_b32 exec_lo, exec_lo, s5
	s_delay_alu instid0(SALU_CYCLE_1)
	s_mov_b32 s5, exec_lo
	v_cmpx_gt_i32_e64 s0, v0
	s_cbranch_execz .LBB146_10
.LBB146_27:
	v_dual_mov_b32 v2, s1 :: v_dual_add_nc_u32 v1, s4, v0
	v_add_nc_u32_e32 v0, 0x100, v0
	global_store_b8 v1, v2, s[2:3]
	s_or_b32 exec_lo, exec_lo, s5
	s_delay_alu instid0(SALU_CYCLE_1)
	s_mov_b32 s5, exec_lo
	v_cmpx_gt_i32_e64 s0, v0
	s_cbranch_execz .LBB146_11
.LBB146_28:
	v_dual_mov_b32 v2, s1 :: v_dual_add_nc_u32 v1, s4, v0
	v_add_nc_u32_e32 v0, 0x100, v0
	global_store_b8 v1, v2, s[2:3]
	s_or_b32 exec_lo, exec_lo, s5
	s_delay_alu instid0(SALU_CYCLE_1)
	s_mov_b32 s5, exec_lo
	v_cmpx_gt_i32_e64 s0, v0
	s_cbranch_execz .LBB146_12
.LBB146_29:
	v_dual_mov_b32 v2, s1 :: v_dual_add_nc_u32 v1, s4, v0
	v_add_nc_u32_e32 v0, 0x100, v0
	global_store_b8 v1, v2, s[2:3]
	s_or_b32 exec_lo, exec_lo, s5
	s_delay_alu instid0(SALU_CYCLE_1)
	s_mov_b32 s5, exec_lo
	v_cmpx_gt_i32_e64 s0, v0
	s_cbranch_execz .LBB146_13
.LBB146_30:
	v_dual_mov_b32 v2, s1 :: v_dual_add_nc_u32 v1, s4, v0
	v_add_nc_u32_e32 v0, 0x100, v0
	global_store_b8 v1, v2, s[2:3]
	s_or_b32 exec_lo, exec_lo, s5
	s_delay_alu instid0(SALU_CYCLE_1)
	s_mov_b32 s5, exec_lo
	v_cmpx_gt_i32_e64 s0, v0
	s_cbranch_execz .LBB146_14
.LBB146_31:
	v_dual_mov_b32 v2, s1 :: v_dual_add_nc_u32 v1, s4, v0
	v_add_nc_u32_e32 v0, 0x100, v0
	global_store_b8 v1, v2, s[2:3]
	s_or_b32 exec_lo, exec_lo, s5
	s_delay_alu instid0(SALU_CYCLE_1)
	s_mov_b32 s5, exec_lo
	v_cmpx_gt_i32_e64 s0, v0
	s_cbranch_execz .LBB146_15
.LBB146_32:
	v_dual_mov_b32 v2, s1 :: v_dual_add_nc_u32 v1, s4, v0
	v_add_nc_u32_e32 v0, 0x100, v0
	global_store_b8 v1, v2, s[2:3]
	s_or_b32 exec_lo, exec_lo, s5
	s_delay_alu instid0(SALU_CYCLE_1)
	s_mov_b32 s5, exec_lo
	v_cmpx_gt_i32_e64 s0, v0
	s_cbranch_execz .LBB146_16
.LBB146_33:
	v_dual_mov_b32 v2, s1 :: v_dual_add_nc_u32 v1, s4, v0
	v_add_nc_u32_e32 v0, 0x100, v0
	global_store_b8 v1, v2, s[2:3]
	s_or_b32 exec_lo, exec_lo, s5
	s_delay_alu instid0(SALU_CYCLE_1)
	s_mov_b32 s5, exec_lo
	v_cmpx_gt_i32_e64 s0, v0
	s_cbranch_execz .LBB146_17
.LBB146_34:
	v_dual_mov_b32 v2, s1 :: v_dual_add_nc_u32 v1, s4, v0
	v_add_nc_u32_e32 v0, 0x100, v0
	global_store_b8 v1, v2, s[2:3]
	s_or_b32 exec_lo, exec_lo, s5
	s_delay_alu instid0(SALU_CYCLE_1)
	s_mov_b32 s5, exec_lo
	v_cmpx_gt_i32_e64 s0, v0
	s_cbranch_execz .LBB146_18
.LBB146_35:
	v_dual_mov_b32 v2, s1 :: v_dual_add_nc_u32 v1, s4, v0
	v_add_nc_u32_e32 v0, 0x100, v0
	global_store_b8 v1, v2, s[2:3]
	s_or_b32 exec_lo, exec_lo, s5
	v_cmp_gt_i32_e32 vcc_lo, s0, v0
	s_and_saveexec_b32 s0, vcc_lo
	s_cbranch_execnz .LBB146_19
	s_branch .LBB146_20
	.section	.rodata,"a",@progbits
	.p2align	6, 0x0
	.amdhsa_kernel _ZN2at6native29vectorized_elementwise_kernelILi4ENS0_11FillFunctorIN3c1014Float8_e8m0fnuEEESt5arrayIPcLm1EEEEviT0_T1_
		.amdhsa_group_segment_fixed_size 0
		.amdhsa_private_segment_fixed_size 0
		.amdhsa_kernarg_size 16
		.amdhsa_user_sgpr_count 15
		.amdhsa_user_sgpr_dispatch_ptr 0
		.amdhsa_user_sgpr_queue_ptr 0
		.amdhsa_user_sgpr_kernarg_segment_ptr 1
		.amdhsa_user_sgpr_dispatch_id 0
		.amdhsa_user_sgpr_private_segment_size 0
		.amdhsa_wavefront_size32 1
		.amdhsa_uses_dynamic_stack 0
		.amdhsa_enable_private_segment 0
		.amdhsa_system_sgpr_workgroup_id_x 1
		.amdhsa_system_sgpr_workgroup_id_y 0
		.amdhsa_system_sgpr_workgroup_id_z 0
		.amdhsa_system_sgpr_workgroup_info 0
		.amdhsa_system_vgpr_workitem_id 0
		.amdhsa_next_free_vgpr 4
		.amdhsa_next_free_sgpr 16
		.amdhsa_reserve_vcc 1
		.amdhsa_float_round_mode_32 0
		.amdhsa_float_round_mode_16_64 0
		.amdhsa_float_denorm_mode_32 3
		.amdhsa_float_denorm_mode_16_64 3
		.amdhsa_dx10_clamp 1
		.amdhsa_ieee_mode 1
		.amdhsa_fp16_overflow 0
		.amdhsa_workgroup_processor_mode 1
		.amdhsa_memory_ordered 1
		.amdhsa_forward_progress 0
		.amdhsa_shared_vgpr_count 0
		.amdhsa_exception_fp_ieee_invalid_op 0
		.amdhsa_exception_fp_denorm_src 0
		.amdhsa_exception_fp_ieee_div_zero 0
		.amdhsa_exception_fp_ieee_overflow 0
		.amdhsa_exception_fp_ieee_underflow 0
		.amdhsa_exception_fp_ieee_inexact 0
		.amdhsa_exception_int_div_zero 0
	.end_amdhsa_kernel
	.section	.text._ZN2at6native29vectorized_elementwise_kernelILi4ENS0_11FillFunctorIN3c1014Float8_e8m0fnuEEESt5arrayIPcLm1EEEEviT0_T1_,"axG",@progbits,_ZN2at6native29vectorized_elementwise_kernelILi4ENS0_11FillFunctorIN3c1014Float8_e8m0fnuEEESt5arrayIPcLm1EEEEviT0_T1_,comdat
.Lfunc_end146:
	.size	_ZN2at6native29vectorized_elementwise_kernelILi4ENS0_11FillFunctorIN3c1014Float8_e8m0fnuEEESt5arrayIPcLm1EEEEviT0_T1_, .Lfunc_end146-_ZN2at6native29vectorized_elementwise_kernelILi4ENS0_11FillFunctorIN3c1014Float8_e8m0fnuEEESt5arrayIPcLm1EEEEviT0_T1_
                                        ; -- End function
	.section	.AMDGPU.csdata,"",@progbits
; Kernel info:
; codeLenInByte = 1240
; NumSgprs: 18
; NumVgprs: 4
; ScratchSize: 0
; MemoryBound: 0
; FloatMode: 240
; IeeeMode: 1
; LDSByteSize: 0 bytes/workgroup (compile time only)
; SGPRBlocks: 2
; VGPRBlocks: 0
; NumSGPRsForWavesPerEU: 18
; NumVGPRsForWavesPerEU: 4
; Occupancy: 16
; WaveLimiterHint : 1
; COMPUTE_PGM_RSRC2:SCRATCH_EN: 0
; COMPUTE_PGM_RSRC2:USER_SGPR: 15
; COMPUTE_PGM_RSRC2:TRAP_HANDLER: 0
; COMPUTE_PGM_RSRC2:TGID_X_EN: 1
; COMPUTE_PGM_RSRC2:TGID_Y_EN: 0
; COMPUTE_PGM_RSRC2:TGID_Z_EN: 0
; COMPUTE_PGM_RSRC2:TIDIG_COMP_CNT: 0
	.section	.text._ZN2at6native29vectorized_elementwise_kernelILi2ENS0_11FillFunctorIN3c1014Float8_e8m0fnuEEESt5arrayIPcLm1EEEEviT0_T1_,"axG",@progbits,_ZN2at6native29vectorized_elementwise_kernelILi2ENS0_11FillFunctorIN3c1014Float8_e8m0fnuEEESt5arrayIPcLm1EEEEviT0_T1_,comdat
	.protected	_ZN2at6native29vectorized_elementwise_kernelILi2ENS0_11FillFunctorIN3c1014Float8_e8m0fnuEEESt5arrayIPcLm1EEEEviT0_T1_ ; -- Begin function _ZN2at6native29vectorized_elementwise_kernelILi2ENS0_11FillFunctorIN3c1014Float8_e8m0fnuEEESt5arrayIPcLm1EEEEviT0_T1_
	.globl	_ZN2at6native29vectorized_elementwise_kernelILi2ENS0_11FillFunctorIN3c1014Float8_e8m0fnuEEESt5arrayIPcLm1EEEEviT0_T1_
	.p2align	8
	.type	_ZN2at6native29vectorized_elementwise_kernelILi2ENS0_11FillFunctorIN3c1014Float8_e8m0fnuEEESt5arrayIPcLm1EEEEviT0_T1_,@function
_ZN2at6native29vectorized_elementwise_kernelILi2ENS0_11FillFunctorIN3c1014Float8_e8m0fnuEEESt5arrayIPcLm1EEEEviT0_T1_: ; @_ZN2at6native29vectorized_elementwise_kernelILi2ENS0_11FillFunctorIN3c1014Float8_e8m0fnuEEESt5arrayIPcLm1EEEEviT0_T1_
; %bb.0:
	s_load_b128 s[0:3], s[0:1], 0x0
	s_lshl_b32 s4, s15, 12
	s_mov_b32 s5, -1
	s_waitcnt lgkmcnt(0)
	s_sub_i32 s0, s0, s4
	s_delay_alu instid0(SALU_CYCLE_1)
	s_cmpk_gt_i32 s0, 0xfff
	s_cbranch_scc0 .LBB147_2
; %bb.1:
	v_and_b32_e64 v1, 0xff, s1
	v_lshlrev_b32_e32 v2, 1, v0
	s_ashr_i32 s5, s4, 31
	s_add_u32 s6, s2, s4
	s_addc_u32 s7, s3, s5
	v_mul_lo_u16 v1, 0x101, v1
	s_mov_b32 s5, 0
	s_clause 0x7
	global_store_b16 v2, v1, s[6:7]
	global_store_b16 v2, v1, s[6:7] offset:512
	global_store_b16 v2, v1, s[6:7] offset:1024
	;; [unrolled: 1-line block ×7, first 2 shown]
.LBB147_2:
	s_and_not1_b32 vcc_lo, exec_lo, s5
	s_cbranch_vccnz .LBB147_20
; %bb.3:
	s_mov_b32 s5, exec_lo
	v_cmpx_gt_i32_e64 s0, v0
	s_cbranch_execnz .LBB147_21
; %bb.4:
	s_or_b32 exec_lo, exec_lo, s5
	s_delay_alu instid0(SALU_CYCLE_1)
	s_mov_b32 s5, exec_lo
	v_cmpx_gt_i32_e64 s0, v0
	s_cbranch_execnz .LBB147_22
.LBB147_5:
	s_or_b32 exec_lo, exec_lo, s5
	s_delay_alu instid0(SALU_CYCLE_1)
	s_mov_b32 s5, exec_lo
	v_cmpx_gt_i32_e64 s0, v0
	s_cbranch_execnz .LBB147_23
.LBB147_6:
	s_or_b32 exec_lo, exec_lo, s5
	s_delay_alu instid0(SALU_CYCLE_1)
	s_mov_b32 s5, exec_lo
	v_cmpx_gt_i32_e64 s0, v0
	s_cbranch_execnz .LBB147_24
.LBB147_7:
	s_or_b32 exec_lo, exec_lo, s5
	s_delay_alu instid0(SALU_CYCLE_1)
	s_mov_b32 s5, exec_lo
	v_cmpx_gt_i32_e64 s0, v0
	s_cbranch_execnz .LBB147_25
.LBB147_8:
	s_or_b32 exec_lo, exec_lo, s5
	s_delay_alu instid0(SALU_CYCLE_1)
	s_mov_b32 s5, exec_lo
	v_cmpx_gt_i32_e64 s0, v0
	s_cbranch_execnz .LBB147_26
.LBB147_9:
	s_or_b32 exec_lo, exec_lo, s5
	s_delay_alu instid0(SALU_CYCLE_1)
	s_mov_b32 s5, exec_lo
	v_cmpx_gt_i32_e64 s0, v0
	s_cbranch_execnz .LBB147_27
.LBB147_10:
	s_or_b32 exec_lo, exec_lo, s5
	s_delay_alu instid0(SALU_CYCLE_1)
	s_mov_b32 s5, exec_lo
	v_cmpx_gt_i32_e64 s0, v0
	s_cbranch_execnz .LBB147_28
.LBB147_11:
	s_or_b32 exec_lo, exec_lo, s5
	s_delay_alu instid0(SALU_CYCLE_1)
	s_mov_b32 s5, exec_lo
	v_cmpx_gt_i32_e64 s0, v0
	s_cbranch_execnz .LBB147_29
.LBB147_12:
	s_or_b32 exec_lo, exec_lo, s5
	s_delay_alu instid0(SALU_CYCLE_1)
	s_mov_b32 s5, exec_lo
	v_cmpx_gt_i32_e64 s0, v0
	s_cbranch_execnz .LBB147_30
.LBB147_13:
	s_or_b32 exec_lo, exec_lo, s5
	s_delay_alu instid0(SALU_CYCLE_1)
	s_mov_b32 s5, exec_lo
	v_cmpx_gt_i32_e64 s0, v0
	s_cbranch_execnz .LBB147_31
.LBB147_14:
	s_or_b32 exec_lo, exec_lo, s5
	s_delay_alu instid0(SALU_CYCLE_1)
	s_mov_b32 s5, exec_lo
	v_cmpx_gt_i32_e64 s0, v0
	s_cbranch_execnz .LBB147_32
.LBB147_15:
	s_or_b32 exec_lo, exec_lo, s5
	s_delay_alu instid0(SALU_CYCLE_1)
	s_mov_b32 s5, exec_lo
	v_cmpx_gt_i32_e64 s0, v0
	s_cbranch_execnz .LBB147_33
.LBB147_16:
	s_or_b32 exec_lo, exec_lo, s5
	s_delay_alu instid0(SALU_CYCLE_1)
	s_mov_b32 s5, exec_lo
	v_cmpx_gt_i32_e64 s0, v0
	s_cbranch_execnz .LBB147_34
.LBB147_17:
	s_or_b32 exec_lo, exec_lo, s5
	s_delay_alu instid0(SALU_CYCLE_1)
	s_mov_b32 s5, exec_lo
	v_cmpx_gt_i32_e64 s0, v0
	s_cbranch_execnz .LBB147_35
.LBB147_18:
	s_or_b32 exec_lo, exec_lo, s5
	v_cmp_gt_i32_e32 vcc_lo, s0, v0
	s_and_saveexec_b32 s0, vcc_lo
	s_cbranch_execz .LBB147_20
.LBB147_19:
	v_dual_mov_b32 v1, s1 :: v_dual_add_nc_u32 v0, s4, v0
	global_store_b8 v0, v1, s[2:3]
.LBB147_20:
	s_nop 0
	s_sendmsg sendmsg(MSG_DEALLOC_VGPRS)
	s_endpgm
.LBB147_21:
	v_or_b32_e32 v1, 0x100, v0
	v_or_b32_e32 v2, s4, v0
	s_delay_alu instid0(VALU_DEP_2) | instskip(SKIP_2) | instid1(SALU_CYCLE_1)
	v_dual_mov_b32 v3, s1 :: v_dual_mov_b32 v0, v1
	global_store_b8 v2, v3, s[2:3]
	s_or_b32 exec_lo, exec_lo, s5
	s_mov_b32 s5, exec_lo
	v_cmpx_gt_i32_e64 s0, v0
	s_cbranch_execz .LBB147_5
.LBB147_22:
	v_dual_mov_b32 v2, s1 :: v_dual_add_nc_u32 v1, s4, v0
	v_add_nc_u32_e32 v0, 0x100, v0
	global_store_b8 v1, v2, s[2:3]
	s_or_b32 exec_lo, exec_lo, s5
	s_delay_alu instid0(SALU_CYCLE_1)
	s_mov_b32 s5, exec_lo
	v_cmpx_gt_i32_e64 s0, v0
	s_cbranch_execz .LBB147_6
.LBB147_23:
	v_dual_mov_b32 v2, s1 :: v_dual_add_nc_u32 v1, s4, v0
	v_add_nc_u32_e32 v0, 0x100, v0
	global_store_b8 v1, v2, s[2:3]
	s_or_b32 exec_lo, exec_lo, s5
	s_delay_alu instid0(SALU_CYCLE_1)
	s_mov_b32 s5, exec_lo
	v_cmpx_gt_i32_e64 s0, v0
	s_cbranch_execz .LBB147_7
.LBB147_24:
	v_dual_mov_b32 v2, s1 :: v_dual_add_nc_u32 v1, s4, v0
	v_add_nc_u32_e32 v0, 0x100, v0
	global_store_b8 v1, v2, s[2:3]
	s_or_b32 exec_lo, exec_lo, s5
	s_delay_alu instid0(SALU_CYCLE_1)
	s_mov_b32 s5, exec_lo
	v_cmpx_gt_i32_e64 s0, v0
	s_cbranch_execz .LBB147_8
.LBB147_25:
	v_dual_mov_b32 v2, s1 :: v_dual_add_nc_u32 v1, s4, v0
	v_add_nc_u32_e32 v0, 0x100, v0
	global_store_b8 v1, v2, s[2:3]
	s_or_b32 exec_lo, exec_lo, s5
	s_delay_alu instid0(SALU_CYCLE_1)
	s_mov_b32 s5, exec_lo
	v_cmpx_gt_i32_e64 s0, v0
	s_cbranch_execz .LBB147_9
.LBB147_26:
	v_dual_mov_b32 v2, s1 :: v_dual_add_nc_u32 v1, s4, v0
	v_add_nc_u32_e32 v0, 0x100, v0
	global_store_b8 v1, v2, s[2:3]
	s_or_b32 exec_lo, exec_lo, s5
	s_delay_alu instid0(SALU_CYCLE_1)
	s_mov_b32 s5, exec_lo
	v_cmpx_gt_i32_e64 s0, v0
	s_cbranch_execz .LBB147_10
.LBB147_27:
	v_dual_mov_b32 v2, s1 :: v_dual_add_nc_u32 v1, s4, v0
	v_add_nc_u32_e32 v0, 0x100, v0
	global_store_b8 v1, v2, s[2:3]
	s_or_b32 exec_lo, exec_lo, s5
	s_delay_alu instid0(SALU_CYCLE_1)
	s_mov_b32 s5, exec_lo
	v_cmpx_gt_i32_e64 s0, v0
	s_cbranch_execz .LBB147_11
.LBB147_28:
	v_dual_mov_b32 v2, s1 :: v_dual_add_nc_u32 v1, s4, v0
	v_add_nc_u32_e32 v0, 0x100, v0
	global_store_b8 v1, v2, s[2:3]
	s_or_b32 exec_lo, exec_lo, s5
	s_delay_alu instid0(SALU_CYCLE_1)
	s_mov_b32 s5, exec_lo
	v_cmpx_gt_i32_e64 s0, v0
	s_cbranch_execz .LBB147_12
.LBB147_29:
	v_dual_mov_b32 v2, s1 :: v_dual_add_nc_u32 v1, s4, v0
	v_add_nc_u32_e32 v0, 0x100, v0
	global_store_b8 v1, v2, s[2:3]
	s_or_b32 exec_lo, exec_lo, s5
	s_delay_alu instid0(SALU_CYCLE_1)
	s_mov_b32 s5, exec_lo
	v_cmpx_gt_i32_e64 s0, v0
	s_cbranch_execz .LBB147_13
.LBB147_30:
	v_dual_mov_b32 v2, s1 :: v_dual_add_nc_u32 v1, s4, v0
	v_add_nc_u32_e32 v0, 0x100, v0
	global_store_b8 v1, v2, s[2:3]
	s_or_b32 exec_lo, exec_lo, s5
	s_delay_alu instid0(SALU_CYCLE_1)
	s_mov_b32 s5, exec_lo
	v_cmpx_gt_i32_e64 s0, v0
	s_cbranch_execz .LBB147_14
.LBB147_31:
	v_dual_mov_b32 v2, s1 :: v_dual_add_nc_u32 v1, s4, v0
	v_add_nc_u32_e32 v0, 0x100, v0
	global_store_b8 v1, v2, s[2:3]
	s_or_b32 exec_lo, exec_lo, s5
	s_delay_alu instid0(SALU_CYCLE_1)
	s_mov_b32 s5, exec_lo
	v_cmpx_gt_i32_e64 s0, v0
	s_cbranch_execz .LBB147_15
.LBB147_32:
	v_dual_mov_b32 v2, s1 :: v_dual_add_nc_u32 v1, s4, v0
	v_add_nc_u32_e32 v0, 0x100, v0
	global_store_b8 v1, v2, s[2:3]
	s_or_b32 exec_lo, exec_lo, s5
	s_delay_alu instid0(SALU_CYCLE_1)
	s_mov_b32 s5, exec_lo
	v_cmpx_gt_i32_e64 s0, v0
	s_cbranch_execz .LBB147_16
.LBB147_33:
	v_dual_mov_b32 v2, s1 :: v_dual_add_nc_u32 v1, s4, v0
	v_add_nc_u32_e32 v0, 0x100, v0
	global_store_b8 v1, v2, s[2:3]
	s_or_b32 exec_lo, exec_lo, s5
	s_delay_alu instid0(SALU_CYCLE_1)
	s_mov_b32 s5, exec_lo
	v_cmpx_gt_i32_e64 s0, v0
	s_cbranch_execz .LBB147_17
.LBB147_34:
	v_dual_mov_b32 v2, s1 :: v_dual_add_nc_u32 v1, s4, v0
	v_add_nc_u32_e32 v0, 0x100, v0
	global_store_b8 v1, v2, s[2:3]
	s_or_b32 exec_lo, exec_lo, s5
	s_delay_alu instid0(SALU_CYCLE_1)
	s_mov_b32 s5, exec_lo
	v_cmpx_gt_i32_e64 s0, v0
	s_cbranch_execz .LBB147_18
.LBB147_35:
	v_dual_mov_b32 v2, s1 :: v_dual_add_nc_u32 v1, s4, v0
	v_add_nc_u32_e32 v0, 0x100, v0
	global_store_b8 v1, v2, s[2:3]
	s_or_b32 exec_lo, exec_lo, s5
	v_cmp_gt_i32_e32 vcc_lo, s0, v0
	s_and_saveexec_b32 s0, vcc_lo
	s_cbranch_execnz .LBB147_19
	s_branch .LBB147_20
	.section	.rodata,"a",@progbits
	.p2align	6, 0x0
	.amdhsa_kernel _ZN2at6native29vectorized_elementwise_kernelILi2ENS0_11FillFunctorIN3c1014Float8_e8m0fnuEEESt5arrayIPcLm1EEEEviT0_T1_
		.amdhsa_group_segment_fixed_size 0
		.amdhsa_private_segment_fixed_size 0
		.amdhsa_kernarg_size 16
		.amdhsa_user_sgpr_count 15
		.amdhsa_user_sgpr_dispatch_ptr 0
		.amdhsa_user_sgpr_queue_ptr 0
		.amdhsa_user_sgpr_kernarg_segment_ptr 1
		.amdhsa_user_sgpr_dispatch_id 0
		.amdhsa_user_sgpr_private_segment_size 0
		.amdhsa_wavefront_size32 1
		.amdhsa_uses_dynamic_stack 0
		.amdhsa_enable_private_segment 0
		.amdhsa_system_sgpr_workgroup_id_x 1
		.amdhsa_system_sgpr_workgroup_id_y 0
		.amdhsa_system_sgpr_workgroup_id_z 0
		.amdhsa_system_sgpr_workgroup_info 0
		.amdhsa_system_vgpr_workitem_id 0
		.amdhsa_next_free_vgpr 4
		.amdhsa_next_free_sgpr 16
		.amdhsa_reserve_vcc 1
		.amdhsa_float_round_mode_32 0
		.amdhsa_float_round_mode_16_64 0
		.amdhsa_float_denorm_mode_32 3
		.amdhsa_float_denorm_mode_16_64 3
		.amdhsa_dx10_clamp 1
		.amdhsa_ieee_mode 1
		.amdhsa_fp16_overflow 0
		.amdhsa_workgroup_processor_mode 1
		.amdhsa_memory_ordered 1
		.amdhsa_forward_progress 0
		.amdhsa_shared_vgpr_count 0
		.amdhsa_exception_fp_ieee_invalid_op 0
		.amdhsa_exception_fp_denorm_src 0
		.amdhsa_exception_fp_ieee_div_zero 0
		.amdhsa_exception_fp_ieee_overflow 0
		.amdhsa_exception_fp_ieee_underflow 0
		.amdhsa_exception_fp_ieee_inexact 0
		.amdhsa_exception_int_div_zero 0
	.end_amdhsa_kernel
	.section	.text._ZN2at6native29vectorized_elementwise_kernelILi2ENS0_11FillFunctorIN3c1014Float8_e8m0fnuEEESt5arrayIPcLm1EEEEviT0_T1_,"axG",@progbits,_ZN2at6native29vectorized_elementwise_kernelILi2ENS0_11FillFunctorIN3c1014Float8_e8m0fnuEEESt5arrayIPcLm1EEEEviT0_T1_,comdat
.Lfunc_end147:
	.size	_ZN2at6native29vectorized_elementwise_kernelILi2ENS0_11FillFunctorIN3c1014Float8_e8m0fnuEEESt5arrayIPcLm1EEEEviT0_T1_, .Lfunc_end147-_ZN2at6native29vectorized_elementwise_kernelILi2ENS0_11FillFunctorIN3c1014Float8_e8m0fnuEEESt5arrayIPcLm1EEEEviT0_T1_
                                        ; -- End function
	.section	.AMDGPU.csdata,"",@progbits
; Kernel info:
; codeLenInByte = 1272
; NumSgprs: 18
; NumVgprs: 4
; ScratchSize: 0
; MemoryBound: 0
; FloatMode: 240
; IeeeMode: 1
; LDSByteSize: 0 bytes/workgroup (compile time only)
; SGPRBlocks: 2
; VGPRBlocks: 0
; NumSGPRsForWavesPerEU: 18
; NumVGPRsForWavesPerEU: 4
; Occupancy: 16
; WaveLimiterHint : 1
; COMPUTE_PGM_RSRC2:SCRATCH_EN: 0
; COMPUTE_PGM_RSRC2:USER_SGPR: 15
; COMPUTE_PGM_RSRC2:TRAP_HANDLER: 0
; COMPUTE_PGM_RSRC2:TGID_X_EN: 1
; COMPUTE_PGM_RSRC2:TGID_Y_EN: 0
; COMPUTE_PGM_RSRC2:TGID_Z_EN: 0
; COMPUTE_PGM_RSRC2:TIDIG_COMP_CNT: 0
	.section	.text._ZN2at6native27unrolled_elementwise_kernelINS0_11FillFunctorIN3c1014Float8_e8m0fnuEEESt5arrayIPcLm1EELi4E23TrivialOffsetCalculatorILi0EjES9_ILi1EjENS0_6memory15LoadWithoutCastENSC_16StoreWithoutCastEEEviT_T0_T2_T3_T4_T5_,"axG",@progbits,_ZN2at6native27unrolled_elementwise_kernelINS0_11FillFunctorIN3c1014Float8_e8m0fnuEEESt5arrayIPcLm1EELi4E23TrivialOffsetCalculatorILi0EjES9_ILi1EjENS0_6memory15LoadWithoutCastENSC_16StoreWithoutCastEEEviT_T0_T2_T3_T4_T5_,comdat
	.protected	_ZN2at6native27unrolled_elementwise_kernelINS0_11FillFunctorIN3c1014Float8_e8m0fnuEEESt5arrayIPcLm1EELi4E23TrivialOffsetCalculatorILi0EjES9_ILi1EjENS0_6memory15LoadWithoutCastENSC_16StoreWithoutCastEEEviT_T0_T2_T3_T4_T5_ ; -- Begin function _ZN2at6native27unrolled_elementwise_kernelINS0_11FillFunctorIN3c1014Float8_e8m0fnuEEESt5arrayIPcLm1EELi4E23TrivialOffsetCalculatorILi0EjES9_ILi1EjENS0_6memory15LoadWithoutCastENSC_16StoreWithoutCastEEEviT_T0_T2_T3_T4_T5_
	.globl	_ZN2at6native27unrolled_elementwise_kernelINS0_11FillFunctorIN3c1014Float8_e8m0fnuEEESt5arrayIPcLm1EELi4E23TrivialOffsetCalculatorILi0EjES9_ILi1EjENS0_6memory15LoadWithoutCastENSC_16StoreWithoutCastEEEviT_T0_T2_T3_T4_T5_
	.p2align	8
	.type	_ZN2at6native27unrolled_elementwise_kernelINS0_11FillFunctorIN3c1014Float8_e8m0fnuEEESt5arrayIPcLm1EELi4E23TrivialOffsetCalculatorILi0EjES9_ILi1EjENS0_6memory15LoadWithoutCastENSC_16StoreWithoutCastEEEviT_T0_T2_T3_T4_T5_,@function
_ZN2at6native27unrolled_elementwise_kernelINS0_11FillFunctorIN3c1014Float8_e8m0fnuEEESt5arrayIPcLm1EELi4E23TrivialOffsetCalculatorILi0EjES9_ILi1EjENS0_6memory15LoadWithoutCastENSC_16StoreWithoutCastEEEviT_T0_T2_T3_T4_T5_: ; @_ZN2at6native27unrolled_elementwise_kernelINS0_11FillFunctorIN3c1014Float8_e8m0fnuEEESt5arrayIPcLm1EELi4E23TrivialOffsetCalculatorILi0EjES9_ILi1EjENS0_6memory15LoadWithoutCastENSC_16StoreWithoutCastEEEviT_T0_T2_T3_T4_T5_
; %bb.0:
	s_load_b128 s[0:3], s[0:1], 0x0
	s_lshl_b32 s4, s15, 10
	s_mov_b32 s5, exec_lo
	s_waitcnt lgkmcnt(0)
	s_sub_i32 s0, s0, s4
	s_delay_alu instid0(SALU_CYCLE_1)
	v_cmpx_gt_i32_e64 s0, v0
	s_cbranch_execnz .LBB148_5
; %bb.1:
	s_or_b32 exec_lo, exec_lo, s5
	s_delay_alu instid0(SALU_CYCLE_1)
	s_mov_b32 s5, exec_lo
	v_cmpx_gt_i32_e64 s0, v0
	s_cbranch_execnz .LBB148_6
.LBB148_2:
	s_or_b32 exec_lo, exec_lo, s5
	s_delay_alu instid0(SALU_CYCLE_1)
	s_mov_b32 s5, exec_lo
	v_cmpx_gt_i32_e64 s0, v0
	s_cbranch_execnz .LBB148_7
.LBB148_3:
	s_or_b32 exec_lo, exec_lo, s5
	v_cmp_gt_i32_e32 vcc_lo, s0, v0
	s_and_saveexec_b32 s0, vcc_lo
	s_cbranch_execnz .LBB148_8
.LBB148_4:
	s_nop 0
	s_sendmsg sendmsg(MSG_DEALLOC_VGPRS)
	s_endpgm
.LBB148_5:
	v_or_b32_e32 v1, s4, v0
	v_mov_b32_e32 v2, s1
	v_or_b32_e32 v0, 0x100, v0
	global_store_b8 v1, v2, s[2:3]
	s_or_b32 exec_lo, exec_lo, s5
	s_delay_alu instid0(SALU_CYCLE_1)
	s_mov_b32 s5, exec_lo
	v_cmpx_gt_i32_e64 s0, v0
	s_cbranch_execz .LBB148_2
.LBB148_6:
	v_add_nc_u32_e32 v1, 0x100, v0
	v_dual_mov_b32 v3, s1 :: v_dual_add_nc_u32 v2, s4, v0
	s_delay_alu instid0(VALU_DEP_2) | instskip(SKIP_2) | instid1(SALU_CYCLE_1)
	v_mov_b32_e32 v0, v1
	global_store_b8 v2, v3, s[2:3]
	s_or_b32 exec_lo, exec_lo, s5
	s_mov_b32 s5, exec_lo
	v_cmpx_gt_i32_e64 s0, v0
	s_cbranch_execz .LBB148_3
.LBB148_7:
	v_add_nc_u32_e32 v1, 0x100, v0
	v_dual_mov_b32 v3, s1 :: v_dual_add_nc_u32 v2, s4, v0
	s_delay_alu instid0(VALU_DEP_2)
	v_mov_b32_e32 v0, v1
	global_store_b8 v2, v3, s[2:3]
	s_or_b32 exec_lo, exec_lo, s5
	v_cmp_gt_i32_e32 vcc_lo, s0, v0
	s_and_saveexec_b32 s0, vcc_lo
	s_cbranch_execz .LBB148_4
.LBB148_8:
	v_dual_mov_b32 v1, s1 :: v_dual_add_nc_u32 v0, s4, v0
	global_store_b8 v0, v1, s[2:3]
	s_nop 0
	s_sendmsg sendmsg(MSG_DEALLOC_VGPRS)
	s_endpgm
	.section	.rodata,"a",@progbits
	.p2align	6, 0x0
	.amdhsa_kernel _ZN2at6native27unrolled_elementwise_kernelINS0_11FillFunctorIN3c1014Float8_e8m0fnuEEESt5arrayIPcLm1EELi4E23TrivialOffsetCalculatorILi0EjES9_ILi1EjENS0_6memory15LoadWithoutCastENSC_16StoreWithoutCastEEEviT_T0_T2_T3_T4_T5_
		.amdhsa_group_segment_fixed_size 0
		.amdhsa_private_segment_fixed_size 0
		.amdhsa_kernarg_size 20
		.amdhsa_user_sgpr_count 15
		.amdhsa_user_sgpr_dispatch_ptr 0
		.amdhsa_user_sgpr_queue_ptr 0
		.amdhsa_user_sgpr_kernarg_segment_ptr 1
		.amdhsa_user_sgpr_dispatch_id 0
		.amdhsa_user_sgpr_private_segment_size 0
		.amdhsa_wavefront_size32 1
		.amdhsa_uses_dynamic_stack 0
		.amdhsa_enable_private_segment 0
		.amdhsa_system_sgpr_workgroup_id_x 1
		.amdhsa_system_sgpr_workgroup_id_y 0
		.amdhsa_system_sgpr_workgroup_id_z 0
		.amdhsa_system_sgpr_workgroup_info 0
		.amdhsa_system_vgpr_workitem_id 0
		.amdhsa_next_free_vgpr 4
		.amdhsa_next_free_sgpr 16
		.amdhsa_reserve_vcc 1
		.amdhsa_float_round_mode_32 0
		.amdhsa_float_round_mode_16_64 0
		.amdhsa_float_denorm_mode_32 3
		.amdhsa_float_denorm_mode_16_64 3
		.amdhsa_dx10_clamp 1
		.amdhsa_ieee_mode 1
		.amdhsa_fp16_overflow 0
		.amdhsa_workgroup_processor_mode 1
		.amdhsa_memory_ordered 1
		.amdhsa_forward_progress 0
		.amdhsa_shared_vgpr_count 0
		.amdhsa_exception_fp_ieee_invalid_op 0
		.amdhsa_exception_fp_denorm_src 0
		.amdhsa_exception_fp_ieee_div_zero 0
		.amdhsa_exception_fp_ieee_overflow 0
		.amdhsa_exception_fp_ieee_underflow 0
		.amdhsa_exception_fp_ieee_inexact 0
		.amdhsa_exception_int_div_zero 0
	.end_amdhsa_kernel
	.section	.text._ZN2at6native27unrolled_elementwise_kernelINS0_11FillFunctorIN3c1014Float8_e8m0fnuEEESt5arrayIPcLm1EELi4E23TrivialOffsetCalculatorILi0EjES9_ILi1EjENS0_6memory15LoadWithoutCastENSC_16StoreWithoutCastEEEviT_T0_T2_T3_T4_T5_,"axG",@progbits,_ZN2at6native27unrolled_elementwise_kernelINS0_11FillFunctorIN3c1014Float8_e8m0fnuEEESt5arrayIPcLm1EELi4E23TrivialOffsetCalculatorILi0EjES9_ILi1EjENS0_6memory15LoadWithoutCastENSC_16StoreWithoutCastEEEviT_T0_T2_T3_T4_T5_,comdat
.Lfunc_end148:
	.size	_ZN2at6native27unrolled_elementwise_kernelINS0_11FillFunctorIN3c1014Float8_e8m0fnuEEESt5arrayIPcLm1EELi4E23TrivialOffsetCalculatorILi0EjES9_ILi1EjENS0_6memory15LoadWithoutCastENSC_16StoreWithoutCastEEEviT_T0_T2_T3_T4_T5_, .Lfunc_end148-_ZN2at6native27unrolled_elementwise_kernelINS0_11FillFunctorIN3c1014Float8_e8m0fnuEEESt5arrayIPcLm1EELi4E23TrivialOffsetCalculatorILi0EjES9_ILi1EjENS0_6memory15LoadWithoutCastENSC_16StoreWithoutCastEEEviT_T0_T2_T3_T4_T5_
                                        ; -- End function
	.section	.AMDGPU.csdata,"",@progbits
; Kernel info:
; codeLenInByte = 292
; NumSgprs: 18
; NumVgprs: 4
; ScratchSize: 0
; MemoryBound: 0
; FloatMode: 240
; IeeeMode: 1
; LDSByteSize: 0 bytes/workgroup (compile time only)
; SGPRBlocks: 2
; VGPRBlocks: 0
; NumSGPRsForWavesPerEU: 18
; NumVGPRsForWavesPerEU: 4
; Occupancy: 16
; WaveLimiterHint : 0
; COMPUTE_PGM_RSRC2:SCRATCH_EN: 0
; COMPUTE_PGM_RSRC2:USER_SGPR: 15
; COMPUTE_PGM_RSRC2:TRAP_HANDLER: 0
; COMPUTE_PGM_RSRC2:TGID_X_EN: 1
; COMPUTE_PGM_RSRC2:TGID_Y_EN: 0
; COMPUTE_PGM_RSRC2:TGID_Z_EN: 0
; COMPUTE_PGM_RSRC2:TIDIG_COMP_CNT: 0
	.section	.text._ZN2at6native32elementwise_kernel_manual_unrollILi128ELi8EZNS0_22gpu_kernel_impl_nocastINS0_11FillFunctorIN3c1014Float8_e8m0fnuEEEEEvRNS_18TensorIteratorBaseERKT_EUlibE_EEviT1_,"axG",@progbits,_ZN2at6native32elementwise_kernel_manual_unrollILi128ELi8EZNS0_22gpu_kernel_impl_nocastINS0_11FillFunctorIN3c1014Float8_e8m0fnuEEEEEvRNS_18TensorIteratorBaseERKT_EUlibE_EEviT1_,comdat
	.protected	_ZN2at6native32elementwise_kernel_manual_unrollILi128ELi8EZNS0_22gpu_kernel_impl_nocastINS0_11FillFunctorIN3c1014Float8_e8m0fnuEEEEEvRNS_18TensorIteratorBaseERKT_EUlibE_EEviT1_ ; -- Begin function _ZN2at6native32elementwise_kernel_manual_unrollILi128ELi8EZNS0_22gpu_kernel_impl_nocastINS0_11FillFunctorIN3c1014Float8_e8m0fnuEEEEEvRNS_18TensorIteratorBaseERKT_EUlibE_EEviT1_
	.globl	_ZN2at6native32elementwise_kernel_manual_unrollILi128ELi8EZNS0_22gpu_kernel_impl_nocastINS0_11FillFunctorIN3c1014Float8_e8m0fnuEEEEEvRNS_18TensorIteratorBaseERKT_EUlibE_EEviT1_
	.p2align	8
	.type	_ZN2at6native32elementwise_kernel_manual_unrollILi128ELi8EZNS0_22gpu_kernel_impl_nocastINS0_11FillFunctorIN3c1014Float8_e8m0fnuEEEEEvRNS_18TensorIteratorBaseERKT_EUlibE_EEviT1_,@function
_ZN2at6native32elementwise_kernel_manual_unrollILi128ELi8EZNS0_22gpu_kernel_impl_nocastINS0_11FillFunctorIN3c1014Float8_e8m0fnuEEEEEvRNS_18TensorIteratorBaseERKT_EUlibE_EEviT1_: ; @_ZN2at6native32elementwise_kernel_manual_unrollILi128ELi8EZNS0_22gpu_kernel_impl_nocastINS0_11FillFunctorIN3c1014Float8_e8m0fnuEEEEEvRNS_18TensorIteratorBaseERKT_EUlibE_EEviT1_
; %bb.0:
	s_clause 0x1
	s_load_b32 s18, s[0:1], 0x8
	s_load_b32 s24, s[0:1], 0x0
	v_lshl_or_b32 v6, s15, 10, v0
	s_or_b32 s0, s0, 8
	s_mov_b32 s2, exec_lo
	s_delay_alu instid0(VALU_DEP_1) | instskip(SKIP_2) | instid1(SALU_CYCLE_1)
	v_or_b32_e32 v8, 0x380, v6
	s_waitcnt lgkmcnt(0)
	s_add_i32 s19, s18, -1
	s_cmp_gt_u32 s19, 1
	s_cselect_b32 s20, -1, 0
	v_cmpx_le_i32_e64 s24, v8
	s_xor_b32 s21, exec_lo, s2
	s_cbranch_execz .LBB149_7
; %bb.1:
	s_clause 0x4
	s_load_b128 s[4:7], s[0:1], 0x4
	s_load_b64 s[10:11], s[0:1], 0x14
	s_load_b64 s[8:9], s[0:1], 0xc4
	;; [unrolled: 1-line block ×3, first 2 shown]
	s_load_b32 s22, s[0:1], 0x110
	s_cmp_lg_u32 s18, 0
	s_mov_b32 s27, exec_lo
	s_cselect_b32 s26, -1, 0
	s_add_u32 s12, s0, 0xc4
	s_addc_u32 s13, s1, 0
	s_min_u32 s25, s19, 15
	s_cmp_gt_u32 s18, 1
	s_cselect_b32 s23, -1, 0
	v_cmpx_gt_i32_e64 s24, v6
	s_cbranch_execz .LBB149_14
; %bb.2:
	s_and_not1_b32 vcc_lo, exec_lo, s20
	s_cbranch_vccnz .LBB149_21
; %bb.3:
	v_mov_b32_e32 v0, 0
	s_and_not1_b32 vcc_lo, exec_lo, s26
	s_cbranch_vccnz .LBB149_125
; %bb.4:
	s_add_i32 s29, s25, 1
	s_cmp_eq_u32 s19, 2
	s_mov_b32 s28, 0
	s_cbranch_scc1 .LBB149_121
; %bb.5:
	v_dual_mov_b32 v0, 0 :: v_dual_mov_b32 v1, v6
	s_and_b32 s28, s29, 28
	s_mov_b32 s30, 0
	s_mov_b64 s[14:15], s[0:1]
	s_mov_b64 s[16:17], s[12:13]
.LBB149_6:                              ; =>This Inner Loop Header: Depth=1
	s_clause 0x1
	s_load_b256 s[36:43], s[14:15], 0x4
	s_load_b128 s[44:47], s[14:15], 0x24
	s_load_b128 s[48:51], s[16:17], 0x0
	s_add_u32 s14, s14, 48
	s_addc_u32 s15, s15, 0
	s_add_i32 s30, s30, 4
	s_add_u32 s16, s16, 16
	s_addc_u32 s17, s17, 0
	s_cmp_lg_u32 s28, s30
	s_waitcnt lgkmcnt(0)
	v_mul_hi_u32 v2, s37, v1
	s_delay_alu instid0(VALU_DEP_1) | instskip(NEXT) | instid1(VALU_DEP_1)
	v_add_nc_u32_e32 v2, v1, v2
	v_lshrrev_b32_e32 v2, s38, v2
	s_delay_alu instid0(VALU_DEP_1) | instskip(SKIP_1) | instid1(VALU_DEP_2)
	v_mul_hi_u32 v3, s40, v2
	v_mul_lo_u32 v7, v2, s36
	v_add_nc_u32_e32 v3, v2, v3
	s_delay_alu instid0(VALU_DEP_2) | instskip(NEXT) | instid1(VALU_DEP_2)
	v_sub_nc_u32_e32 v7, v1, v7
	v_lshrrev_b32_e32 v3, s41, v3
	s_delay_alu instid0(VALU_DEP_2) | instskip(NEXT) | instid1(VALU_DEP_2)
	v_mul_lo_u32 v7, v7, s48
	v_mul_hi_u32 v4, s43, v3
	v_mul_lo_u32 v8, v3, s39
	s_delay_alu instid0(VALU_DEP_2) | instskip(NEXT) | instid1(VALU_DEP_2)
	v_add_nc_u32_e32 v4, v3, v4
	v_sub_nc_u32_e32 v2, v2, v8
	s_delay_alu instid0(VALU_DEP_2) | instskip(NEXT) | instid1(VALU_DEP_2)
	v_lshrrev_b32_e32 v4, s44, v4
	v_mul_lo_u32 v2, v2, s49
	s_delay_alu instid0(VALU_DEP_2) | instskip(NEXT) | instid1(VALU_DEP_2)
	v_mul_hi_u32 v5, s46, v4
	v_add3_u32 v0, v7, v0, v2
	s_delay_alu instid0(VALU_DEP_2) | instskip(NEXT) | instid1(VALU_DEP_1)
	v_add_nc_u32_e32 v5, v4, v5
	v_lshrrev_b32_e32 v1, s47, v5
	v_mul_lo_u32 v5, v4, s42
	s_delay_alu instid0(VALU_DEP_2) | instskip(NEXT) | instid1(VALU_DEP_2)
	v_mul_lo_u32 v9, v1, s45
	v_sub_nc_u32_e32 v3, v3, v5
	s_delay_alu instid0(VALU_DEP_2) | instskip(NEXT) | instid1(VALU_DEP_2)
	v_sub_nc_u32_e32 v4, v4, v9
	v_mul_lo_u32 v3, v3, s50
	s_delay_alu instid0(VALU_DEP_2) | instskip(NEXT) | instid1(VALU_DEP_1)
	v_mul_lo_u32 v4, v4, s51
	v_add3_u32 v0, v3, v0, v4
	s_cbranch_scc1 .LBB149_6
	s_branch .LBB149_122
.LBB149_7:
	s_and_not1_saveexec_b32 s2, s21
	s_cbranch_execz .LBB149_206
.LBB149_8:
	v_cndmask_b32_e64 v7, 0, 1, s20
	s_and_not1_b32 vcc_lo, exec_lo, s20
	s_cbranch_vccnz .LBB149_20
; %bb.9:
	v_mov_b32_e32 v0, 0
	s_cmp_eq_u32 s18, 0
	s_mov_b32 s6, 0
	s_cbranch_scc1 .LBB149_26
; %bb.10:
	s_min_u32 s7, s19, 15
	v_mov_b32_e32 v0, 0
	s_add_i32 s7, s7, 1
	s_cmp_eq_u32 s19, 2
	s_mov_b32 s8, 0
	s_cbranch_scc1 .LBB149_23
; %bb.11:
	v_dual_mov_b32 v0, 0 :: v_dual_mov_b32 v1, v6
	s_add_u32 s2, s0, 0xc4
	s_addc_u32 s3, s1, 0
	s_and_b32 s8, s7, 28
	s_mov_b32 s9, 0
	s_mov_b64 s[4:5], s[0:1]
.LBB149_12:                             ; =>This Inner Loop Header: Depth=1
	s_clause 0x1
	s_load_b256 s[20:27], s[4:5], 0x4
	s_load_b128 s[12:15], s[4:5], 0x24
	s_load_b128 s[28:31], s[2:3], 0x0
	s_add_u32 s4, s4, 48
	s_addc_u32 s5, s5, 0
	s_add_i32 s9, s9, 4
	s_add_u32 s2, s2, 16
	s_addc_u32 s3, s3, 0
	s_cmp_lg_u32 s8, s9
	s_waitcnt lgkmcnt(0)
	v_mul_hi_u32 v2, s21, v1
	s_delay_alu instid0(VALU_DEP_1) | instskip(NEXT) | instid1(VALU_DEP_1)
	v_add_nc_u32_e32 v2, v1, v2
	v_lshrrev_b32_e32 v2, s22, v2
	s_delay_alu instid0(VALU_DEP_1) | instskip(SKIP_1) | instid1(VALU_DEP_2)
	v_mul_hi_u32 v3, s24, v2
	v_mul_lo_u32 v9, v2, s20
	v_add_nc_u32_e32 v3, v2, v3
	s_delay_alu instid0(VALU_DEP_2) | instskip(NEXT) | instid1(VALU_DEP_2)
	v_sub_nc_u32_e32 v9, v1, v9
	v_lshrrev_b32_e32 v3, s25, v3
	s_delay_alu instid0(VALU_DEP_2) | instskip(NEXT) | instid1(VALU_DEP_2)
	v_mul_lo_u32 v9, v9, s28
	v_mul_hi_u32 v4, s27, v3
	v_mul_lo_u32 v10, v3, s23
	s_delay_alu instid0(VALU_DEP_2) | instskip(NEXT) | instid1(VALU_DEP_2)
	v_add_nc_u32_e32 v4, v3, v4
	v_sub_nc_u32_e32 v2, v2, v10
	s_delay_alu instid0(VALU_DEP_2) | instskip(NEXT) | instid1(VALU_DEP_2)
	v_lshrrev_b32_e32 v4, s12, v4
	v_mul_lo_u32 v2, v2, s29
	s_delay_alu instid0(VALU_DEP_2) | instskip(NEXT) | instid1(VALU_DEP_2)
	v_mul_hi_u32 v5, s14, v4
	v_add3_u32 v0, v9, v0, v2
	s_delay_alu instid0(VALU_DEP_2) | instskip(NEXT) | instid1(VALU_DEP_1)
	v_add_nc_u32_e32 v5, v4, v5
	v_lshrrev_b32_e32 v1, s15, v5
	v_mul_lo_u32 v5, v4, s26
	s_delay_alu instid0(VALU_DEP_2) | instskip(NEXT) | instid1(VALU_DEP_2)
	v_mul_lo_u32 v11, v1, s13
	v_sub_nc_u32_e32 v3, v3, v5
	s_delay_alu instid0(VALU_DEP_2) | instskip(NEXT) | instid1(VALU_DEP_2)
	v_sub_nc_u32_e32 v4, v4, v11
	v_mul_lo_u32 v3, v3, s30
	s_delay_alu instid0(VALU_DEP_2) | instskip(NEXT) | instid1(VALU_DEP_1)
	v_mul_lo_u32 v4, v4, s31
	v_add3_u32 v0, v3, v0, v4
	s_cbranch_scc1 .LBB149_12
; %bb.13:
	s_and_b32 s7, s7, 3
	s_delay_alu instid0(SALU_CYCLE_1)
	s_cmp_eq_u32 s7, 0
	s_cbranch_scc0 .LBB149_24
	s_branch .LBB149_26
.LBB149_14:
	s_or_b32 exec_lo, exec_lo, s27
	s_delay_alu instid0(SALU_CYCLE_1)
	s_mov_b32 s27, exec_lo
	v_cmpx_gt_i32_e64 s24, v6
	s_cbranch_execz .LBB149_129
.LBB149_15:
	s_and_not1_b32 vcc_lo, exec_lo, s20
	s_cbranch_vccnz .LBB149_22
; %bb.16:
	v_mov_b32_e32 v0, 0
	s_and_not1_b32 vcc_lo, exec_lo, s26
	s_cbranch_vccnz .LBB149_140
; %bb.17:
	s_add_i32 s29, s25, 1
	s_cmp_eq_u32 s19, 2
	s_mov_b32 s28, 0
	s_cbranch_scc1 .LBB149_136
; %bb.18:
	v_dual_mov_b32 v0, 0 :: v_dual_mov_b32 v1, v6
	s_and_b32 s28, s29, 28
	s_mov_b32 s30, 0
	s_mov_b64 s[14:15], s[0:1]
	s_mov_b64 s[16:17], s[12:13]
.LBB149_19:                             ; =>This Inner Loop Header: Depth=1
	s_clause 0x1
	s_load_b256 s[36:43], s[14:15], 0x4
	s_load_b128 s[44:47], s[14:15], 0x24
	s_load_b128 s[48:51], s[16:17], 0x0
	s_add_u32 s14, s14, 48
	s_addc_u32 s15, s15, 0
	s_add_i32 s30, s30, 4
	s_add_u32 s16, s16, 16
	s_addc_u32 s17, s17, 0
	s_cmp_eq_u32 s28, s30
	s_waitcnt lgkmcnt(0)
	v_mul_hi_u32 v2, s37, v1
	s_delay_alu instid0(VALU_DEP_1) | instskip(NEXT) | instid1(VALU_DEP_1)
	v_add_nc_u32_e32 v2, v1, v2
	v_lshrrev_b32_e32 v2, s38, v2
	s_delay_alu instid0(VALU_DEP_1) | instskip(SKIP_1) | instid1(VALU_DEP_2)
	v_mul_hi_u32 v3, s40, v2
	v_mul_lo_u32 v7, v2, s36
	v_add_nc_u32_e32 v3, v2, v3
	s_delay_alu instid0(VALU_DEP_2) | instskip(NEXT) | instid1(VALU_DEP_2)
	v_sub_nc_u32_e32 v7, v1, v7
	v_lshrrev_b32_e32 v3, s41, v3
	s_delay_alu instid0(VALU_DEP_2) | instskip(NEXT) | instid1(VALU_DEP_2)
	v_mul_lo_u32 v7, v7, s48
	v_mul_hi_u32 v4, s43, v3
	v_mul_lo_u32 v8, v3, s39
	s_delay_alu instid0(VALU_DEP_2) | instskip(NEXT) | instid1(VALU_DEP_2)
	v_add_nc_u32_e32 v4, v3, v4
	v_sub_nc_u32_e32 v2, v2, v8
	s_delay_alu instid0(VALU_DEP_2) | instskip(NEXT) | instid1(VALU_DEP_2)
	v_lshrrev_b32_e32 v4, s44, v4
	v_mul_lo_u32 v2, v2, s49
	s_delay_alu instid0(VALU_DEP_2) | instskip(NEXT) | instid1(VALU_DEP_2)
	v_mul_hi_u32 v5, s46, v4
	v_add3_u32 v0, v7, v0, v2
	s_delay_alu instid0(VALU_DEP_2) | instskip(NEXT) | instid1(VALU_DEP_1)
	v_add_nc_u32_e32 v5, v4, v5
	v_lshrrev_b32_e32 v1, s47, v5
	v_mul_lo_u32 v5, v4, s42
	s_delay_alu instid0(VALU_DEP_2) | instskip(NEXT) | instid1(VALU_DEP_2)
	v_mul_lo_u32 v9, v1, s45
	v_sub_nc_u32_e32 v3, v3, v5
	s_delay_alu instid0(VALU_DEP_2) | instskip(NEXT) | instid1(VALU_DEP_2)
	v_sub_nc_u32_e32 v4, v4, v9
	v_mul_lo_u32 v3, v3, s50
	s_delay_alu instid0(VALU_DEP_2) | instskip(NEXT) | instid1(VALU_DEP_1)
	v_mul_lo_u32 v4, v4, s51
	v_add3_u32 v0, v3, v0, v4
	s_cbranch_scc0 .LBB149_19
	s_branch .LBB149_137
.LBB149_20:
	s_mov_b32 s6, -1
                                        ; implicit-def: $vgpr0
	s_branch .LBB149_26
.LBB149_21:
                                        ; implicit-def: $vgpr0
	s_branch .LBB149_126
.LBB149_22:
                                        ; implicit-def: $vgpr0
	s_branch .LBB149_141
.LBB149_23:
	v_mov_b32_e32 v1, v6
	s_and_b32 s7, s7, 3
	s_delay_alu instid0(SALU_CYCLE_1)
	s_cmp_eq_u32 s7, 0
	s_cbranch_scc1 .LBB149_26
.LBB149_24:
	s_lshl_b32 s2, s8, 2
	s_mul_i32 s4, s8, 12
	s_add_u32 s2, s2, s0
	s_addc_u32 s3, 0, s1
	s_add_u32 s2, s2, 0xc4
	s_addc_u32 s3, s3, 0
	;; [unrolled: 2-line block ×3, first 2 shown]
	.p2align	6
.LBB149_25:                             ; =>This Inner Loop Header: Depth=1
	s_clause 0x1
	s_load_b64 s[8:9], s[4:5], 0x4
	s_load_b32 s10, s[4:5], 0xc
	s_add_u32 s4, s4, 12
	s_addc_u32 s5, s5, 0
	s_waitcnt lgkmcnt(0)
	v_mul_hi_u32 v2, s9, v1
	s_load_b32 s9, s[2:3], 0x0
	s_add_u32 s2, s2, 4
	s_addc_u32 s3, s3, 0
	s_add_i32 s7, s7, -1
	s_delay_alu instid0(SALU_CYCLE_1) | instskip(NEXT) | instid1(VALU_DEP_1)
	s_cmp_lg_u32 s7, 0
	v_add_nc_u32_e32 v2, v1, v2
	s_delay_alu instid0(VALU_DEP_1) | instskip(NEXT) | instid1(VALU_DEP_1)
	v_lshrrev_b32_e32 v4, s10, v2
	v_mul_lo_u32 v2, v4, s8
	s_delay_alu instid0(VALU_DEP_1) | instskip(SKIP_1) | instid1(VALU_DEP_1)
	v_sub_nc_u32_e32 v1, v1, v2
	s_waitcnt lgkmcnt(0)
	v_mad_u64_u32 v[2:3], null, v1, s9, v[0:1]
	s_delay_alu instid0(VALU_DEP_1)
	v_dual_mov_b32 v1, v4 :: v_dual_mov_b32 v0, v2
	s_cbranch_scc1 .LBB149_25
.LBB149_26:
	s_and_not1_b32 vcc_lo, exec_lo, s6
	s_cbranch_vccnz .LBB149_29
; %bb.27:
	s_clause 0x1
	s_load_b128 s[4:7], s[0:1], 0x4
	s_load_b32 s2, s[0:1], 0xc4
	s_cmp_lt_u32 s18, 2
	s_waitcnt lgkmcnt(0)
	v_mul_hi_u32 v0, s5, v6
	s_delay_alu instid0(VALU_DEP_1) | instskip(NEXT) | instid1(VALU_DEP_1)
	v_add_nc_u32_e32 v0, v6, v0
	v_lshrrev_b32_e32 v1, s6, v0
	s_delay_alu instid0(VALU_DEP_1) | instskip(NEXT) | instid1(VALU_DEP_1)
	v_mul_lo_u32 v0, v1, s4
	v_sub_nc_u32_e32 v0, v6, v0
	s_delay_alu instid0(VALU_DEP_1)
	v_mul_lo_u32 v0, v0, s2
	s_cbranch_scc1 .LBB149_29
; %bb.28:
	s_clause 0x1
	s_load_b128 s[4:7], s[0:1], 0x10
	s_load_b32 s2, s[0:1], 0xc8
	s_waitcnt lgkmcnt(0)
	v_mul_hi_u32 v2, s5, v1
	s_delay_alu instid0(VALU_DEP_1) | instskip(NEXT) | instid1(VALU_DEP_1)
	v_add_nc_u32_e32 v2, v1, v2
	v_lshrrev_b32_e32 v2, s6, v2
	s_delay_alu instid0(VALU_DEP_1) | instskip(NEXT) | instid1(VALU_DEP_1)
	v_mul_lo_u32 v2, v2, s4
	v_sub_nc_u32_e32 v3, v1, v2
	s_delay_alu instid0(VALU_DEP_1) | instskip(NEXT) | instid1(VALU_DEP_1)
	v_mad_u64_u32 v[1:2], null, v3, s2, v[0:1]
	v_mov_b32_e32 v0, v1
.LBB149_29:
	v_cmp_ne_u32_e32 vcc_lo, 1, v7
	v_add_nc_u32_e32 v2, 0x80, v6
	s_cbranch_vccnz .LBB149_35
; %bb.30:
	v_mov_b32_e32 v1, 0
	s_cmp_eq_u32 s18, 0
	s_mov_b32 s6, 0
	s_cbranch_scc1 .LBB149_39
; %bb.31:
	s_min_u32 s7, s19, 15
	v_mov_b32_e32 v1, 0
	s_add_i32 s7, s7, 1
	s_cmp_eq_u32 s19, 2
	s_mov_b32 s8, 0
	s_cbranch_scc1 .LBB149_36
; %bb.32:
	v_mov_b32_e32 v1, 0
	v_mov_b32_e32 v3, v2
	s_add_u32 s2, s0, 0xc4
	s_addc_u32 s3, s1, 0
	s_and_b32 s8, s7, 28
	s_mov_b32 s9, 0
	s_mov_b64 s[4:5], s[0:1]
.LBB149_33:                             ; =>This Inner Loop Header: Depth=1
	s_clause 0x1
	s_load_b256 s[20:27], s[4:5], 0x4
	s_load_b128 s[12:15], s[4:5], 0x24
	s_load_b128 s[28:31], s[2:3], 0x0
	s_add_u32 s4, s4, 48
	s_addc_u32 s5, s5, 0
	s_add_i32 s9, s9, 4
	s_add_u32 s2, s2, 16
	s_addc_u32 s3, s3, 0
	s_cmp_lg_u32 s8, s9
	s_waitcnt lgkmcnt(0)
	v_mul_hi_u32 v4, s21, v3
	s_delay_alu instid0(VALU_DEP_1) | instskip(NEXT) | instid1(VALU_DEP_1)
	v_add_nc_u32_e32 v4, v3, v4
	v_lshrrev_b32_e32 v4, s22, v4
	s_delay_alu instid0(VALU_DEP_1) | instskip(SKIP_1) | instid1(VALU_DEP_2)
	v_mul_hi_u32 v5, s24, v4
	v_mul_lo_u32 v11, v4, s20
	v_add_nc_u32_e32 v5, v4, v5
	s_delay_alu instid0(VALU_DEP_2) | instskip(NEXT) | instid1(VALU_DEP_2)
	v_sub_nc_u32_e32 v11, v3, v11
	v_lshrrev_b32_e32 v5, s25, v5
	s_delay_alu instid0(VALU_DEP_2) | instskip(NEXT) | instid1(VALU_DEP_2)
	v_mul_lo_u32 v11, v11, s28
	v_mul_hi_u32 v9, s27, v5
	v_mul_lo_u32 v12, v5, s23
	s_delay_alu instid0(VALU_DEP_2) | instskip(NEXT) | instid1(VALU_DEP_2)
	v_add_nc_u32_e32 v9, v5, v9
	v_sub_nc_u32_e32 v4, v4, v12
	s_delay_alu instid0(VALU_DEP_2) | instskip(NEXT) | instid1(VALU_DEP_2)
	v_lshrrev_b32_e32 v9, s12, v9
	v_mul_lo_u32 v4, v4, s29
	s_delay_alu instid0(VALU_DEP_2) | instskip(NEXT) | instid1(VALU_DEP_2)
	v_mul_hi_u32 v10, s14, v9
	v_add3_u32 v1, v11, v1, v4
	s_delay_alu instid0(VALU_DEP_2) | instskip(NEXT) | instid1(VALU_DEP_1)
	v_add_nc_u32_e32 v10, v9, v10
	v_lshrrev_b32_e32 v3, s15, v10
	v_mul_lo_u32 v10, v9, s26
	s_delay_alu instid0(VALU_DEP_2) | instskip(NEXT) | instid1(VALU_DEP_2)
	v_mul_lo_u32 v13, v3, s13
	v_sub_nc_u32_e32 v5, v5, v10
	s_delay_alu instid0(VALU_DEP_2) | instskip(NEXT) | instid1(VALU_DEP_2)
	v_sub_nc_u32_e32 v9, v9, v13
	v_mul_lo_u32 v5, v5, s30
	s_delay_alu instid0(VALU_DEP_2) | instskip(NEXT) | instid1(VALU_DEP_1)
	v_mul_lo_u32 v9, v9, s31
	v_add3_u32 v1, v5, v1, v9
	s_cbranch_scc1 .LBB149_33
; %bb.34:
	s_and_b32 s7, s7, 3
	s_delay_alu instid0(SALU_CYCLE_1)
	s_cmp_eq_u32 s7, 0
	s_cbranch_scc0 .LBB149_37
	s_branch .LBB149_39
.LBB149_35:
	s_mov_b32 s6, -1
                                        ; implicit-def: $vgpr1
	s_branch .LBB149_39
.LBB149_36:
	v_mov_b32_e32 v3, v2
	s_and_b32 s7, s7, 3
	s_delay_alu instid0(SALU_CYCLE_1)
	s_cmp_eq_u32 s7, 0
	s_cbranch_scc1 .LBB149_39
.LBB149_37:
	s_lshl_b32 s2, s8, 2
	s_mul_i32 s4, s8, 12
	s_add_u32 s2, s2, s0
	s_addc_u32 s3, 0, s1
	s_add_u32 s2, s2, 0xc4
	s_addc_u32 s3, s3, 0
	;; [unrolled: 2-line block ×3, first 2 shown]
	.p2align	6
.LBB149_38:                             ; =>This Inner Loop Header: Depth=1
	s_clause 0x1
	s_load_b64 s[8:9], s[4:5], 0x4
	s_load_b32 s10, s[4:5], 0xc
	s_add_u32 s4, s4, 12
	s_addc_u32 s5, s5, 0
	s_waitcnt lgkmcnt(0)
	v_mul_hi_u32 v4, s9, v3
	s_load_b32 s9, s[2:3], 0x0
	s_add_u32 s2, s2, 4
	s_addc_u32 s3, s3, 0
	s_add_i32 s7, s7, -1
	s_delay_alu instid0(SALU_CYCLE_1) | instskip(NEXT) | instid1(VALU_DEP_1)
	s_cmp_lg_u32 s7, 0
	v_add_nc_u32_e32 v4, v3, v4
	s_delay_alu instid0(VALU_DEP_1) | instskip(NEXT) | instid1(VALU_DEP_1)
	v_lshrrev_b32_e32 v9, s10, v4
	v_mul_lo_u32 v4, v9, s8
	s_delay_alu instid0(VALU_DEP_1) | instskip(SKIP_1) | instid1(VALU_DEP_1)
	v_sub_nc_u32_e32 v3, v3, v4
	s_waitcnt lgkmcnt(0)
	v_mad_u64_u32 v[4:5], null, v3, s9, v[1:2]
	v_mov_b32_e32 v3, v9
	s_delay_alu instid0(VALU_DEP_2)
	v_mov_b32_e32 v1, v4
	s_cbranch_scc1 .LBB149_38
.LBB149_39:
	s_and_not1_b32 vcc_lo, exec_lo, s6
	s_cbranch_vccnz .LBB149_42
; %bb.40:
	s_clause 0x1
	s_load_b128 s[4:7], s[0:1], 0x4
	s_load_b32 s2, s[0:1], 0xc4
	s_cmp_lt_u32 s18, 2
	s_waitcnt lgkmcnt(0)
	v_mul_hi_u32 v1, s5, v2
	s_delay_alu instid0(VALU_DEP_1) | instskip(NEXT) | instid1(VALU_DEP_1)
	v_add_nc_u32_e32 v1, v2, v1
	v_lshrrev_b32_e32 v3, s6, v1
	s_delay_alu instid0(VALU_DEP_1) | instskip(NEXT) | instid1(VALU_DEP_1)
	v_mul_lo_u32 v1, v3, s4
	v_sub_nc_u32_e32 v1, v2, v1
	s_delay_alu instid0(VALU_DEP_1)
	v_mul_lo_u32 v1, v1, s2
	s_cbranch_scc1 .LBB149_42
; %bb.41:
	s_clause 0x1
	s_load_b128 s[4:7], s[0:1], 0x10
	s_load_b32 s2, s[0:1], 0xc8
	s_waitcnt lgkmcnt(0)
	v_mul_hi_u32 v2, s5, v3
	s_delay_alu instid0(VALU_DEP_1) | instskip(NEXT) | instid1(VALU_DEP_1)
	v_add_nc_u32_e32 v2, v3, v2
	v_lshrrev_b32_e32 v2, s6, v2
	s_delay_alu instid0(VALU_DEP_1) | instskip(NEXT) | instid1(VALU_DEP_1)
	v_mul_lo_u32 v2, v2, s4
	v_sub_nc_u32_e32 v4, v3, v2
	s_delay_alu instid0(VALU_DEP_1) | instskip(NEXT) | instid1(VALU_DEP_1)
	v_mad_u64_u32 v[2:3], null, v4, s2, v[1:2]
	v_mov_b32_e32 v1, v2
.LBB149_42:
	v_cmp_ne_u32_e32 vcc_lo, 1, v7
	v_add_nc_u32_e32 v3, 0x100, v6
	s_cbranch_vccnz .LBB149_48
; %bb.43:
	v_mov_b32_e32 v2, 0
	s_cmp_eq_u32 s18, 0
	s_mov_b32 s6, 0
	s_cbranch_scc1 .LBB149_52
; %bb.44:
	s_min_u32 s7, s19, 15
	v_mov_b32_e32 v2, 0
	s_add_i32 s7, s7, 1
	s_cmp_eq_u32 s19, 2
	s_mov_b32 s8, 0
	s_cbranch_scc1 .LBB149_49
; %bb.45:
	v_mov_b32_e32 v2, 0
	v_mov_b32_e32 v4, v3
	s_add_u32 s2, s0, 0xc4
	s_addc_u32 s3, s1, 0
	s_and_b32 s8, s7, 28
	s_mov_b32 s9, 0
	s_mov_b64 s[4:5], s[0:1]
.LBB149_46:                             ; =>This Inner Loop Header: Depth=1
	s_clause 0x1
	s_load_b256 s[20:27], s[4:5], 0x4
	s_load_b128 s[12:15], s[4:5], 0x24
	s_load_b128 s[28:31], s[2:3], 0x0
	s_add_u32 s4, s4, 48
	s_addc_u32 s5, s5, 0
	s_add_i32 s9, s9, 4
	s_add_u32 s2, s2, 16
	s_addc_u32 s3, s3, 0
	s_cmp_lg_u32 s8, s9
	s_waitcnt lgkmcnt(0)
	v_mul_hi_u32 v5, s21, v4
	s_delay_alu instid0(VALU_DEP_1) | instskip(NEXT) | instid1(VALU_DEP_1)
	v_add_nc_u32_e32 v5, v4, v5
	v_lshrrev_b32_e32 v5, s22, v5
	s_delay_alu instid0(VALU_DEP_1) | instskip(SKIP_1) | instid1(VALU_DEP_2)
	v_mul_hi_u32 v9, s24, v5
	v_mul_lo_u32 v12, v5, s20
	v_add_nc_u32_e32 v9, v5, v9
	s_delay_alu instid0(VALU_DEP_2) | instskip(NEXT) | instid1(VALU_DEP_2)
	v_sub_nc_u32_e32 v12, v4, v12
	v_lshrrev_b32_e32 v9, s25, v9
	s_delay_alu instid0(VALU_DEP_2) | instskip(NEXT) | instid1(VALU_DEP_2)
	v_mul_lo_u32 v12, v12, s28
	v_mul_hi_u32 v10, s27, v9
	v_mul_lo_u32 v13, v9, s23
	s_delay_alu instid0(VALU_DEP_2) | instskip(NEXT) | instid1(VALU_DEP_2)
	v_add_nc_u32_e32 v10, v9, v10
	v_sub_nc_u32_e32 v5, v5, v13
	s_delay_alu instid0(VALU_DEP_2) | instskip(NEXT) | instid1(VALU_DEP_2)
	v_lshrrev_b32_e32 v10, s12, v10
	v_mul_lo_u32 v5, v5, s29
	s_delay_alu instid0(VALU_DEP_2) | instskip(NEXT) | instid1(VALU_DEP_2)
	v_mul_hi_u32 v11, s14, v10
	v_add3_u32 v2, v12, v2, v5
	s_delay_alu instid0(VALU_DEP_2) | instskip(NEXT) | instid1(VALU_DEP_1)
	v_add_nc_u32_e32 v11, v10, v11
	v_lshrrev_b32_e32 v4, s15, v11
	v_mul_lo_u32 v11, v10, s26
	s_delay_alu instid0(VALU_DEP_2) | instskip(NEXT) | instid1(VALU_DEP_2)
	v_mul_lo_u32 v14, v4, s13
	v_sub_nc_u32_e32 v9, v9, v11
	s_delay_alu instid0(VALU_DEP_2) | instskip(NEXT) | instid1(VALU_DEP_2)
	v_sub_nc_u32_e32 v10, v10, v14
	v_mul_lo_u32 v9, v9, s30
	s_delay_alu instid0(VALU_DEP_2) | instskip(NEXT) | instid1(VALU_DEP_1)
	v_mul_lo_u32 v10, v10, s31
	v_add3_u32 v2, v9, v2, v10
	s_cbranch_scc1 .LBB149_46
; %bb.47:
	s_and_b32 s7, s7, 3
	s_delay_alu instid0(SALU_CYCLE_1)
	s_cmp_eq_u32 s7, 0
	s_cbranch_scc0 .LBB149_50
	s_branch .LBB149_52
.LBB149_48:
	s_mov_b32 s6, -1
                                        ; implicit-def: $vgpr2
	s_branch .LBB149_52
.LBB149_49:
	v_mov_b32_e32 v4, v3
	s_and_b32 s7, s7, 3
	s_delay_alu instid0(SALU_CYCLE_1)
	s_cmp_eq_u32 s7, 0
	s_cbranch_scc1 .LBB149_52
.LBB149_50:
	s_lshl_b32 s2, s8, 2
	s_mul_i32 s4, s8, 12
	s_add_u32 s2, s2, s0
	s_addc_u32 s3, 0, s1
	s_add_u32 s2, s2, 0xc4
	s_addc_u32 s3, s3, 0
	;; [unrolled: 2-line block ×3, first 2 shown]
	.p2align	6
.LBB149_51:                             ; =>This Inner Loop Header: Depth=1
	s_clause 0x1
	s_load_b64 s[8:9], s[4:5], 0x4
	s_load_b32 s10, s[4:5], 0xc
	s_add_u32 s4, s4, 12
	s_addc_u32 s5, s5, 0
	s_waitcnt lgkmcnt(0)
	v_mul_hi_u32 v5, s9, v4
	s_load_b32 s9, s[2:3], 0x0
	s_add_u32 s2, s2, 4
	s_addc_u32 s3, s3, 0
	s_add_i32 s7, s7, -1
	s_delay_alu instid0(SALU_CYCLE_1) | instskip(NEXT) | instid1(VALU_DEP_1)
	s_cmp_lg_u32 s7, 0
	v_add_nc_u32_e32 v5, v4, v5
	s_delay_alu instid0(VALU_DEP_1) | instskip(NEXT) | instid1(VALU_DEP_1)
	v_lshrrev_b32_e32 v5, s10, v5
	v_mul_lo_u32 v9, v5, s8
	s_delay_alu instid0(VALU_DEP_1) | instskip(SKIP_1) | instid1(VALU_DEP_1)
	v_sub_nc_u32_e32 v4, v4, v9
	s_waitcnt lgkmcnt(0)
	v_mad_u64_u32 v[9:10], null, v4, s9, v[2:3]
	v_mov_b32_e32 v4, v5
	s_delay_alu instid0(VALU_DEP_2)
	v_mov_b32_e32 v2, v9
	s_cbranch_scc1 .LBB149_51
.LBB149_52:
	s_and_not1_b32 vcc_lo, exec_lo, s6
	s_cbranch_vccnz .LBB149_55
; %bb.53:
	s_clause 0x1
	s_load_b128 s[4:7], s[0:1], 0x4
	s_load_b32 s2, s[0:1], 0xc4
	s_cmp_lt_u32 s18, 2
	s_waitcnt lgkmcnt(0)
	v_mul_hi_u32 v2, s5, v3
	s_delay_alu instid0(VALU_DEP_1) | instskip(NEXT) | instid1(VALU_DEP_1)
	v_add_nc_u32_e32 v2, v3, v2
	v_lshrrev_b32_e32 v4, s6, v2
	s_delay_alu instid0(VALU_DEP_1) | instskip(NEXT) | instid1(VALU_DEP_1)
	v_mul_lo_u32 v2, v4, s4
	v_sub_nc_u32_e32 v2, v3, v2
	s_delay_alu instid0(VALU_DEP_1)
	v_mul_lo_u32 v2, v2, s2
	s_cbranch_scc1 .LBB149_55
; %bb.54:
	s_clause 0x1
	s_load_b128 s[4:7], s[0:1], 0x10
	s_load_b32 s2, s[0:1], 0xc8
	s_waitcnt lgkmcnt(0)
	v_mul_hi_u32 v3, s5, v4
	s_delay_alu instid0(VALU_DEP_1) | instskip(NEXT) | instid1(VALU_DEP_1)
	v_add_nc_u32_e32 v3, v4, v3
	v_lshrrev_b32_e32 v3, s6, v3
	s_delay_alu instid0(VALU_DEP_1) | instskip(NEXT) | instid1(VALU_DEP_1)
	v_mul_lo_u32 v3, v3, s4
	v_sub_nc_u32_e32 v5, v4, v3
	s_delay_alu instid0(VALU_DEP_1) | instskip(NEXT) | instid1(VALU_DEP_1)
	v_mad_u64_u32 v[3:4], null, v5, s2, v[2:3]
	v_mov_b32_e32 v2, v3
.LBB149_55:
	v_cmp_ne_u32_e32 vcc_lo, 1, v7
	v_add_nc_u32_e32 v4, 0x180, v6
	s_cbranch_vccnz .LBB149_61
; %bb.56:
	v_mov_b32_e32 v3, 0
	s_cmp_eq_u32 s18, 0
	s_mov_b32 s6, 0
	s_cbranch_scc1 .LBB149_65
; %bb.57:
	s_min_u32 s7, s19, 15
	v_mov_b32_e32 v3, 0
	s_add_i32 s7, s7, 1
	s_cmp_eq_u32 s19, 2
	s_mov_b32 s8, 0
	s_cbranch_scc1 .LBB149_62
; %bb.58:
	v_mov_b32_e32 v3, 0
	v_mov_b32_e32 v5, v4
	s_add_u32 s2, s0, 0xc4
	s_addc_u32 s3, s1, 0
	s_and_b32 s8, s7, 28
	s_mov_b32 s9, 0
	s_mov_b64 s[4:5], s[0:1]
.LBB149_59:                             ; =>This Inner Loop Header: Depth=1
	s_clause 0x1
	s_load_b256 s[20:27], s[4:5], 0x4
	s_load_b128 s[12:15], s[4:5], 0x24
	s_load_b128 s[28:31], s[2:3], 0x0
	s_add_u32 s4, s4, 48
	s_addc_u32 s5, s5, 0
	s_add_i32 s9, s9, 4
	s_add_u32 s2, s2, 16
	s_addc_u32 s3, s3, 0
	s_cmp_lg_u32 s8, s9
	s_waitcnt lgkmcnt(0)
	v_mul_hi_u32 v9, s21, v5
	s_delay_alu instid0(VALU_DEP_1) | instskip(NEXT) | instid1(VALU_DEP_1)
	v_add_nc_u32_e32 v9, v5, v9
	v_lshrrev_b32_e32 v9, s22, v9
	s_delay_alu instid0(VALU_DEP_1) | instskip(SKIP_1) | instid1(VALU_DEP_2)
	v_mul_hi_u32 v10, s24, v9
	v_mul_lo_u32 v13, v9, s20
	v_add_nc_u32_e32 v10, v9, v10
	s_delay_alu instid0(VALU_DEP_2) | instskip(NEXT) | instid1(VALU_DEP_2)
	v_sub_nc_u32_e32 v13, v5, v13
	v_lshrrev_b32_e32 v10, s25, v10
	s_delay_alu instid0(VALU_DEP_2) | instskip(NEXT) | instid1(VALU_DEP_2)
	v_mul_lo_u32 v13, v13, s28
	v_mul_hi_u32 v11, s27, v10
	v_mul_lo_u32 v14, v10, s23
	s_delay_alu instid0(VALU_DEP_2) | instskip(NEXT) | instid1(VALU_DEP_2)
	v_add_nc_u32_e32 v11, v10, v11
	v_sub_nc_u32_e32 v9, v9, v14
	s_delay_alu instid0(VALU_DEP_2) | instskip(NEXT) | instid1(VALU_DEP_2)
	v_lshrrev_b32_e32 v11, s12, v11
	v_mul_lo_u32 v9, v9, s29
	s_delay_alu instid0(VALU_DEP_2) | instskip(NEXT) | instid1(VALU_DEP_2)
	v_mul_hi_u32 v12, s14, v11
	v_add3_u32 v3, v13, v3, v9
	s_delay_alu instid0(VALU_DEP_2) | instskip(NEXT) | instid1(VALU_DEP_1)
	v_add_nc_u32_e32 v12, v11, v12
	v_lshrrev_b32_e32 v5, s15, v12
	v_mul_lo_u32 v12, v11, s26
	s_delay_alu instid0(VALU_DEP_2) | instskip(NEXT) | instid1(VALU_DEP_2)
	v_mul_lo_u32 v15, v5, s13
	v_sub_nc_u32_e32 v10, v10, v12
	s_delay_alu instid0(VALU_DEP_2) | instskip(NEXT) | instid1(VALU_DEP_2)
	v_sub_nc_u32_e32 v11, v11, v15
	v_mul_lo_u32 v10, v10, s30
	s_delay_alu instid0(VALU_DEP_2) | instskip(NEXT) | instid1(VALU_DEP_1)
	v_mul_lo_u32 v11, v11, s31
	v_add3_u32 v3, v10, v3, v11
	s_cbranch_scc1 .LBB149_59
; %bb.60:
	s_and_b32 s7, s7, 3
	s_delay_alu instid0(SALU_CYCLE_1)
	s_cmp_eq_u32 s7, 0
	s_cbranch_scc0 .LBB149_63
	s_branch .LBB149_65
.LBB149_61:
	s_mov_b32 s6, -1
                                        ; implicit-def: $vgpr3
	s_branch .LBB149_65
.LBB149_62:
	v_mov_b32_e32 v5, v4
	s_and_b32 s7, s7, 3
	s_delay_alu instid0(SALU_CYCLE_1)
	s_cmp_eq_u32 s7, 0
	s_cbranch_scc1 .LBB149_65
.LBB149_63:
	s_lshl_b32 s2, s8, 2
	s_mul_i32 s4, s8, 12
	s_add_u32 s2, s2, s0
	s_addc_u32 s3, 0, s1
	s_add_u32 s2, s2, 0xc4
	s_addc_u32 s3, s3, 0
	;; [unrolled: 2-line block ×3, first 2 shown]
	.p2align	6
.LBB149_64:                             ; =>This Inner Loop Header: Depth=1
	s_clause 0x1
	s_load_b64 s[8:9], s[4:5], 0x4
	s_load_b32 s10, s[4:5], 0xc
	s_add_u32 s4, s4, 12
	s_addc_u32 s5, s5, 0
	s_waitcnt lgkmcnt(0)
	v_mul_hi_u32 v9, s9, v5
	s_load_b32 s9, s[2:3], 0x0
	s_add_u32 s2, s2, 4
	s_addc_u32 s3, s3, 0
	s_add_i32 s7, s7, -1
	s_delay_alu instid0(SALU_CYCLE_1) | instskip(NEXT) | instid1(VALU_DEP_1)
	s_cmp_lg_u32 s7, 0
	v_add_nc_u32_e32 v9, v5, v9
	s_delay_alu instid0(VALU_DEP_1) | instskip(NEXT) | instid1(VALU_DEP_1)
	v_lshrrev_b32_e32 v11, s10, v9
	v_mul_lo_u32 v9, v11, s8
	s_delay_alu instid0(VALU_DEP_1) | instskip(SKIP_1) | instid1(VALU_DEP_1)
	v_sub_nc_u32_e32 v5, v5, v9
	s_waitcnt lgkmcnt(0)
	v_mad_u64_u32 v[9:10], null, v5, s9, v[3:4]
	v_mov_b32_e32 v5, v11
	s_delay_alu instid0(VALU_DEP_2)
	v_mov_b32_e32 v3, v9
	s_cbranch_scc1 .LBB149_64
.LBB149_65:
	s_and_not1_b32 vcc_lo, exec_lo, s6
	s_cbranch_vccnz .LBB149_68
; %bb.66:
	s_clause 0x1
	s_load_b128 s[4:7], s[0:1], 0x4
	s_load_b32 s2, s[0:1], 0xc4
	s_cmp_lt_u32 s18, 2
	s_waitcnt lgkmcnt(0)
	v_mul_hi_u32 v3, s5, v4
	s_delay_alu instid0(VALU_DEP_1) | instskip(NEXT) | instid1(VALU_DEP_1)
	v_add_nc_u32_e32 v3, v4, v3
	v_lshrrev_b32_e32 v5, s6, v3
	s_delay_alu instid0(VALU_DEP_1) | instskip(NEXT) | instid1(VALU_DEP_1)
	v_mul_lo_u32 v3, v5, s4
	v_sub_nc_u32_e32 v3, v4, v3
	s_delay_alu instid0(VALU_DEP_1)
	v_mul_lo_u32 v3, v3, s2
	s_cbranch_scc1 .LBB149_68
; %bb.67:
	s_clause 0x1
	s_load_b128 s[4:7], s[0:1], 0x10
	s_load_b32 s2, s[0:1], 0xc8
	s_waitcnt lgkmcnt(0)
	v_mul_hi_u32 v4, s5, v5
	s_delay_alu instid0(VALU_DEP_1) | instskip(NEXT) | instid1(VALU_DEP_1)
	v_add_nc_u32_e32 v4, v5, v4
	v_lshrrev_b32_e32 v4, s6, v4
	s_delay_alu instid0(VALU_DEP_1) | instskip(NEXT) | instid1(VALU_DEP_1)
	v_mul_lo_u32 v4, v4, s4
	v_sub_nc_u32_e32 v9, v5, v4
	s_delay_alu instid0(VALU_DEP_1) | instskip(NEXT) | instid1(VALU_DEP_1)
	v_mad_u64_u32 v[4:5], null, v9, s2, v[3:4]
	v_mov_b32_e32 v3, v4
.LBB149_68:
	v_cmp_ne_u32_e32 vcc_lo, 1, v7
	v_add_nc_u32_e32 v5, 0x200, v6
	s_cbranch_vccnz .LBB149_74
; %bb.69:
	v_mov_b32_e32 v4, 0
	s_cmp_eq_u32 s18, 0
	s_mov_b32 s6, 0
	s_cbranch_scc1 .LBB149_78
; %bb.70:
	s_min_u32 s7, s19, 15
	v_mov_b32_e32 v4, 0
	s_add_i32 s7, s7, 1
	s_cmp_eq_u32 s19, 2
	s_mov_b32 s8, 0
	s_cbranch_scc1 .LBB149_75
; %bb.71:
	v_dual_mov_b32 v4, 0 :: v_dual_mov_b32 v9, v5
	s_add_u32 s2, s0, 0xc4
	s_addc_u32 s3, s1, 0
	s_and_b32 s8, s7, 28
	s_mov_b32 s9, 0
	s_mov_b64 s[4:5], s[0:1]
.LBB149_72:                             ; =>This Inner Loop Header: Depth=1
	s_clause 0x1
	s_load_b256 s[20:27], s[4:5], 0x4
	s_load_b128 s[12:15], s[4:5], 0x24
	s_load_b128 s[28:31], s[2:3], 0x0
	s_add_u32 s4, s4, 48
	s_addc_u32 s5, s5, 0
	s_add_i32 s9, s9, 4
	s_add_u32 s2, s2, 16
	s_addc_u32 s3, s3, 0
	s_cmp_lg_u32 s8, s9
	s_waitcnt lgkmcnt(0)
	v_mul_hi_u32 v10, s21, v9
	s_delay_alu instid0(VALU_DEP_1) | instskip(NEXT) | instid1(VALU_DEP_1)
	v_add_nc_u32_e32 v10, v9, v10
	v_lshrrev_b32_e32 v10, s22, v10
	s_delay_alu instid0(VALU_DEP_1) | instskip(SKIP_1) | instid1(VALU_DEP_2)
	v_mul_hi_u32 v11, s24, v10
	v_mul_lo_u32 v14, v10, s20
	v_add_nc_u32_e32 v11, v10, v11
	s_delay_alu instid0(VALU_DEP_2) | instskip(NEXT) | instid1(VALU_DEP_2)
	v_sub_nc_u32_e32 v14, v9, v14
	v_lshrrev_b32_e32 v11, s25, v11
	s_delay_alu instid0(VALU_DEP_2) | instskip(NEXT) | instid1(VALU_DEP_2)
	v_mul_lo_u32 v14, v14, s28
	v_mul_hi_u32 v12, s27, v11
	v_mul_lo_u32 v15, v11, s23
	s_delay_alu instid0(VALU_DEP_2) | instskip(NEXT) | instid1(VALU_DEP_2)
	v_add_nc_u32_e32 v12, v11, v12
	v_sub_nc_u32_e32 v10, v10, v15
	s_delay_alu instid0(VALU_DEP_2) | instskip(NEXT) | instid1(VALU_DEP_2)
	v_lshrrev_b32_e32 v12, s12, v12
	v_mul_lo_u32 v10, v10, s29
	s_delay_alu instid0(VALU_DEP_2) | instskip(NEXT) | instid1(VALU_DEP_2)
	v_mul_hi_u32 v13, s14, v12
	v_add3_u32 v4, v14, v4, v10
	s_delay_alu instid0(VALU_DEP_2) | instskip(NEXT) | instid1(VALU_DEP_1)
	v_add_nc_u32_e32 v13, v12, v13
	v_lshrrev_b32_e32 v9, s15, v13
	v_mul_lo_u32 v13, v12, s26
	s_delay_alu instid0(VALU_DEP_2) | instskip(NEXT) | instid1(VALU_DEP_2)
	v_mul_lo_u32 v16, v9, s13
	v_sub_nc_u32_e32 v11, v11, v13
	s_delay_alu instid0(VALU_DEP_2) | instskip(NEXT) | instid1(VALU_DEP_2)
	v_sub_nc_u32_e32 v12, v12, v16
	v_mul_lo_u32 v11, v11, s30
	s_delay_alu instid0(VALU_DEP_2) | instskip(NEXT) | instid1(VALU_DEP_1)
	v_mul_lo_u32 v12, v12, s31
	v_add3_u32 v4, v11, v4, v12
	s_cbranch_scc1 .LBB149_72
; %bb.73:
	s_and_b32 s7, s7, 3
	s_delay_alu instid0(SALU_CYCLE_1)
	s_cmp_eq_u32 s7, 0
	s_cbranch_scc0 .LBB149_76
	s_branch .LBB149_78
.LBB149_74:
	s_mov_b32 s6, -1
                                        ; implicit-def: $vgpr4
	s_branch .LBB149_78
.LBB149_75:
	v_mov_b32_e32 v9, v5
	s_and_b32 s7, s7, 3
	s_delay_alu instid0(SALU_CYCLE_1)
	s_cmp_eq_u32 s7, 0
	s_cbranch_scc1 .LBB149_78
.LBB149_76:
	s_lshl_b32 s2, s8, 2
	s_mul_i32 s4, s8, 12
	s_add_u32 s2, s2, s0
	s_addc_u32 s3, 0, s1
	s_add_u32 s2, s2, 0xc4
	s_addc_u32 s3, s3, 0
	;; [unrolled: 2-line block ×3, first 2 shown]
	.p2align	6
.LBB149_77:                             ; =>This Inner Loop Header: Depth=1
	s_clause 0x1
	s_load_b64 s[8:9], s[4:5], 0x4
	s_load_b32 s10, s[4:5], 0xc
	s_add_u32 s4, s4, 12
	s_addc_u32 s5, s5, 0
	s_waitcnt lgkmcnt(0)
	v_mul_hi_u32 v10, s9, v9
	s_load_b32 s9, s[2:3], 0x0
	s_add_u32 s2, s2, 4
	s_addc_u32 s3, s3, 0
	s_add_i32 s7, s7, -1
	s_delay_alu instid0(SALU_CYCLE_1) | instskip(NEXT) | instid1(VALU_DEP_1)
	s_cmp_lg_u32 s7, 0
	v_add_nc_u32_e32 v10, v9, v10
	s_delay_alu instid0(VALU_DEP_1) | instskip(NEXT) | instid1(VALU_DEP_1)
	v_lshrrev_b32_e32 v12, s10, v10
	v_mul_lo_u32 v10, v12, s8
	s_delay_alu instid0(VALU_DEP_1) | instskip(SKIP_1) | instid1(VALU_DEP_1)
	v_sub_nc_u32_e32 v9, v9, v10
	s_waitcnt lgkmcnt(0)
	v_mad_u64_u32 v[10:11], null, v9, s9, v[4:5]
	s_delay_alu instid0(VALU_DEP_1)
	v_dual_mov_b32 v9, v12 :: v_dual_mov_b32 v4, v10
	s_cbranch_scc1 .LBB149_77
.LBB149_78:
	s_and_not1_b32 vcc_lo, exec_lo, s6
	s_cbranch_vccnz .LBB149_81
; %bb.79:
	s_clause 0x1
	s_load_b128 s[4:7], s[0:1], 0x4
	s_load_b32 s2, s[0:1], 0xc4
	s_cmp_lt_u32 s18, 2
	s_waitcnt lgkmcnt(0)
	v_mul_hi_u32 v4, s5, v5
	s_delay_alu instid0(VALU_DEP_1) | instskip(NEXT) | instid1(VALU_DEP_1)
	v_add_nc_u32_e32 v4, v5, v4
	v_lshrrev_b32_e32 v9, s6, v4
	s_delay_alu instid0(VALU_DEP_1) | instskip(NEXT) | instid1(VALU_DEP_1)
	v_mul_lo_u32 v4, v9, s4
	v_sub_nc_u32_e32 v4, v5, v4
	s_delay_alu instid0(VALU_DEP_1)
	v_mul_lo_u32 v4, v4, s2
	s_cbranch_scc1 .LBB149_81
; %bb.80:
	s_clause 0x1
	s_load_b128 s[4:7], s[0:1], 0x10
	s_load_b32 s2, s[0:1], 0xc8
	s_waitcnt lgkmcnt(0)
	v_mul_hi_u32 v5, s5, v9
	s_delay_alu instid0(VALU_DEP_1) | instskip(NEXT) | instid1(VALU_DEP_1)
	v_add_nc_u32_e32 v5, v9, v5
	v_lshrrev_b32_e32 v5, s6, v5
	s_delay_alu instid0(VALU_DEP_1) | instskip(NEXT) | instid1(VALU_DEP_1)
	v_mul_lo_u32 v5, v5, s4
	v_sub_nc_u32_e32 v5, v9, v5
	s_delay_alu instid0(VALU_DEP_1) | instskip(NEXT) | instid1(VALU_DEP_1)
	v_mad_u64_u32 v[9:10], null, v5, s2, v[4:5]
	v_mov_b32_e32 v4, v9
.LBB149_81:
	v_cmp_ne_u32_e32 vcc_lo, 1, v7
	v_add_nc_u32_e32 v9, 0x280, v6
	s_cbranch_vccnz .LBB149_87
; %bb.82:
	v_mov_b32_e32 v5, 0
	s_cmp_eq_u32 s18, 0
	s_mov_b32 s6, 0
	s_cbranch_scc1 .LBB149_91
; %bb.83:
	s_min_u32 s7, s19, 15
	v_mov_b32_e32 v5, 0
	s_add_i32 s7, s7, 1
	s_cmp_eq_u32 s19, 2
	s_mov_b32 s8, 0
	s_cbranch_scc1 .LBB149_88
; %bb.84:
	v_dual_mov_b32 v5, 0 :: v_dual_mov_b32 v10, v9
	s_add_u32 s2, s0, 0xc4
	s_addc_u32 s3, s1, 0
	s_and_b32 s8, s7, 28
	s_mov_b32 s9, 0
	s_mov_b64 s[4:5], s[0:1]
.LBB149_85:                             ; =>This Inner Loop Header: Depth=1
	s_clause 0x1
	s_load_b256 s[20:27], s[4:5], 0x4
	s_load_b128 s[12:15], s[4:5], 0x24
	s_load_b128 s[28:31], s[2:3], 0x0
	s_add_u32 s4, s4, 48
	s_addc_u32 s5, s5, 0
	s_add_i32 s9, s9, 4
	s_add_u32 s2, s2, 16
	s_addc_u32 s3, s3, 0
	s_cmp_lg_u32 s8, s9
	s_waitcnt lgkmcnt(0)
	v_mul_hi_u32 v11, s21, v10
	s_delay_alu instid0(VALU_DEP_1) | instskip(NEXT) | instid1(VALU_DEP_1)
	v_add_nc_u32_e32 v11, v10, v11
	v_lshrrev_b32_e32 v11, s22, v11
	s_delay_alu instid0(VALU_DEP_1) | instskip(SKIP_1) | instid1(VALU_DEP_2)
	v_mul_hi_u32 v12, s24, v11
	v_mul_lo_u32 v15, v11, s20
	v_add_nc_u32_e32 v12, v11, v12
	s_delay_alu instid0(VALU_DEP_2) | instskip(NEXT) | instid1(VALU_DEP_2)
	v_sub_nc_u32_e32 v15, v10, v15
	v_lshrrev_b32_e32 v12, s25, v12
	s_delay_alu instid0(VALU_DEP_2) | instskip(NEXT) | instid1(VALU_DEP_2)
	v_mul_lo_u32 v15, v15, s28
	v_mul_hi_u32 v13, s27, v12
	v_mul_lo_u32 v16, v12, s23
	s_delay_alu instid0(VALU_DEP_2) | instskip(NEXT) | instid1(VALU_DEP_2)
	v_add_nc_u32_e32 v13, v12, v13
	v_sub_nc_u32_e32 v11, v11, v16
	s_delay_alu instid0(VALU_DEP_2) | instskip(NEXT) | instid1(VALU_DEP_2)
	v_lshrrev_b32_e32 v13, s12, v13
	v_mul_lo_u32 v11, v11, s29
	s_delay_alu instid0(VALU_DEP_2) | instskip(NEXT) | instid1(VALU_DEP_2)
	v_mul_hi_u32 v14, s14, v13
	v_add3_u32 v5, v15, v5, v11
	s_delay_alu instid0(VALU_DEP_2) | instskip(NEXT) | instid1(VALU_DEP_1)
	v_add_nc_u32_e32 v14, v13, v14
	v_lshrrev_b32_e32 v10, s15, v14
	v_mul_lo_u32 v14, v13, s26
	s_delay_alu instid0(VALU_DEP_2) | instskip(NEXT) | instid1(VALU_DEP_2)
	v_mul_lo_u32 v17, v10, s13
	v_sub_nc_u32_e32 v12, v12, v14
	s_delay_alu instid0(VALU_DEP_2) | instskip(NEXT) | instid1(VALU_DEP_2)
	v_sub_nc_u32_e32 v13, v13, v17
	v_mul_lo_u32 v12, v12, s30
	s_delay_alu instid0(VALU_DEP_2) | instskip(NEXT) | instid1(VALU_DEP_1)
	v_mul_lo_u32 v13, v13, s31
	v_add3_u32 v5, v12, v5, v13
	s_cbranch_scc1 .LBB149_85
; %bb.86:
	s_and_b32 s7, s7, 3
	s_delay_alu instid0(SALU_CYCLE_1)
	s_cmp_eq_u32 s7, 0
	s_cbranch_scc0 .LBB149_89
	s_branch .LBB149_91
.LBB149_87:
	s_mov_b32 s6, -1
                                        ; implicit-def: $vgpr5
	s_branch .LBB149_91
.LBB149_88:
	v_mov_b32_e32 v10, v9
	s_and_b32 s7, s7, 3
	s_delay_alu instid0(SALU_CYCLE_1)
	s_cmp_eq_u32 s7, 0
	s_cbranch_scc1 .LBB149_91
.LBB149_89:
	s_lshl_b32 s2, s8, 2
	s_mul_i32 s4, s8, 12
	s_add_u32 s2, s2, s0
	s_addc_u32 s3, 0, s1
	s_add_u32 s2, s2, 0xc4
	s_addc_u32 s3, s3, 0
	;; [unrolled: 2-line block ×3, first 2 shown]
	.p2align	6
.LBB149_90:                             ; =>This Inner Loop Header: Depth=1
	s_clause 0x1
	s_load_b64 s[8:9], s[4:5], 0x4
	s_load_b32 s10, s[4:5], 0xc
	s_add_u32 s4, s4, 12
	s_addc_u32 s5, s5, 0
	s_waitcnt lgkmcnt(0)
	v_mul_hi_u32 v11, s9, v10
	s_load_b32 s9, s[2:3], 0x0
	s_add_u32 s2, s2, 4
	s_addc_u32 s3, s3, 0
	s_add_i32 s7, s7, -1
	s_delay_alu instid0(SALU_CYCLE_1) | instskip(NEXT) | instid1(VALU_DEP_1)
	s_cmp_lg_u32 s7, 0
	v_add_nc_u32_e32 v11, v10, v11
	s_delay_alu instid0(VALU_DEP_1) | instskip(NEXT) | instid1(VALU_DEP_1)
	v_lshrrev_b32_e32 v13, s10, v11
	v_mul_lo_u32 v11, v13, s8
	s_delay_alu instid0(VALU_DEP_1) | instskip(SKIP_1) | instid1(VALU_DEP_1)
	v_sub_nc_u32_e32 v10, v10, v11
	s_waitcnt lgkmcnt(0)
	v_mad_u64_u32 v[11:12], null, v10, s9, v[5:6]
	s_delay_alu instid0(VALU_DEP_1)
	v_dual_mov_b32 v10, v13 :: v_dual_mov_b32 v5, v11
	s_cbranch_scc1 .LBB149_90
.LBB149_91:
	s_and_not1_b32 vcc_lo, exec_lo, s6
	s_cbranch_vccnz .LBB149_94
; %bb.92:
	s_clause 0x1
	s_load_b128 s[4:7], s[0:1], 0x4
	s_load_b32 s2, s[0:1], 0xc4
	s_cmp_lt_u32 s18, 2
	s_waitcnt lgkmcnt(0)
	v_mul_hi_u32 v5, s5, v9
	s_delay_alu instid0(VALU_DEP_1) | instskip(NEXT) | instid1(VALU_DEP_1)
	v_add_nc_u32_e32 v5, v9, v5
	v_lshrrev_b32_e32 v10, s6, v5
	s_delay_alu instid0(VALU_DEP_1) | instskip(NEXT) | instid1(VALU_DEP_1)
	v_mul_lo_u32 v5, v10, s4
	v_sub_nc_u32_e32 v5, v9, v5
	s_delay_alu instid0(VALU_DEP_1)
	v_mul_lo_u32 v5, v5, s2
	s_cbranch_scc1 .LBB149_94
; %bb.93:
	s_clause 0x1
	s_load_b128 s[4:7], s[0:1], 0x10
	s_load_b32 s2, s[0:1], 0xc8
	s_waitcnt lgkmcnt(0)
	v_mul_hi_u32 v9, s5, v10
	s_delay_alu instid0(VALU_DEP_1) | instskip(NEXT) | instid1(VALU_DEP_1)
	v_add_nc_u32_e32 v9, v10, v9
	v_lshrrev_b32_e32 v9, s6, v9
	s_delay_alu instid0(VALU_DEP_1) | instskip(NEXT) | instid1(VALU_DEP_1)
	v_mul_lo_u32 v9, v9, s4
	v_sub_nc_u32_e32 v11, v10, v9
	s_delay_alu instid0(VALU_DEP_1) | instskip(NEXT) | instid1(VALU_DEP_1)
	v_mad_u64_u32 v[9:10], null, v11, s2, v[5:6]
	v_mov_b32_e32 v5, v9
.LBB149_94:
	v_cmp_ne_u32_e32 vcc_lo, 1, v7
	v_add_nc_u32_e32 v9, 0x300, v6
	s_cbranch_vccnz .LBB149_100
; %bb.95:
	v_mov_b32_e32 v6, 0
	s_cmp_eq_u32 s18, 0
	s_mov_b32 s6, 0
	s_cbranch_scc1 .LBB149_104
; %bb.96:
	s_min_u32 s7, s19, 15
	v_mov_b32_e32 v6, 0
	s_add_i32 s7, s7, 1
	s_cmp_eq_u32 s19, 2
	s_mov_b32 s8, 0
	s_cbranch_scc1 .LBB149_101
; %bb.97:
	v_mov_b32_e32 v6, 0
	v_mov_b32_e32 v10, v9
	s_add_u32 s2, s0, 0xc4
	s_addc_u32 s3, s1, 0
	s_and_b32 s8, s7, 28
	s_mov_b32 s9, 0
	s_mov_b64 s[4:5], s[0:1]
.LBB149_98:                             ; =>This Inner Loop Header: Depth=1
	s_clause 0x1
	s_load_b256 s[20:27], s[4:5], 0x4
	s_load_b128 s[12:15], s[4:5], 0x24
	s_load_b128 s[28:31], s[2:3], 0x0
	s_add_u32 s4, s4, 48
	s_addc_u32 s5, s5, 0
	s_add_i32 s9, s9, 4
	s_add_u32 s2, s2, 16
	s_addc_u32 s3, s3, 0
	s_cmp_lg_u32 s8, s9
	s_waitcnt lgkmcnt(0)
	v_mul_hi_u32 v11, s21, v10
	s_delay_alu instid0(VALU_DEP_1) | instskip(NEXT) | instid1(VALU_DEP_1)
	v_add_nc_u32_e32 v11, v10, v11
	v_lshrrev_b32_e32 v11, s22, v11
	s_delay_alu instid0(VALU_DEP_1) | instskip(SKIP_1) | instid1(VALU_DEP_2)
	v_mul_hi_u32 v12, s24, v11
	v_mul_lo_u32 v15, v11, s20
	v_add_nc_u32_e32 v12, v11, v12
	s_delay_alu instid0(VALU_DEP_2) | instskip(NEXT) | instid1(VALU_DEP_2)
	v_sub_nc_u32_e32 v15, v10, v15
	v_lshrrev_b32_e32 v12, s25, v12
	s_delay_alu instid0(VALU_DEP_2) | instskip(NEXT) | instid1(VALU_DEP_2)
	v_mul_lo_u32 v15, v15, s28
	v_mul_hi_u32 v13, s27, v12
	v_mul_lo_u32 v16, v12, s23
	s_delay_alu instid0(VALU_DEP_2) | instskip(NEXT) | instid1(VALU_DEP_2)
	v_add_nc_u32_e32 v13, v12, v13
	v_sub_nc_u32_e32 v11, v11, v16
	s_delay_alu instid0(VALU_DEP_2) | instskip(NEXT) | instid1(VALU_DEP_2)
	v_lshrrev_b32_e32 v13, s12, v13
	v_mul_lo_u32 v11, v11, s29
	s_delay_alu instid0(VALU_DEP_2) | instskip(NEXT) | instid1(VALU_DEP_2)
	v_mul_hi_u32 v14, s14, v13
	v_add3_u32 v6, v15, v6, v11
	s_delay_alu instid0(VALU_DEP_2) | instskip(NEXT) | instid1(VALU_DEP_1)
	v_add_nc_u32_e32 v14, v13, v14
	v_lshrrev_b32_e32 v10, s15, v14
	v_mul_lo_u32 v14, v13, s26
	s_delay_alu instid0(VALU_DEP_2) | instskip(NEXT) | instid1(VALU_DEP_2)
	v_mul_lo_u32 v17, v10, s13
	v_sub_nc_u32_e32 v12, v12, v14
	s_delay_alu instid0(VALU_DEP_2) | instskip(NEXT) | instid1(VALU_DEP_2)
	v_sub_nc_u32_e32 v13, v13, v17
	v_mul_lo_u32 v12, v12, s30
	s_delay_alu instid0(VALU_DEP_2) | instskip(NEXT) | instid1(VALU_DEP_1)
	v_mul_lo_u32 v13, v13, s31
	v_add3_u32 v6, v12, v6, v13
	s_cbranch_scc1 .LBB149_98
; %bb.99:
	s_and_b32 s7, s7, 3
	s_delay_alu instid0(SALU_CYCLE_1)
	s_cmp_eq_u32 s7, 0
	s_cbranch_scc0 .LBB149_102
	s_branch .LBB149_104
.LBB149_100:
	s_mov_b32 s6, -1
                                        ; implicit-def: $vgpr6
	s_branch .LBB149_104
.LBB149_101:
	v_mov_b32_e32 v10, v9
	s_and_b32 s7, s7, 3
	s_delay_alu instid0(SALU_CYCLE_1)
	s_cmp_eq_u32 s7, 0
	s_cbranch_scc1 .LBB149_104
.LBB149_102:
	s_lshl_b32 s2, s8, 2
	s_mul_i32 s4, s8, 12
	s_add_u32 s2, s2, s0
	s_addc_u32 s3, 0, s1
	s_add_u32 s2, s2, 0xc4
	s_addc_u32 s3, s3, 0
	;; [unrolled: 2-line block ×3, first 2 shown]
	.p2align	6
.LBB149_103:                            ; =>This Inner Loop Header: Depth=1
	s_clause 0x1
	s_load_b64 s[8:9], s[4:5], 0x4
	s_load_b32 s10, s[4:5], 0xc
	s_add_u32 s4, s4, 12
	s_addc_u32 s5, s5, 0
	s_waitcnt lgkmcnt(0)
	v_mul_hi_u32 v11, s9, v10
	s_load_b32 s9, s[2:3], 0x0
	s_add_u32 s2, s2, 4
	s_addc_u32 s3, s3, 0
	s_add_i32 s7, s7, -1
	s_delay_alu instid0(SALU_CYCLE_1) | instskip(NEXT) | instid1(VALU_DEP_1)
	s_cmp_lg_u32 s7, 0
	v_add_nc_u32_e32 v11, v10, v11
	s_delay_alu instid0(VALU_DEP_1) | instskip(NEXT) | instid1(VALU_DEP_1)
	v_lshrrev_b32_e32 v13, s10, v11
	v_mul_lo_u32 v11, v13, s8
	s_delay_alu instid0(VALU_DEP_1) | instskip(SKIP_1) | instid1(VALU_DEP_1)
	v_sub_nc_u32_e32 v10, v10, v11
	s_waitcnt lgkmcnt(0)
	v_mad_u64_u32 v[11:12], null, v10, s9, v[6:7]
	v_mov_b32_e32 v10, v13
	s_delay_alu instid0(VALU_DEP_2)
	v_mov_b32_e32 v6, v11
	s_cbranch_scc1 .LBB149_103
.LBB149_104:
	s_and_not1_b32 vcc_lo, exec_lo, s6
	s_cbranch_vccnz .LBB149_107
; %bb.105:
	s_clause 0x1
	s_load_b128 s[4:7], s[0:1], 0x4
	s_load_b32 s2, s[0:1], 0xc4
	s_cmp_lt_u32 s18, 2
	s_waitcnt lgkmcnt(0)
	v_mul_hi_u32 v6, s5, v9
	s_delay_alu instid0(VALU_DEP_1) | instskip(NEXT) | instid1(VALU_DEP_1)
	v_add_nc_u32_e32 v6, v9, v6
	v_lshrrev_b32_e32 v10, s6, v6
	s_delay_alu instid0(VALU_DEP_1) | instskip(NEXT) | instid1(VALU_DEP_1)
	v_mul_lo_u32 v6, v10, s4
	v_sub_nc_u32_e32 v6, v9, v6
	s_delay_alu instid0(VALU_DEP_1)
	v_mul_lo_u32 v6, v6, s2
	s_cbranch_scc1 .LBB149_107
; %bb.106:
	s_clause 0x1
	s_load_b128 s[4:7], s[0:1], 0x10
	s_load_b32 s2, s[0:1], 0xc8
	s_waitcnt lgkmcnt(0)
	v_mul_hi_u32 v9, s5, v10
	s_delay_alu instid0(VALU_DEP_1) | instskip(NEXT) | instid1(VALU_DEP_1)
	v_add_nc_u32_e32 v9, v10, v9
	v_lshrrev_b32_e32 v9, s6, v9
	s_delay_alu instid0(VALU_DEP_1) | instskip(NEXT) | instid1(VALU_DEP_1)
	v_mul_lo_u32 v9, v9, s4
	v_sub_nc_u32_e32 v11, v10, v9
	s_delay_alu instid0(VALU_DEP_1) | instskip(NEXT) | instid1(VALU_DEP_1)
	v_mad_u64_u32 v[9:10], null, v11, s2, v[6:7]
	v_mov_b32_e32 v6, v9
.LBB149_107:
	v_cmp_ne_u32_e32 vcc_lo, 1, v7
	s_cbranch_vccnz .LBB149_113
; %bb.108:
	v_mov_b32_e32 v7, 0
	s_cmp_eq_u32 s18, 0
	s_mov_b32 s6, 0
	s_cbranch_scc1 .LBB149_117
; %bb.109:
	s_min_u32 s7, s19, 15
	v_mov_b32_e32 v7, 0
	s_add_i32 s7, s7, 1
	s_cmp_eq_u32 s19, 2
	s_mov_b32 s8, 0
	s_cbranch_scc1 .LBB149_114
; %bb.110:
	v_mov_b32_e32 v7, 0
	v_mov_b32_e32 v9, v8
	s_add_u32 s2, s0, 0xc4
	s_addc_u32 s3, s1, 0
	s_and_b32 s8, s7, 28
	s_mov_b32 s9, 0
	s_mov_b64 s[4:5], s[0:1]
.LBB149_111:                            ; =>This Inner Loop Header: Depth=1
	s_clause 0x1
	s_load_b256 s[20:27], s[4:5], 0x4
	s_load_b128 s[12:15], s[4:5], 0x24
	s_load_b128 s[28:31], s[2:3], 0x0
	s_add_u32 s4, s4, 48
	s_addc_u32 s5, s5, 0
	s_add_i32 s9, s9, 4
	s_add_u32 s2, s2, 16
	s_addc_u32 s3, s3, 0
	s_cmp_lg_u32 s8, s9
	s_waitcnt lgkmcnt(0)
	v_mul_hi_u32 v10, s21, v9
	s_delay_alu instid0(VALU_DEP_1) | instskip(NEXT) | instid1(VALU_DEP_1)
	v_add_nc_u32_e32 v10, v9, v10
	v_lshrrev_b32_e32 v10, s22, v10
	s_delay_alu instid0(VALU_DEP_1) | instskip(SKIP_1) | instid1(VALU_DEP_2)
	v_mul_hi_u32 v11, s24, v10
	v_mul_lo_u32 v14, v10, s20
	v_add_nc_u32_e32 v11, v10, v11
	s_delay_alu instid0(VALU_DEP_2) | instskip(NEXT) | instid1(VALU_DEP_2)
	v_sub_nc_u32_e32 v14, v9, v14
	v_lshrrev_b32_e32 v11, s25, v11
	s_delay_alu instid0(VALU_DEP_2) | instskip(NEXT) | instid1(VALU_DEP_2)
	v_mul_lo_u32 v14, v14, s28
	v_mul_hi_u32 v12, s27, v11
	v_mul_lo_u32 v15, v11, s23
	s_delay_alu instid0(VALU_DEP_2) | instskip(NEXT) | instid1(VALU_DEP_2)
	v_add_nc_u32_e32 v12, v11, v12
	v_sub_nc_u32_e32 v10, v10, v15
	s_delay_alu instid0(VALU_DEP_2) | instskip(NEXT) | instid1(VALU_DEP_2)
	v_lshrrev_b32_e32 v12, s12, v12
	v_mul_lo_u32 v10, v10, s29
	s_delay_alu instid0(VALU_DEP_2) | instskip(NEXT) | instid1(VALU_DEP_2)
	v_mul_hi_u32 v13, s14, v12
	v_add3_u32 v7, v14, v7, v10
	s_delay_alu instid0(VALU_DEP_2) | instskip(NEXT) | instid1(VALU_DEP_1)
	v_add_nc_u32_e32 v13, v12, v13
	v_lshrrev_b32_e32 v9, s15, v13
	v_mul_lo_u32 v13, v12, s26
	s_delay_alu instid0(VALU_DEP_2) | instskip(NEXT) | instid1(VALU_DEP_2)
	v_mul_lo_u32 v16, v9, s13
	v_sub_nc_u32_e32 v11, v11, v13
	s_delay_alu instid0(VALU_DEP_2) | instskip(NEXT) | instid1(VALU_DEP_2)
	v_sub_nc_u32_e32 v12, v12, v16
	v_mul_lo_u32 v11, v11, s30
	s_delay_alu instid0(VALU_DEP_2) | instskip(NEXT) | instid1(VALU_DEP_1)
	v_mul_lo_u32 v12, v12, s31
	v_add3_u32 v7, v11, v7, v12
	s_cbranch_scc1 .LBB149_111
; %bb.112:
	s_and_b32 s7, s7, 3
	s_delay_alu instid0(SALU_CYCLE_1)
	s_cmp_eq_u32 s7, 0
	s_cbranch_scc0 .LBB149_115
	s_branch .LBB149_117
.LBB149_113:
	s_mov_b32 s6, -1
                                        ; implicit-def: $vgpr7
	s_branch .LBB149_117
.LBB149_114:
	v_mov_b32_e32 v9, v8
	s_and_b32 s7, s7, 3
	s_delay_alu instid0(SALU_CYCLE_1)
	s_cmp_eq_u32 s7, 0
	s_cbranch_scc1 .LBB149_117
.LBB149_115:
	s_lshl_b32 s2, s8, 2
	s_mul_i32 s4, s8, 12
	s_add_u32 s2, s2, s0
	s_addc_u32 s3, 0, s1
	s_add_u32 s2, s2, 0xc4
	s_addc_u32 s3, s3, 0
	;; [unrolled: 2-line block ×3, first 2 shown]
	.p2align	6
.LBB149_116:                            ; =>This Inner Loop Header: Depth=1
	s_clause 0x1
	s_load_b64 s[8:9], s[4:5], 0x4
	s_load_b32 s10, s[4:5], 0xc
	s_add_u32 s4, s4, 12
	s_addc_u32 s5, s5, 0
	s_waitcnt lgkmcnt(0)
	v_mul_hi_u32 v10, s9, v9
	s_load_b32 s9, s[2:3], 0x0
	s_add_u32 s2, s2, 4
	s_addc_u32 s3, s3, 0
	s_add_i32 s7, s7, -1
	s_delay_alu instid0(SALU_CYCLE_1) | instskip(NEXT) | instid1(VALU_DEP_1)
	s_cmp_lg_u32 s7, 0
	v_add_nc_u32_e32 v10, v9, v10
	s_delay_alu instid0(VALU_DEP_1) | instskip(NEXT) | instid1(VALU_DEP_1)
	v_lshrrev_b32_e32 v12, s10, v10
	v_mul_lo_u32 v10, v12, s8
	s_delay_alu instid0(VALU_DEP_1) | instskip(SKIP_1) | instid1(VALU_DEP_1)
	v_sub_nc_u32_e32 v9, v9, v10
	s_waitcnt lgkmcnt(0)
	v_mad_u64_u32 v[10:11], null, v9, s9, v[7:8]
	v_mov_b32_e32 v9, v12
	s_delay_alu instid0(VALU_DEP_2)
	v_mov_b32_e32 v7, v10
	s_cbranch_scc1 .LBB149_116
.LBB149_117:
	s_and_not1_b32 vcc_lo, exec_lo, s6
	s_cbranch_vccnz .LBB149_120
; %bb.118:
	s_clause 0x1
	s_load_b128 s[4:7], s[0:1], 0x4
	s_load_b32 s2, s[0:1], 0xc4
	s_cmp_lt_u32 s18, 2
	s_waitcnt lgkmcnt(0)
	v_mul_hi_u32 v7, s5, v8
	s_delay_alu instid0(VALU_DEP_1) | instskip(NEXT) | instid1(VALU_DEP_1)
	v_add_nc_u32_e32 v7, v8, v7
	v_lshrrev_b32_e32 v9, s6, v7
	s_delay_alu instid0(VALU_DEP_1) | instskip(NEXT) | instid1(VALU_DEP_1)
	v_mul_lo_u32 v7, v9, s4
	v_sub_nc_u32_e32 v7, v8, v7
	s_delay_alu instid0(VALU_DEP_1)
	v_mul_lo_u32 v7, v7, s2
	s_cbranch_scc1 .LBB149_120
; %bb.119:
	s_clause 0x1
	s_load_b128 s[4:7], s[0:1], 0x10
	s_load_b32 s2, s[0:1], 0xc8
	s_waitcnt lgkmcnt(0)
	v_mul_hi_u32 v8, s5, v9
	s_delay_alu instid0(VALU_DEP_1) | instskip(NEXT) | instid1(VALU_DEP_1)
	v_add_nc_u32_e32 v8, v9, v8
	v_lshrrev_b32_e32 v8, s6, v8
	s_delay_alu instid0(VALU_DEP_1) | instskip(NEXT) | instid1(VALU_DEP_1)
	v_mul_lo_u32 v8, v8, s4
	v_sub_nc_u32_e32 v10, v9, v8
	s_delay_alu instid0(VALU_DEP_1) | instskip(NEXT) | instid1(VALU_DEP_1)
	v_mad_u64_u32 v[8:9], null, v10, s2, v[7:8]
	v_mov_b32_e32 v7, v8
.LBB149_120:
	s_clause 0x1
	s_load_b32 s2, s[0:1], 0x110
	s_load_b64 s[0:1], s[0:1], 0x108
	s_waitcnt lgkmcnt(0)
	v_mov_b32_e32 v8, s2
	s_clause 0x7
	global_store_b8 v0, v8, s[0:1]
	global_store_b8 v1, v8, s[0:1]
	;; [unrolled: 1-line block ×8, first 2 shown]
	s_nop 0
	s_sendmsg sendmsg(MSG_DEALLOC_VGPRS)
	s_endpgm
.LBB149_121:
	v_mov_b32_e32 v1, v6
.LBB149_122:
	s_and_b32 s29, s29, 3
	s_delay_alu instid0(SALU_CYCLE_1)
	s_cmp_eq_u32 s29, 0
	s_cbranch_scc1 .LBB149_125
; %bb.123:
	s_lshl_b32 s14, s28, 2
	s_mul_i32 s16, s28, 12
	s_add_u32 s14, s14, s0
	s_addc_u32 s15, s1, 0
	s_add_u32 s14, s14, 0xc4
	s_addc_u32 s15, s15, 0
	s_add_u32 s16, s0, s16
	s_addc_u32 s17, s1, 0
	.p2align	6
.LBB149_124:                            ; =>This Inner Loop Header: Depth=1
	s_clause 0x1
	s_load_b64 s[30:31], s[16:17], 0x4
	s_load_b32 s28, s[16:17], 0xc
	s_add_u32 s16, s16, 12
	s_addc_u32 s17, s17, 0
	s_waitcnt lgkmcnt(0)
	v_mul_hi_u32 v2, s31, v1
	s_load_b32 s31, s[14:15], 0x0
	s_add_u32 s14, s14, 4
	s_addc_u32 s15, s15, 0
	s_add_i32 s29, s29, -1
	s_delay_alu instid0(SALU_CYCLE_1) | instskip(NEXT) | instid1(VALU_DEP_1)
	s_cmp_lg_u32 s29, 0
	v_add_nc_u32_e32 v2, v1, v2
	s_delay_alu instid0(VALU_DEP_1) | instskip(NEXT) | instid1(VALU_DEP_1)
	v_lshrrev_b32_e32 v4, s28, v2
	v_mul_lo_u32 v2, v4, s30
	s_delay_alu instid0(VALU_DEP_1) | instskip(SKIP_1) | instid1(VALU_DEP_1)
	v_sub_nc_u32_e32 v1, v1, v2
	s_waitcnt lgkmcnt(0)
	v_mad_u64_u32 v[2:3], null, v1, s31, v[0:1]
	s_delay_alu instid0(VALU_DEP_1)
	v_dual_mov_b32 v1, v4 :: v_dual_mov_b32 v0, v2
	s_cbranch_scc1 .LBB149_124
.LBB149_125:
	s_cbranch_execnz .LBB149_128
.LBB149_126:
	s_waitcnt lgkmcnt(0)
	v_mul_hi_u32 v0, s5, v6
	s_and_not1_b32 vcc_lo, exec_lo, s23
	s_delay_alu instid0(VALU_DEP_1) | instskip(NEXT) | instid1(VALU_DEP_1)
	v_add_nc_u32_e32 v0, v6, v0
	v_lshrrev_b32_e32 v1, s6, v0
	s_delay_alu instid0(VALU_DEP_1) | instskip(NEXT) | instid1(VALU_DEP_1)
	v_mul_lo_u32 v0, v1, s4
	v_sub_nc_u32_e32 v0, v6, v0
	s_delay_alu instid0(VALU_DEP_1)
	v_mul_lo_u32 v0, v0, s8
	s_cbranch_vccnz .LBB149_128
; %bb.127:
	v_mul_hi_u32 v2, s10, v1
	s_delay_alu instid0(VALU_DEP_1) | instskip(NEXT) | instid1(VALU_DEP_1)
	v_add_nc_u32_e32 v2, v1, v2
	v_lshrrev_b32_e32 v2, s11, v2
	s_delay_alu instid0(VALU_DEP_1) | instskip(NEXT) | instid1(VALU_DEP_1)
	v_mul_lo_u32 v2, v2, s7
	v_sub_nc_u32_e32 v3, v1, v2
	s_delay_alu instid0(VALU_DEP_1) | instskip(NEXT) | instid1(VALU_DEP_1)
	v_mad_u64_u32 v[1:2], null, v3, s9, v[0:1]
	v_mov_b32_e32 v0, v1
.LBB149_128:
	s_waitcnt lgkmcnt(0)
	v_dual_mov_b32 v1, s22 :: v_dual_add_nc_u32 v6, 0x80, v6
	global_store_b8 v0, v1, s[2:3]
	s_or_b32 exec_lo, exec_lo, s27
	s_delay_alu instid0(SALU_CYCLE_1)
	s_mov_b32 s27, exec_lo
	v_cmpx_gt_i32_e64 s24, v6
	s_cbranch_execnz .LBB149_15
.LBB149_129:
	s_or_b32 exec_lo, exec_lo, s27
	s_delay_alu instid0(SALU_CYCLE_1)
	s_mov_b32 s27, exec_lo
	v_cmpx_gt_i32_e64 s24, v6
	s_cbranch_execz .LBB149_144
.LBB149_130:
	s_and_not1_b32 vcc_lo, exec_lo, s20
	s_cbranch_vccnz .LBB149_135
; %bb.131:
	v_mov_b32_e32 v0, 0
	s_and_not1_b32 vcc_lo, exec_lo, s26
	s_cbranch_vccnz .LBB149_155
; %bb.132:
	s_add_i32 s29, s25, 1
	s_cmp_eq_u32 s19, 2
	s_mov_b32 s28, 0
	s_cbranch_scc1 .LBB149_151
; %bb.133:
	v_dual_mov_b32 v0, 0 :: v_dual_mov_b32 v1, v6
	s_and_b32 s28, s29, 28
	s_mov_b32 s30, 0
	s_mov_b64 s[14:15], s[0:1]
	s_mov_b64 s[16:17], s[12:13]
.LBB149_134:                            ; =>This Inner Loop Header: Depth=1
	s_clause 0x1
	s_load_b256 s[36:43], s[14:15], 0x4
	s_load_b128 s[44:47], s[14:15], 0x24
	s_load_b128 s[48:51], s[16:17], 0x0
	s_add_u32 s14, s14, 48
	s_addc_u32 s15, s15, 0
	s_add_i32 s30, s30, 4
	s_add_u32 s16, s16, 16
	s_addc_u32 s17, s17, 0
	s_cmp_eq_u32 s28, s30
	s_waitcnt lgkmcnt(0)
	v_mul_hi_u32 v2, s37, v1
	s_delay_alu instid0(VALU_DEP_1) | instskip(NEXT) | instid1(VALU_DEP_1)
	v_add_nc_u32_e32 v2, v1, v2
	v_lshrrev_b32_e32 v2, s38, v2
	s_delay_alu instid0(VALU_DEP_1) | instskip(SKIP_1) | instid1(VALU_DEP_2)
	v_mul_hi_u32 v3, s40, v2
	v_mul_lo_u32 v7, v2, s36
	v_add_nc_u32_e32 v3, v2, v3
	s_delay_alu instid0(VALU_DEP_2) | instskip(NEXT) | instid1(VALU_DEP_2)
	v_sub_nc_u32_e32 v7, v1, v7
	v_lshrrev_b32_e32 v3, s41, v3
	s_delay_alu instid0(VALU_DEP_2) | instskip(NEXT) | instid1(VALU_DEP_2)
	v_mul_lo_u32 v7, v7, s48
	v_mul_hi_u32 v4, s43, v3
	v_mul_lo_u32 v8, v3, s39
	s_delay_alu instid0(VALU_DEP_2) | instskip(NEXT) | instid1(VALU_DEP_2)
	v_add_nc_u32_e32 v4, v3, v4
	v_sub_nc_u32_e32 v2, v2, v8
	s_delay_alu instid0(VALU_DEP_2) | instskip(NEXT) | instid1(VALU_DEP_2)
	v_lshrrev_b32_e32 v4, s44, v4
	v_mul_lo_u32 v2, v2, s49
	s_delay_alu instid0(VALU_DEP_2) | instskip(NEXT) | instid1(VALU_DEP_2)
	v_mul_hi_u32 v5, s46, v4
	v_add3_u32 v0, v7, v0, v2
	s_delay_alu instid0(VALU_DEP_2) | instskip(NEXT) | instid1(VALU_DEP_1)
	v_add_nc_u32_e32 v5, v4, v5
	v_lshrrev_b32_e32 v1, s47, v5
	v_mul_lo_u32 v5, v4, s42
	s_delay_alu instid0(VALU_DEP_2) | instskip(NEXT) | instid1(VALU_DEP_2)
	v_mul_lo_u32 v9, v1, s45
	v_sub_nc_u32_e32 v3, v3, v5
	s_delay_alu instid0(VALU_DEP_2) | instskip(NEXT) | instid1(VALU_DEP_2)
	v_sub_nc_u32_e32 v4, v4, v9
	v_mul_lo_u32 v3, v3, s50
	s_delay_alu instid0(VALU_DEP_2) | instskip(NEXT) | instid1(VALU_DEP_1)
	v_mul_lo_u32 v4, v4, s51
	v_add3_u32 v0, v3, v0, v4
	s_cbranch_scc0 .LBB149_134
	s_branch .LBB149_152
.LBB149_135:
                                        ; implicit-def: $vgpr0
	s_branch .LBB149_156
.LBB149_136:
	v_mov_b32_e32 v1, v6
.LBB149_137:
	s_and_b32 s29, s29, 3
	s_delay_alu instid0(SALU_CYCLE_1)
	s_cmp_eq_u32 s29, 0
	s_cbranch_scc1 .LBB149_140
; %bb.138:
	s_lshl_b32 s14, s28, 2
	s_mul_i32 s16, s28, 12
	s_add_u32 s14, s14, s0
	s_addc_u32 s15, s1, 0
	s_add_u32 s14, s14, 0xc4
	s_addc_u32 s15, s15, 0
	;; [unrolled: 2-line block ×3, first 2 shown]
	.p2align	6
.LBB149_139:                            ; =>This Inner Loop Header: Depth=1
	s_clause 0x1
	s_load_b64 s[30:31], s[16:17], 0x4
	s_load_b32 s28, s[16:17], 0xc
	s_add_u32 s16, s16, 12
	s_addc_u32 s17, s17, 0
	s_waitcnt lgkmcnt(0)
	v_mul_hi_u32 v2, s31, v1
	s_load_b32 s31, s[14:15], 0x0
	s_add_u32 s14, s14, 4
	s_addc_u32 s15, s15, 0
	s_add_i32 s29, s29, -1
	s_delay_alu instid0(SALU_CYCLE_1) | instskip(NEXT) | instid1(VALU_DEP_1)
	s_cmp_lg_u32 s29, 0
	v_add_nc_u32_e32 v2, v1, v2
	s_delay_alu instid0(VALU_DEP_1) | instskip(NEXT) | instid1(VALU_DEP_1)
	v_lshrrev_b32_e32 v4, s28, v2
	v_mul_lo_u32 v2, v4, s30
	s_delay_alu instid0(VALU_DEP_1) | instskip(SKIP_1) | instid1(VALU_DEP_1)
	v_sub_nc_u32_e32 v1, v1, v2
	s_waitcnt lgkmcnt(0)
	v_mad_u64_u32 v[2:3], null, v1, s31, v[0:1]
	s_delay_alu instid0(VALU_DEP_1)
	v_dual_mov_b32 v1, v4 :: v_dual_mov_b32 v0, v2
	s_cbranch_scc1 .LBB149_139
.LBB149_140:
	s_cbranch_execnz .LBB149_143
.LBB149_141:
	s_waitcnt lgkmcnt(0)
	v_mul_hi_u32 v0, s5, v6
	s_and_not1_b32 vcc_lo, exec_lo, s23
	s_delay_alu instid0(VALU_DEP_1) | instskip(NEXT) | instid1(VALU_DEP_1)
	v_add_nc_u32_e32 v0, v6, v0
	v_lshrrev_b32_e32 v1, s6, v0
	s_delay_alu instid0(VALU_DEP_1) | instskip(NEXT) | instid1(VALU_DEP_1)
	v_mul_lo_u32 v0, v1, s4
	v_sub_nc_u32_e32 v0, v6, v0
	s_delay_alu instid0(VALU_DEP_1)
	v_mul_lo_u32 v0, v0, s8
	s_cbranch_vccnz .LBB149_143
; %bb.142:
	v_mul_hi_u32 v2, s10, v1
	s_delay_alu instid0(VALU_DEP_1) | instskip(NEXT) | instid1(VALU_DEP_1)
	v_add_nc_u32_e32 v2, v1, v2
	v_lshrrev_b32_e32 v2, s11, v2
	s_delay_alu instid0(VALU_DEP_1) | instskip(NEXT) | instid1(VALU_DEP_1)
	v_mul_lo_u32 v2, v2, s7
	v_sub_nc_u32_e32 v3, v1, v2
	s_delay_alu instid0(VALU_DEP_1) | instskip(NEXT) | instid1(VALU_DEP_1)
	v_mad_u64_u32 v[1:2], null, v3, s9, v[0:1]
	v_mov_b32_e32 v0, v1
.LBB149_143:
	s_waitcnt lgkmcnt(0)
	v_dual_mov_b32 v1, s22 :: v_dual_add_nc_u32 v6, 0x80, v6
	global_store_b8 v0, v1, s[2:3]
	s_or_b32 exec_lo, exec_lo, s27
	s_delay_alu instid0(SALU_CYCLE_1)
	s_mov_b32 s27, exec_lo
	v_cmpx_gt_i32_e64 s24, v6
	s_cbranch_execnz .LBB149_130
.LBB149_144:
	s_or_b32 exec_lo, exec_lo, s27
	s_delay_alu instid0(SALU_CYCLE_1)
	s_mov_b32 s27, exec_lo
	v_cmpx_gt_i32_e64 s24, v6
	s_cbranch_execz .LBB149_159
.LBB149_145:
	s_and_not1_b32 vcc_lo, exec_lo, s20
	s_cbranch_vccnz .LBB149_150
; %bb.146:
	v_mov_b32_e32 v0, 0
	s_and_not1_b32 vcc_lo, exec_lo, s26
	s_cbranch_vccnz .LBB149_170
; %bb.147:
	s_add_i32 s29, s25, 1
	s_cmp_eq_u32 s19, 2
	s_mov_b32 s28, 0
	s_cbranch_scc1 .LBB149_166
; %bb.148:
	v_dual_mov_b32 v0, 0 :: v_dual_mov_b32 v1, v6
	s_and_b32 s28, s29, 28
	s_mov_b32 s30, 0
	s_mov_b64 s[14:15], s[0:1]
	s_mov_b64 s[16:17], s[12:13]
.LBB149_149:                            ; =>This Inner Loop Header: Depth=1
	s_clause 0x1
	s_load_b256 s[36:43], s[14:15], 0x4
	s_load_b128 s[44:47], s[14:15], 0x24
	s_load_b128 s[48:51], s[16:17], 0x0
	s_add_u32 s14, s14, 48
	s_addc_u32 s15, s15, 0
	s_add_i32 s30, s30, 4
	s_add_u32 s16, s16, 16
	s_addc_u32 s17, s17, 0
	s_cmp_eq_u32 s28, s30
	s_waitcnt lgkmcnt(0)
	v_mul_hi_u32 v2, s37, v1
	s_delay_alu instid0(VALU_DEP_1) | instskip(NEXT) | instid1(VALU_DEP_1)
	v_add_nc_u32_e32 v2, v1, v2
	v_lshrrev_b32_e32 v2, s38, v2
	s_delay_alu instid0(VALU_DEP_1) | instskip(SKIP_1) | instid1(VALU_DEP_2)
	v_mul_hi_u32 v3, s40, v2
	v_mul_lo_u32 v7, v2, s36
	v_add_nc_u32_e32 v3, v2, v3
	s_delay_alu instid0(VALU_DEP_2) | instskip(NEXT) | instid1(VALU_DEP_2)
	v_sub_nc_u32_e32 v7, v1, v7
	v_lshrrev_b32_e32 v3, s41, v3
	s_delay_alu instid0(VALU_DEP_2) | instskip(NEXT) | instid1(VALU_DEP_2)
	v_mul_lo_u32 v7, v7, s48
	v_mul_hi_u32 v4, s43, v3
	v_mul_lo_u32 v8, v3, s39
	s_delay_alu instid0(VALU_DEP_2) | instskip(NEXT) | instid1(VALU_DEP_2)
	v_add_nc_u32_e32 v4, v3, v4
	v_sub_nc_u32_e32 v2, v2, v8
	s_delay_alu instid0(VALU_DEP_2) | instskip(NEXT) | instid1(VALU_DEP_2)
	v_lshrrev_b32_e32 v4, s44, v4
	v_mul_lo_u32 v2, v2, s49
	s_delay_alu instid0(VALU_DEP_2) | instskip(NEXT) | instid1(VALU_DEP_2)
	v_mul_hi_u32 v5, s46, v4
	v_add3_u32 v0, v7, v0, v2
	s_delay_alu instid0(VALU_DEP_2) | instskip(NEXT) | instid1(VALU_DEP_1)
	v_add_nc_u32_e32 v5, v4, v5
	v_lshrrev_b32_e32 v1, s47, v5
	v_mul_lo_u32 v5, v4, s42
	s_delay_alu instid0(VALU_DEP_2) | instskip(NEXT) | instid1(VALU_DEP_2)
	v_mul_lo_u32 v9, v1, s45
	v_sub_nc_u32_e32 v3, v3, v5
	s_delay_alu instid0(VALU_DEP_2) | instskip(NEXT) | instid1(VALU_DEP_2)
	v_sub_nc_u32_e32 v4, v4, v9
	v_mul_lo_u32 v3, v3, s50
	s_delay_alu instid0(VALU_DEP_2) | instskip(NEXT) | instid1(VALU_DEP_1)
	v_mul_lo_u32 v4, v4, s51
	v_add3_u32 v0, v3, v0, v4
	s_cbranch_scc0 .LBB149_149
	s_branch .LBB149_167
.LBB149_150:
                                        ; implicit-def: $vgpr0
	s_branch .LBB149_171
.LBB149_151:
	v_mov_b32_e32 v1, v6
.LBB149_152:
	s_and_b32 s29, s29, 3
	s_delay_alu instid0(SALU_CYCLE_1)
	s_cmp_eq_u32 s29, 0
	s_cbranch_scc1 .LBB149_155
; %bb.153:
	s_lshl_b32 s14, s28, 2
	s_mul_i32 s16, s28, 12
	s_add_u32 s14, s14, s0
	s_addc_u32 s15, s1, 0
	s_add_u32 s14, s14, 0xc4
	s_addc_u32 s15, s15, 0
	;; [unrolled: 2-line block ×3, first 2 shown]
	.p2align	6
.LBB149_154:                            ; =>This Inner Loop Header: Depth=1
	s_clause 0x1
	s_load_b64 s[30:31], s[16:17], 0x4
	s_load_b32 s28, s[16:17], 0xc
	s_add_u32 s16, s16, 12
	s_addc_u32 s17, s17, 0
	s_waitcnt lgkmcnt(0)
	v_mul_hi_u32 v2, s31, v1
	s_load_b32 s31, s[14:15], 0x0
	s_add_u32 s14, s14, 4
	s_addc_u32 s15, s15, 0
	s_add_i32 s29, s29, -1
	s_delay_alu instid0(SALU_CYCLE_1) | instskip(NEXT) | instid1(VALU_DEP_1)
	s_cmp_lg_u32 s29, 0
	v_add_nc_u32_e32 v2, v1, v2
	s_delay_alu instid0(VALU_DEP_1) | instskip(NEXT) | instid1(VALU_DEP_1)
	v_lshrrev_b32_e32 v4, s28, v2
	v_mul_lo_u32 v2, v4, s30
	s_delay_alu instid0(VALU_DEP_1) | instskip(SKIP_1) | instid1(VALU_DEP_1)
	v_sub_nc_u32_e32 v1, v1, v2
	s_waitcnt lgkmcnt(0)
	v_mad_u64_u32 v[2:3], null, v1, s31, v[0:1]
	s_delay_alu instid0(VALU_DEP_1)
	v_dual_mov_b32 v1, v4 :: v_dual_mov_b32 v0, v2
	s_cbranch_scc1 .LBB149_154
.LBB149_155:
	s_cbranch_execnz .LBB149_158
.LBB149_156:
	s_waitcnt lgkmcnt(0)
	v_mul_hi_u32 v0, s5, v6
	s_and_not1_b32 vcc_lo, exec_lo, s23
	s_delay_alu instid0(VALU_DEP_1) | instskip(NEXT) | instid1(VALU_DEP_1)
	v_add_nc_u32_e32 v0, v6, v0
	v_lshrrev_b32_e32 v1, s6, v0
	s_delay_alu instid0(VALU_DEP_1) | instskip(NEXT) | instid1(VALU_DEP_1)
	v_mul_lo_u32 v0, v1, s4
	v_sub_nc_u32_e32 v0, v6, v0
	s_delay_alu instid0(VALU_DEP_1)
	v_mul_lo_u32 v0, v0, s8
	s_cbranch_vccnz .LBB149_158
; %bb.157:
	v_mul_hi_u32 v2, s10, v1
	s_delay_alu instid0(VALU_DEP_1) | instskip(NEXT) | instid1(VALU_DEP_1)
	v_add_nc_u32_e32 v2, v1, v2
	v_lshrrev_b32_e32 v2, s11, v2
	s_delay_alu instid0(VALU_DEP_1) | instskip(NEXT) | instid1(VALU_DEP_1)
	v_mul_lo_u32 v2, v2, s7
	v_sub_nc_u32_e32 v3, v1, v2
	s_delay_alu instid0(VALU_DEP_1) | instskip(NEXT) | instid1(VALU_DEP_1)
	v_mad_u64_u32 v[1:2], null, v3, s9, v[0:1]
	v_mov_b32_e32 v0, v1
.LBB149_158:
	s_waitcnt lgkmcnt(0)
	v_dual_mov_b32 v1, s22 :: v_dual_add_nc_u32 v6, 0x80, v6
	global_store_b8 v0, v1, s[2:3]
	s_or_b32 exec_lo, exec_lo, s27
	s_delay_alu instid0(SALU_CYCLE_1)
	s_mov_b32 s27, exec_lo
	v_cmpx_gt_i32_e64 s24, v6
	s_cbranch_execnz .LBB149_145
.LBB149_159:
	s_or_b32 exec_lo, exec_lo, s27
	s_delay_alu instid0(SALU_CYCLE_1)
	s_mov_b32 s27, exec_lo
	v_cmpx_gt_i32_e64 s24, v6
	s_cbranch_execz .LBB149_174
.LBB149_160:
	s_and_not1_b32 vcc_lo, exec_lo, s20
	s_cbranch_vccnz .LBB149_165
; %bb.161:
	v_mov_b32_e32 v0, 0
	s_and_not1_b32 vcc_lo, exec_lo, s26
	s_cbranch_vccnz .LBB149_185
; %bb.162:
	s_add_i32 s29, s25, 1
	s_cmp_eq_u32 s19, 2
	s_mov_b32 s28, 0
	s_cbranch_scc1 .LBB149_181
; %bb.163:
	v_dual_mov_b32 v0, 0 :: v_dual_mov_b32 v1, v6
	s_and_b32 s28, s29, 28
	s_mov_b32 s30, 0
	s_mov_b64 s[14:15], s[0:1]
	s_mov_b64 s[16:17], s[12:13]
.LBB149_164:                            ; =>This Inner Loop Header: Depth=1
	s_clause 0x1
	s_load_b256 s[36:43], s[14:15], 0x4
	s_load_b128 s[44:47], s[14:15], 0x24
	s_load_b128 s[48:51], s[16:17], 0x0
	s_add_u32 s14, s14, 48
	s_addc_u32 s15, s15, 0
	s_add_i32 s30, s30, 4
	s_add_u32 s16, s16, 16
	s_addc_u32 s17, s17, 0
	s_cmp_eq_u32 s28, s30
	s_waitcnt lgkmcnt(0)
	v_mul_hi_u32 v2, s37, v1
	s_delay_alu instid0(VALU_DEP_1) | instskip(NEXT) | instid1(VALU_DEP_1)
	v_add_nc_u32_e32 v2, v1, v2
	v_lshrrev_b32_e32 v2, s38, v2
	s_delay_alu instid0(VALU_DEP_1) | instskip(SKIP_1) | instid1(VALU_DEP_2)
	v_mul_hi_u32 v3, s40, v2
	v_mul_lo_u32 v7, v2, s36
	v_add_nc_u32_e32 v3, v2, v3
	s_delay_alu instid0(VALU_DEP_2) | instskip(NEXT) | instid1(VALU_DEP_2)
	v_sub_nc_u32_e32 v7, v1, v7
	v_lshrrev_b32_e32 v3, s41, v3
	s_delay_alu instid0(VALU_DEP_2) | instskip(NEXT) | instid1(VALU_DEP_2)
	v_mul_lo_u32 v7, v7, s48
	v_mul_hi_u32 v4, s43, v3
	v_mul_lo_u32 v8, v3, s39
	s_delay_alu instid0(VALU_DEP_2) | instskip(NEXT) | instid1(VALU_DEP_2)
	v_add_nc_u32_e32 v4, v3, v4
	v_sub_nc_u32_e32 v2, v2, v8
	s_delay_alu instid0(VALU_DEP_2) | instskip(NEXT) | instid1(VALU_DEP_2)
	v_lshrrev_b32_e32 v4, s44, v4
	v_mul_lo_u32 v2, v2, s49
	s_delay_alu instid0(VALU_DEP_2) | instskip(NEXT) | instid1(VALU_DEP_2)
	v_mul_hi_u32 v5, s46, v4
	v_add3_u32 v0, v7, v0, v2
	s_delay_alu instid0(VALU_DEP_2) | instskip(NEXT) | instid1(VALU_DEP_1)
	v_add_nc_u32_e32 v5, v4, v5
	v_lshrrev_b32_e32 v1, s47, v5
	v_mul_lo_u32 v5, v4, s42
	s_delay_alu instid0(VALU_DEP_2) | instskip(NEXT) | instid1(VALU_DEP_2)
	v_mul_lo_u32 v9, v1, s45
	v_sub_nc_u32_e32 v3, v3, v5
	s_delay_alu instid0(VALU_DEP_2) | instskip(NEXT) | instid1(VALU_DEP_2)
	v_sub_nc_u32_e32 v4, v4, v9
	v_mul_lo_u32 v3, v3, s50
	s_delay_alu instid0(VALU_DEP_2) | instskip(NEXT) | instid1(VALU_DEP_1)
	v_mul_lo_u32 v4, v4, s51
	v_add3_u32 v0, v3, v0, v4
	s_cbranch_scc0 .LBB149_164
	s_branch .LBB149_182
.LBB149_165:
                                        ; implicit-def: $vgpr0
	s_branch .LBB149_186
.LBB149_166:
	v_mov_b32_e32 v1, v6
.LBB149_167:
	s_and_b32 s29, s29, 3
	s_delay_alu instid0(SALU_CYCLE_1)
	s_cmp_eq_u32 s29, 0
	s_cbranch_scc1 .LBB149_170
; %bb.168:
	s_lshl_b32 s14, s28, 2
	s_mul_i32 s16, s28, 12
	s_add_u32 s14, s14, s0
	s_addc_u32 s15, s1, 0
	s_add_u32 s14, s14, 0xc4
	s_addc_u32 s15, s15, 0
	;; [unrolled: 2-line block ×3, first 2 shown]
	.p2align	6
.LBB149_169:                            ; =>This Inner Loop Header: Depth=1
	s_clause 0x1
	s_load_b64 s[30:31], s[16:17], 0x4
	s_load_b32 s28, s[16:17], 0xc
	s_add_u32 s16, s16, 12
	s_addc_u32 s17, s17, 0
	s_waitcnt lgkmcnt(0)
	v_mul_hi_u32 v2, s31, v1
	s_load_b32 s31, s[14:15], 0x0
	s_add_u32 s14, s14, 4
	s_addc_u32 s15, s15, 0
	s_add_i32 s29, s29, -1
	s_delay_alu instid0(SALU_CYCLE_1) | instskip(NEXT) | instid1(VALU_DEP_1)
	s_cmp_lg_u32 s29, 0
	v_add_nc_u32_e32 v2, v1, v2
	s_delay_alu instid0(VALU_DEP_1) | instskip(NEXT) | instid1(VALU_DEP_1)
	v_lshrrev_b32_e32 v4, s28, v2
	v_mul_lo_u32 v2, v4, s30
	s_delay_alu instid0(VALU_DEP_1) | instskip(SKIP_1) | instid1(VALU_DEP_1)
	v_sub_nc_u32_e32 v1, v1, v2
	s_waitcnt lgkmcnt(0)
	v_mad_u64_u32 v[2:3], null, v1, s31, v[0:1]
	s_delay_alu instid0(VALU_DEP_1)
	v_dual_mov_b32 v1, v4 :: v_dual_mov_b32 v0, v2
	s_cbranch_scc1 .LBB149_169
.LBB149_170:
	s_cbranch_execnz .LBB149_173
.LBB149_171:
	s_waitcnt lgkmcnt(0)
	v_mul_hi_u32 v0, s5, v6
	s_and_not1_b32 vcc_lo, exec_lo, s23
	s_delay_alu instid0(VALU_DEP_1) | instskip(NEXT) | instid1(VALU_DEP_1)
	v_add_nc_u32_e32 v0, v6, v0
	v_lshrrev_b32_e32 v1, s6, v0
	s_delay_alu instid0(VALU_DEP_1) | instskip(NEXT) | instid1(VALU_DEP_1)
	v_mul_lo_u32 v0, v1, s4
	v_sub_nc_u32_e32 v0, v6, v0
	s_delay_alu instid0(VALU_DEP_1)
	v_mul_lo_u32 v0, v0, s8
	s_cbranch_vccnz .LBB149_173
; %bb.172:
	v_mul_hi_u32 v2, s10, v1
	s_delay_alu instid0(VALU_DEP_1) | instskip(NEXT) | instid1(VALU_DEP_1)
	v_add_nc_u32_e32 v2, v1, v2
	v_lshrrev_b32_e32 v2, s11, v2
	s_delay_alu instid0(VALU_DEP_1) | instskip(NEXT) | instid1(VALU_DEP_1)
	v_mul_lo_u32 v2, v2, s7
	v_sub_nc_u32_e32 v3, v1, v2
	s_delay_alu instid0(VALU_DEP_1) | instskip(NEXT) | instid1(VALU_DEP_1)
	v_mad_u64_u32 v[1:2], null, v3, s9, v[0:1]
	v_mov_b32_e32 v0, v1
.LBB149_173:
	s_waitcnt lgkmcnt(0)
	v_dual_mov_b32 v1, s22 :: v_dual_add_nc_u32 v6, 0x80, v6
	global_store_b8 v0, v1, s[2:3]
	s_or_b32 exec_lo, exec_lo, s27
	s_delay_alu instid0(SALU_CYCLE_1)
	s_mov_b32 s27, exec_lo
	v_cmpx_gt_i32_e64 s24, v6
	s_cbranch_execnz .LBB149_160
.LBB149_174:
	s_or_b32 exec_lo, exec_lo, s27
	s_delay_alu instid0(SALU_CYCLE_1)
	s_mov_b32 s27, exec_lo
	v_cmpx_gt_i32_e64 s24, v6
	s_cbranch_execz .LBB149_189
.LBB149_175:
	s_and_not1_b32 vcc_lo, exec_lo, s20
	s_cbranch_vccnz .LBB149_180
; %bb.176:
	v_mov_b32_e32 v0, 0
	s_and_not1_b32 vcc_lo, exec_lo, s26
	s_cbranch_vccnz .LBB149_200
; %bb.177:
	s_add_i32 s29, s25, 1
	s_cmp_eq_u32 s19, 2
	s_mov_b32 s28, 0
	s_cbranch_scc1 .LBB149_196
; %bb.178:
	v_dual_mov_b32 v0, 0 :: v_dual_mov_b32 v1, v6
	s_and_b32 s28, s29, 28
	s_mov_b32 s30, 0
	s_mov_b64 s[14:15], s[0:1]
	s_mov_b64 s[16:17], s[12:13]
.LBB149_179:                            ; =>This Inner Loop Header: Depth=1
	s_clause 0x1
	s_load_b256 s[36:43], s[14:15], 0x4
	s_load_b128 s[44:47], s[14:15], 0x24
	s_load_b128 s[48:51], s[16:17], 0x0
	s_add_u32 s14, s14, 48
	s_addc_u32 s15, s15, 0
	s_add_i32 s30, s30, 4
	s_add_u32 s16, s16, 16
	s_addc_u32 s17, s17, 0
	s_cmp_eq_u32 s28, s30
	s_waitcnt lgkmcnt(0)
	v_mul_hi_u32 v2, s37, v1
	s_delay_alu instid0(VALU_DEP_1) | instskip(NEXT) | instid1(VALU_DEP_1)
	v_add_nc_u32_e32 v2, v1, v2
	v_lshrrev_b32_e32 v2, s38, v2
	s_delay_alu instid0(VALU_DEP_1) | instskip(SKIP_1) | instid1(VALU_DEP_2)
	v_mul_hi_u32 v3, s40, v2
	v_mul_lo_u32 v7, v2, s36
	v_add_nc_u32_e32 v3, v2, v3
	s_delay_alu instid0(VALU_DEP_2) | instskip(NEXT) | instid1(VALU_DEP_2)
	v_sub_nc_u32_e32 v7, v1, v7
	v_lshrrev_b32_e32 v3, s41, v3
	s_delay_alu instid0(VALU_DEP_2) | instskip(NEXT) | instid1(VALU_DEP_2)
	v_mul_lo_u32 v7, v7, s48
	v_mul_hi_u32 v4, s43, v3
	v_mul_lo_u32 v8, v3, s39
	s_delay_alu instid0(VALU_DEP_2) | instskip(NEXT) | instid1(VALU_DEP_2)
	v_add_nc_u32_e32 v4, v3, v4
	v_sub_nc_u32_e32 v2, v2, v8
	s_delay_alu instid0(VALU_DEP_2) | instskip(NEXT) | instid1(VALU_DEP_2)
	v_lshrrev_b32_e32 v4, s44, v4
	v_mul_lo_u32 v2, v2, s49
	s_delay_alu instid0(VALU_DEP_2) | instskip(NEXT) | instid1(VALU_DEP_2)
	v_mul_hi_u32 v5, s46, v4
	v_add3_u32 v0, v7, v0, v2
	s_delay_alu instid0(VALU_DEP_2) | instskip(NEXT) | instid1(VALU_DEP_1)
	v_add_nc_u32_e32 v5, v4, v5
	v_lshrrev_b32_e32 v1, s47, v5
	v_mul_lo_u32 v5, v4, s42
	s_delay_alu instid0(VALU_DEP_2) | instskip(NEXT) | instid1(VALU_DEP_2)
	v_mul_lo_u32 v9, v1, s45
	v_sub_nc_u32_e32 v3, v3, v5
	s_delay_alu instid0(VALU_DEP_2) | instskip(NEXT) | instid1(VALU_DEP_2)
	v_sub_nc_u32_e32 v4, v4, v9
	v_mul_lo_u32 v3, v3, s50
	s_delay_alu instid0(VALU_DEP_2) | instskip(NEXT) | instid1(VALU_DEP_1)
	v_mul_lo_u32 v4, v4, s51
	v_add3_u32 v0, v3, v0, v4
	s_cbranch_scc0 .LBB149_179
	s_branch .LBB149_197
.LBB149_180:
                                        ; implicit-def: $vgpr0
	s_branch .LBB149_201
.LBB149_181:
	v_mov_b32_e32 v1, v6
.LBB149_182:
	s_and_b32 s29, s29, 3
	s_delay_alu instid0(SALU_CYCLE_1)
	s_cmp_eq_u32 s29, 0
	s_cbranch_scc1 .LBB149_185
; %bb.183:
	s_lshl_b32 s14, s28, 2
	s_mul_i32 s16, s28, 12
	s_add_u32 s14, s14, s0
	s_addc_u32 s15, s1, 0
	s_add_u32 s14, s14, 0xc4
	s_addc_u32 s15, s15, 0
	;; [unrolled: 2-line block ×3, first 2 shown]
	.p2align	6
.LBB149_184:                            ; =>This Inner Loop Header: Depth=1
	s_clause 0x1
	s_load_b64 s[30:31], s[16:17], 0x4
	s_load_b32 s28, s[16:17], 0xc
	s_add_u32 s16, s16, 12
	s_addc_u32 s17, s17, 0
	s_waitcnt lgkmcnt(0)
	v_mul_hi_u32 v2, s31, v1
	s_load_b32 s31, s[14:15], 0x0
	s_add_u32 s14, s14, 4
	s_addc_u32 s15, s15, 0
	s_add_i32 s29, s29, -1
	s_delay_alu instid0(SALU_CYCLE_1) | instskip(NEXT) | instid1(VALU_DEP_1)
	s_cmp_lg_u32 s29, 0
	v_add_nc_u32_e32 v2, v1, v2
	s_delay_alu instid0(VALU_DEP_1) | instskip(NEXT) | instid1(VALU_DEP_1)
	v_lshrrev_b32_e32 v4, s28, v2
	v_mul_lo_u32 v2, v4, s30
	s_delay_alu instid0(VALU_DEP_1) | instskip(SKIP_1) | instid1(VALU_DEP_1)
	v_sub_nc_u32_e32 v1, v1, v2
	s_waitcnt lgkmcnt(0)
	v_mad_u64_u32 v[2:3], null, v1, s31, v[0:1]
	s_delay_alu instid0(VALU_DEP_1)
	v_dual_mov_b32 v1, v4 :: v_dual_mov_b32 v0, v2
	s_cbranch_scc1 .LBB149_184
.LBB149_185:
	s_cbranch_execnz .LBB149_188
.LBB149_186:
	s_waitcnt lgkmcnt(0)
	v_mul_hi_u32 v0, s5, v6
	s_and_not1_b32 vcc_lo, exec_lo, s23
	s_delay_alu instid0(VALU_DEP_1) | instskip(NEXT) | instid1(VALU_DEP_1)
	v_add_nc_u32_e32 v0, v6, v0
	v_lshrrev_b32_e32 v1, s6, v0
	s_delay_alu instid0(VALU_DEP_1) | instskip(NEXT) | instid1(VALU_DEP_1)
	v_mul_lo_u32 v0, v1, s4
	v_sub_nc_u32_e32 v0, v6, v0
	s_delay_alu instid0(VALU_DEP_1)
	v_mul_lo_u32 v0, v0, s8
	s_cbranch_vccnz .LBB149_188
; %bb.187:
	v_mul_hi_u32 v2, s10, v1
	s_delay_alu instid0(VALU_DEP_1) | instskip(NEXT) | instid1(VALU_DEP_1)
	v_add_nc_u32_e32 v2, v1, v2
	v_lshrrev_b32_e32 v2, s11, v2
	s_delay_alu instid0(VALU_DEP_1) | instskip(NEXT) | instid1(VALU_DEP_1)
	v_mul_lo_u32 v2, v2, s7
	v_sub_nc_u32_e32 v3, v1, v2
	s_delay_alu instid0(VALU_DEP_1) | instskip(NEXT) | instid1(VALU_DEP_1)
	v_mad_u64_u32 v[1:2], null, v3, s9, v[0:1]
	v_mov_b32_e32 v0, v1
.LBB149_188:
	s_waitcnt lgkmcnt(0)
	v_dual_mov_b32 v1, s22 :: v_dual_add_nc_u32 v6, 0x80, v6
	global_store_b8 v0, v1, s[2:3]
	s_or_b32 exec_lo, exec_lo, s27
	s_delay_alu instid0(SALU_CYCLE_1)
	s_mov_b32 s27, exec_lo
	v_cmpx_gt_i32_e64 s24, v6
	s_cbranch_execnz .LBB149_175
.LBB149_189:
	s_or_b32 exec_lo, exec_lo, s27
	s_delay_alu instid0(SALU_CYCLE_1)
	s_mov_b32 s27, exec_lo
	v_cmpx_gt_i32_e64 s24, v6
	s_cbranch_execz .LBB149_204
.LBB149_190:
	s_and_not1_b32 vcc_lo, exec_lo, s20
	s_cbranch_vccnz .LBB149_195
; %bb.191:
	v_mov_b32_e32 v0, 0
	s_and_not1_b32 vcc_lo, exec_lo, s26
	s_cbranch_vccnz .LBB149_211
; %bb.192:
	s_add_i32 s29, s25, 1
	s_cmp_eq_u32 s19, 2
	s_mov_b32 s28, 0
	s_cbranch_scc1 .LBB149_207
; %bb.193:
	v_dual_mov_b32 v0, 0 :: v_dual_mov_b32 v1, v6
	s_and_b32 s28, s29, 28
	s_mov_b32 s30, 0
	s_mov_b64 s[14:15], s[0:1]
	s_mov_b64 s[16:17], s[12:13]
.LBB149_194:                            ; =>This Inner Loop Header: Depth=1
	s_clause 0x1
	s_load_b256 s[36:43], s[14:15], 0x4
	s_load_b128 s[44:47], s[14:15], 0x24
	s_load_b128 s[48:51], s[16:17], 0x0
	s_add_u32 s14, s14, 48
	s_addc_u32 s15, s15, 0
	s_add_i32 s30, s30, 4
	s_add_u32 s16, s16, 16
	s_addc_u32 s17, s17, 0
	s_cmp_eq_u32 s28, s30
	s_waitcnt lgkmcnt(0)
	v_mul_hi_u32 v2, s37, v1
	s_delay_alu instid0(VALU_DEP_1) | instskip(NEXT) | instid1(VALU_DEP_1)
	v_add_nc_u32_e32 v2, v1, v2
	v_lshrrev_b32_e32 v2, s38, v2
	s_delay_alu instid0(VALU_DEP_1) | instskip(SKIP_1) | instid1(VALU_DEP_2)
	v_mul_hi_u32 v3, s40, v2
	v_mul_lo_u32 v7, v2, s36
	v_add_nc_u32_e32 v3, v2, v3
	s_delay_alu instid0(VALU_DEP_2) | instskip(NEXT) | instid1(VALU_DEP_2)
	v_sub_nc_u32_e32 v7, v1, v7
	v_lshrrev_b32_e32 v3, s41, v3
	s_delay_alu instid0(VALU_DEP_2) | instskip(NEXT) | instid1(VALU_DEP_2)
	v_mul_lo_u32 v7, v7, s48
	v_mul_hi_u32 v4, s43, v3
	v_mul_lo_u32 v8, v3, s39
	s_delay_alu instid0(VALU_DEP_2) | instskip(NEXT) | instid1(VALU_DEP_2)
	v_add_nc_u32_e32 v4, v3, v4
	v_sub_nc_u32_e32 v2, v2, v8
	s_delay_alu instid0(VALU_DEP_2) | instskip(NEXT) | instid1(VALU_DEP_2)
	v_lshrrev_b32_e32 v4, s44, v4
	v_mul_lo_u32 v2, v2, s49
	s_delay_alu instid0(VALU_DEP_2) | instskip(NEXT) | instid1(VALU_DEP_2)
	v_mul_hi_u32 v5, s46, v4
	v_add3_u32 v0, v7, v0, v2
	s_delay_alu instid0(VALU_DEP_2) | instskip(NEXT) | instid1(VALU_DEP_1)
	v_add_nc_u32_e32 v5, v4, v5
	v_lshrrev_b32_e32 v1, s47, v5
	v_mul_lo_u32 v5, v4, s42
	s_delay_alu instid0(VALU_DEP_2) | instskip(NEXT) | instid1(VALU_DEP_2)
	v_mul_lo_u32 v9, v1, s45
	v_sub_nc_u32_e32 v3, v3, v5
	s_delay_alu instid0(VALU_DEP_2) | instskip(NEXT) | instid1(VALU_DEP_2)
	v_sub_nc_u32_e32 v4, v4, v9
	v_mul_lo_u32 v3, v3, s50
	s_delay_alu instid0(VALU_DEP_2) | instskip(NEXT) | instid1(VALU_DEP_1)
	v_mul_lo_u32 v4, v4, s51
	v_add3_u32 v0, v3, v0, v4
	s_cbranch_scc0 .LBB149_194
	s_branch .LBB149_208
.LBB149_195:
                                        ; implicit-def: $vgpr0
	s_branch .LBB149_212
.LBB149_196:
	v_mov_b32_e32 v1, v6
.LBB149_197:
	s_and_b32 s29, s29, 3
	s_delay_alu instid0(SALU_CYCLE_1)
	s_cmp_eq_u32 s29, 0
	s_cbranch_scc1 .LBB149_200
; %bb.198:
	s_lshl_b32 s14, s28, 2
	s_mul_i32 s16, s28, 12
	s_add_u32 s14, s14, s0
	s_addc_u32 s15, s1, 0
	s_add_u32 s14, s14, 0xc4
	s_addc_u32 s15, s15, 0
	;; [unrolled: 2-line block ×3, first 2 shown]
	.p2align	6
.LBB149_199:                            ; =>This Inner Loop Header: Depth=1
	s_clause 0x1
	s_load_b64 s[30:31], s[16:17], 0x4
	s_load_b32 s28, s[16:17], 0xc
	s_add_u32 s16, s16, 12
	s_addc_u32 s17, s17, 0
	s_waitcnt lgkmcnt(0)
	v_mul_hi_u32 v2, s31, v1
	s_load_b32 s31, s[14:15], 0x0
	s_add_u32 s14, s14, 4
	s_addc_u32 s15, s15, 0
	s_add_i32 s29, s29, -1
	s_delay_alu instid0(SALU_CYCLE_1) | instskip(NEXT) | instid1(VALU_DEP_1)
	s_cmp_lg_u32 s29, 0
	v_add_nc_u32_e32 v2, v1, v2
	s_delay_alu instid0(VALU_DEP_1) | instskip(NEXT) | instid1(VALU_DEP_1)
	v_lshrrev_b32_e32 v4, s28, v2
	v_mul_lo_u32 v2, v4, s30
	s_delay_alu instid0(VALU_DEP_1) | instskip(SKIP_1) | instid1(VALU_DEP_1)
	v_sub_nc_u32_e32 v1, v1, v2
	s_waitcnt lgkmcnt(0)
	v_mad_u64_u32 v[2:3], null, v1, s31, v[0:1]
	s_delay_alu instid0(VALU_DEP_1)
	v_dual_mov_b32 v1, v4 :: v_dual_mov_b32 v0, v2
	s_cbranch_scc1 .LBB149_199
.LBB149_200:
	s_cbranch_execnz .LBB149_203
.LBB149_201:
	s_waitcnt lgkmcnt(0)
	v_mul_hi_u32 v0, s5, v6
	s_and_not1_b32 vcc_lo, exec_lo, s23
	s_delay_alu instid0(VALU_DEP_1) | instskip(NEXT) | instid1(VALU_DEP_1)
	v_add_nc_u32_e32 v0, v6, v0
	v_lshrrev_b32_e32 v1, s6, v0
	s_delay_alu instid0(VALU_DEP_1) | instskip(NEXT) | instid1(VALU_DEP_1)
	v_mul_lo_u32 v0, v1, s4
	v_sub_nc_u32_e32 v0, v6, v0
	s_delay_alu instid0(VALU_DEP_1)
	v_mul_lo_u32 v0, v0, s8
	s_cbranch_vccnz .LBB149_203
; %bb.202:
	v_mul_hi_u32 v2, s10, v1
	s_delay_alu instid0(VALU_DEP_1) | instskip(NEXT) | instid1(VALU_DEP_1)
	v_add_nc_u32_e32 v2, v1, v2
	v_lshrrev_b32_e32 v2, s11, v2
	s_delay_alu instid0(VALU_DEP_1) | instskip(NEXT) | instid1(VALU_DEP_1)
	v_mul_lo_u32 v2, v2, s7
	v_sub_nc_u32_e32 v3, v1, v2
	s_delay_alu instid0(VALU_DEP_1) | instskip(NEXT) | instid1(VALU_DEP_1)
	v_mad_u64_u32 v[1:2], null, v3, s9, v[0:1]
	v_mov_b32_e32 v0, v1
.LBB149_203:
	s_waitcnt lgkmcnt(0)
	v_dual_mov_b32 v1, s22 :: v_dual_add_nc_u32 v6, 0x80, v6
	global_store_b8 v0, v1, s[2:3]
	s_or_b32 exec_lo, exec_lo, s27
	s_delay_alu instid0(SALU_CYCLE_1)
	s_mov_b32 s27, exec_lo
	v_cmpx_gt_i32_e64 s24, v6
	s_cbranch_execnz .LBB149_190
.LBB149_204:
	s_or_b32 exec_lo, exec_lo, s27
	s_delay_alu instid0(SALU_CYCLE_1)
	s_mov_b32 s16, exec_lo
	v_cmpx_gt_i32_e64 s24, v6
	s_cbranch_execnz .LBB149_215
.LBB149_205:
	s_or_b32 exec_lo, exec_lo, s16
                                        ; implicit-def: $vgpr8
                                        ; implicit-def: $vgpr6
	s_waitcnt lgkmcnt(0)
	s_and_not1_saveexec_b32 s2, s21
	s_cbranch_execnz .LBB149_8
.LBB149_206:
	s_nop 0
	s_sendmsg sendmsg(MSG_DEALLOC_VGPRS)
	s_endpgm
.LBB149_207:
	v_mov_b32_e32 v1, v6
.LBB149_208:
	s_and_b32 s29, s29, 3
	s_delay_alu instid0(SALU_CYCLE_1)
	s_cmp_eq_u32 s29, 0
	s_cbranch_scc1 .LBB149_211
; %bb.209:
	s_lshl_b32 s14, s28, 2
	s_mul_i32 s16, s28, 12
	s_add_u32 s14, s14, s0
	s_addc_u32 s15, s1, 0
	s_add_u32 s14, s14, 0xc4
	s_addc_u32 s15, s15, 0
	;; [unrolled: 2-line block ×3, first 2 shown]
	.p2align	6
.LBB149_210:                            ; =>This Inner Loop Header: Depth=1
	s_clause 0x1
	s_load_b64 s[30:31], s[16:17], 0x4
	s_load_b32 s28, s[16:17], 0xc
	s_add_u32 s16, s16, 12
	s_addc_u32 s17, s17, 0
	s_waitcnt lgkmcnt(0)
	v_mul_hi_u32 v2, s31, v1
	s_load_b32 s31, s[14:15], 0x0
	s_add_u32 s14, s14, 4
	s_addc_u32 s15, s15, 0
	s_add_i32 s29, s29, -1
	s_delay_alu instid0(SALU_CYCLE_1) | instskip(NEXT) | instid1(VALU_DEP_1)
	s_cmp_lg_u32 s29, 0
	v_add_nc_u32_e32 v2, v1, v2
	s_delay_alu instid0(VALU_DEP_1) | instskip(NEXT) | instid1(VALU_DEP_1)
	v_lshrrev_b32_e32 v4, s28, v2
	v_mul_lo_u32 v2, v4, s30
	s_delay_alu instid0(VALU_DEP_1) | instskip(SKIP_1) | instid1(VALU_DEP_1)
	v_sub_nc_u32_e32 v1, v1, v2
	s_waitcnt lgkmcnt(0)
	v_mad_u64_u32 v[2:3], null, v1, s31, v[0:1]
	s_delay_alu instid0(VALU_DEP_1)
	v_dual_mov_b32 v1, v4 :: v_dual_mov_b32 v0, v2
	s_cbranch_scc1 .LBB149_210
.LBB149_211:
	s_cbranch_execnz .LBB149_214
.LBB149_212:
	s_waitcnt lgkmcnt(0)
	v_mul_hi_u32 v0, s5, v6
	s_and_not1_b32 vcc_lo, exec_lo, s23
	s_delay_alu instid0(VALU_DEP_1) | instskip(NEXT) | instid1(VALU_DEP_1)
	v_add_nc_u32_e32 v0, v6, v0
	v_lshrrev_b32_e32 v1, s6, v0
	s_delay_alu instid0(VALU_DEP_1) | instskip(NEXT) | instid1(VALU_DEP_1)
	v_mul_lo_u32 v0, v1, s4
	v_sub_nc_u32_e32 v0, v6, v0
	s_delay_alu instid0(VALU_DEP_1)
	v_mul_lo_u32 v0, v0, s8
	s_cbranch_vccnz .LBB149_214
; %bb.213:
	v_mul_hi_u32 v2, s10, v1
	s_delay_alu instid0(VALU_DEP_1) | instskip(NEXT) | instid1(VALU_DEP_1)
	v_add_nc_u32_e32 v2, v1, v2
	v_lshrrev_b32_e32 v2, s11, v2
	s_delay_alu instid0(VALU_DEP_1) | instskip(NEXT) | instid1(VALU_DEP_1)
	v_mul_lo_u32 v2, v2, s7
	v_sub_nc_u32_e32 v3, v1, v2
	s_delay_alu instid0(VALU_DEP_1) | instskip(NEXT) | instid1(VALU_DEP_1)
	v_mad_u64_u32 v[1:2], null, v3, s9, v[0:1]
	v_mov_b32_e32 v0, v1
.LBB149_214:
	s_waitcnt lgkmcnt(0)
	v_dual_mov_b32 v1, s22 :: v_dual_add_nc_u32 v6, 0x80, v6
	global_store_b8 v0, v1, s[2:3]
	s_or_b32 exec_lo, exec_lo, s27
	s_delay_alu instid0(SALU_CYCLE_1)
	s_mov_b32 s16, exec_lo
	v_cmpx_gt_i32_e64 s24, v6
	s_cbranch_execz .LBB149_205
.LBB149_215:
	s_and_not1_b32 vcc_lo, exec_lo, s20
	s_cbranch_vccnz .LBB149_220
; %bb.216:
	v_mov_b32_e32 v0, 0
	s_and_not1_b32 vcc_lo, exec_lo, s26
	s_cbranch_vccnz .LBB149_225
; %bb.217:
	s_add_i32 s25, s25, 1
	s_cmp_eq_u32 s19, 2
	s_mov_b32 s17, 0
	s_cbranch_scc1 .LBB149_221
; %bb.218:
	v_dual_mov_b32 v0, 0 :: v_dual_mov_b32 v1, v6
	s_and_b32 s17, s25, 28
	s_mov_b32 s24, 0
	s_mov_b64 s[14:15], s[0:1]
.LBB149_219:                            ; =>This Inner Loop Header: Depth=1
	s_clause 0x1
	s_load_b256 s[36:43], s[14:15], 0x4
	s_load_b128 s[28:31], s[14:15], 0x24
	s_load_b128 s[44:47], s[12:13], 0x0
	s_add_u32 s14, s14, 48
	s_addc_u32 s15, s15, 0
	s_add_i32 s24, s24, 4
	s_add_u32 s12, s12, 16
	s_addc_u32 s13, s13, 0
	s_cmp_eq_u32 s17, s24
	s_waitcnt lgkmcnt(0)
	v_mul_hi_u32 v2, s37, v1
	s_delay_alu instid0(VALU_DEP_1) | instskip(NEXT) | instid1(VALU_DEP_1)
	v_add_nc_u32_e32 v2, v1, v2
	v_lshrrev_b32_e32 v2, s38, v2
	s_delay_alu instid0(VALU_DEP_1) | instskip(SKIP_1) | instid1(VALU_DEP_2)
	v_mul_hi_u32 v3, s40, v2
	v_mul_lo_u32 v7, v2, s36
	v_add_nc_u32_e32 v3, v2, v3
	s_delay_alu instid0(VALU_DEP_2) | instskip(NEXT) | instid1(VALU_DEP_2)
	v_sub_nc_u32_e32 v7, v1, v7
	v_lshrrev_b32_e32 v3, s41, v3
	s_delay_alu instid0(VALU_DEP_2) | instskip(NEXT) | instid1(VALU_DEP_2)
	v_mul_lo_u32 v7, v7, s44
	v_mul_hi_u32 v4, s43, v3
	v_mul_lo_u32 v8, v3, s39
	s_delay_alu instid0(VALU_DEP_2) | instskip(NEXT) | instid1(VALU_DEP_2)
	v_add_nc_u32_e32 v4, v3, v4
	v_sub_nc_u32_e32 v2, v2, v8
	s_delay_alu instid0(VALU_DEP_2) | instskip(NEXT) | instid1(VALU_DEP_2)
	v_lshrrev_b32_e32 v4, s28, v4
	v_mul_lo_u32 v2, v2, s45
	s_delay_alu instid0(VALU_DEP_2) | instskip(NEXT) | instid1(VALU_DEP_2)
	v_mul_hi_u32 v5, s30, v4
	v_add3_u32 v0, v7, v0, v2
	s_delay_alu instid0(VALU_DEP_2) | instskip(NEXT) | instid1(VALU_DEP_1)
	v_add_nc_u32_e32 v5, v4, v5
	v_lshrrev_b32_e32 v1, s31, v5
	v_mul_lo_u32 v5, v4, s42
	s_delay_alu instid0(VALU_DEP_2) | instskip(NEXT) | instid1(VALU_DEP_2)
	v_mul_lo_u32 v9, v1, s29
	v_sub_nc_u32_e32 v3, v3, v5
	s_delay_alu instid0(VALU_DEP_2) | instskip(NEXT) | instid1(VALU_DEP_2)
	v_sub_nc_u32_e32 v4, v4, v9
	v_mul_lo_u32 v3, v3, s46
	s_delay_alu instid0(VALU_DEP_2) | instskip(NEXT) | instid1(VALU_DEP_1)
	v_mul_lo_u32 v4, v4, s47
	v_add3_u32 v0, v3, v0, v4
	s_cbranch_scc0 .LBB149_219
	s_branch .LBB149_222
.LBB149_220:
                                        ; implicit-def: $vgpr0
	s_branch .LBB149_226
.LBB149_221:
	v_mov_b32_e32 v1, v6
.LBB149_222:
	s_and_b32 s24, s25, 3
	s_delay_alu instid0(SALU_CYCLE_1)
	s_cmp_eq_u32 s24, 0
	s_cbranch_scc1 .LBB149_225
; %bb.223:
	s_lshl_b32 s12, s17, 2
	s_mul_i32 s14, s17, 12
	s_add_u32 s12, s12, s0
	s_addc_u32 s13, s1, 0
	s_add_u32 s12, s12, 0xc4
	s_addc_u32 s13, s13, 0
	;; [unrolled: 2-line block ×3, first 2 shown]
	.p2align	6
.LBB149_224:                            ; =>This Inner Loop Header: Depth=1
	s_clause 0x1
	s_load_b64 s[26:27], s[14:15], 0x4
	s_load_b32 s17, s[14:15], 0xc
	s_load_b32 s25, s[12:13], 0x0
	s_add_u32 s14, s14, 12
	s_addc_u32 s15, s15, 0
	s_add_u32 s12, s12, 4
	s_addc_u32 s13, s13, 0
	s_add_i32 s24, s24, -1
	s_delay_alu instid0(SALU_CYCLE_1) | instskip(SKIP_2) | instid1(VALU_DEP_1)
	s_cmp_lg_u32 s24, 0
	s_waitcnt lgkmcnt(0)
	v_mul_hi_u32 v2, s27, v1
	v_add_nc_u32_e32 v2, v1, v2
	s_delay_alu instid0(VALU_DEP_1) | instskip(NEXT) | instid1(VALU_DEP_1)
	v_lshrrev_b32_e32 v4, s17, v2
	v_mul_lo_u32 v2, v4, s26
	s_delay_alu instid0(VALU_DEP_1) | instskip(NEXT) | instid1(VALU_DEP_1)
	v_sub_nc_u32_e32 v1, v1, v2
	v_mad_u64_u32 v[2:3], null, v1, s25, v[0:1]
	s_delay_alu instid0(VALU_DEP_1)
	v_dual_mov_b32 v1, v4 :: v_dual_mov_b32 v0, v2
	s_cbranch_scc1 .LBB149_224
.LBB149_225:
	s_cbranch_execnz .LBB149_228
.LBB149_226:
	s_waitcnt lgkmcnt(0)
	v_mul_hi_u32 v0, s5, v6
	s_and_not1_b32 vcc_lo, exec_lo, s23
	s_delay_alu instid0(VALU_DEP_1) | instskip(NEXT) | instid1(VALU_DEP_1)
	v_add_nc_u32_e32 v0, v6, v0
	v_lshrrev_b32_e32 v1, s6, v0
	s_delay_alu instid0(VALU_DEP_1) | instskip(NEXT) | instid1(VALU_DEP_1)
	v_mul_lo_u32 v0, v1, s4
	v_sub_nc_u32_e32 v0, v6, v0
	s_delay_alu instid0(VALU_DEP_1)
	v_mul_lo_u32 v0, v0, s8
	s_cbranch_vccnz .LBB149_228
; %bb.227:
	v_mul_hi_u32 v2, s10, v1
	s_delay_alu instid0(VALU_DEP_1) | instskip(NEXT) | instid1(VALU_DEP_1)
	v_add_nc_u32_e32 v2, v1, v2
	v_lshrrev_b32_e32 v2, s11, v2
	s_delay_alu instid0(VALU_DEP_1) | instskip(NEXT) | instid1(VALU_DEP_1)
	v_mul_lo_u32 v2, v2, s7
	v_sub_nc_u32_e32 v3, v1, v2
	s_delay_alu instid0(VALU_DEP_1) | instskip(NEXT) | instid1(VALU_DEP_1)
	v_mad_u64_u32 v[1:2], null, v3, s9, v[0:1]
	v_mov_b32_e32 v0, v1
.LBB149_228:
	s_waitcnt lgkmcnt(0)
	v_mov_b32_e32 v1, s22
	global_store_b8 v0, v1, s[2:3]
	s_or_b32 exec_lo, exec_lo, s16
                                        ; implicit-def: $vgpr8
                                        ; implicit-def: $vgpr6
	s_and_not1_saveexec_b32 s2, s21
	s_cbranch_execz .LBB149_206
	s_branch .LBB149_8
	.section	.rodata,"a",@progbits
	.p2align	6, 0x0
	.amdhsa_kernel _ZN2at6native32elementwise_kernel_manual_unrollILi128ELi8EZNS0_22gpu_kernel_impl_nocastINS0_11FillFunctorIN3c1014Float8_e8m0fnuEEEEEvRNS_18TensorIteratorBaseERKT_EUlibE_EEviT1_
		.amdhsa_group_segment_fixed_size 0
		.amdhsa_private_segment_fixed_size 0
		.amdhsa_kernarg_size 288
		.amdhsa_user_sgpr_count 15
		.amdhsa_user_sgpr_dispatch_ptr 0
		.amdhsa_user_sgpr_queue_ptr 0
		.amdhsa_user_sgpr_kernarg_segment_ptr 1
		.amdhsa_user_sgpr_dispatch_id 0
		.amdhsa_user_sgpr_private_segment_size 0
		.amdhsa_wavefront_size32 1
		.amdhsa_uses_dynamic_stack 0
		.amdhsa_enable_private_segment 0
		.amdhsa_system_sgpr_workgroup_id_x 1
		.amdhsa_system_sgpr_workgroup_id_y 0
		.amdhsa_system_sgpr_workgroup_id_z 0
		.amdhsa_system_sgpr_workgroup_info 0
		.amdhsa_system_vgpr_workitem_id 0
		.amdhsa_next_free_vgpr 18
		.amdhsa_next_free_sgpr 52
		.amdhsa_reserve_vcc 1
		.amdhsa_float_round_mode_32 0
		.amdhsa_float_round_mode_16_64 0
		.amdhsa_float_denorm_mode_32 3
		.amdhsa_float_denorm_mode_16_64 3
		.amdhsa_dx10_clamp 1
		.amdhsa_ieee_mode 1
		.amdhsa_fp16_overflow 0
		.amdhsa_workgroup_processor_mode 1
		.amdhsa_memory_ordered 1
		.amdhsa_forward_progress 0
		.amdhsa_shared_vgpr_count 0
		.amdhsa_exception_fp_ieee_invalid_op 0
		.amdhsa_exception_fp_denorm_src 0
		.amdhsa_exception_fp_ieee_div_zero 0
		.amdhsa_exception_fp_ieee_overflow 0
		.amdhsa_exception_fp_ieee_underflow 0
		.amdhsa_exception_fp_ieee_inexact 0
		.amdhsa_exception_int_div_zero 0
	.end_amdhsa_kernel
	.section	.text._ZN2at6native32elementwise_kernel_manual_unrollILi128ELi8EZNS0_22gpu_kernel_impl_nocastINS0_11FillFunctorIN3c1014Float8_e8m0fnuEEEEEvRNS_18TensorIteratorBaseERKT_EUlibE_EEviT1_,"axG",@progbits,_ZN2at6native32elementwise_kernel_manual_unrollILi128ELi8EZNS0_22gpu_kernel_impl_nocastINS0_11FillFunctorIN3c1014Float8_e8m0fnuEEEEEvRNS_18TensorIteratorBaseERKT_EUlibE_EEviT1_,comdat
.Lfunc_end149:
	.size	_ZN2at6native32elementwise_kernel_manual_unrollILi128ELi8EZNS0_22gpu_kernel_impl_nocastINS0_11FillFunctorIN3c1014Float8_e8m0fnuEEEEEvRNS_18TensorIteratorBaseERKT_EUlibE_EEviT1_, .Lfunc_end149-_ZN2at6native32elementwise_kernel_manual_unrollILi128ELi8EZNS0_22gpu_kernel_impl_nocastINS0_11FillFunctorIN3c1014Float8_e8m0fnuEEEEEvRNS_18TensorIteratorBaseERKT_EUlibE_EEviT1_
                                        ; -- End function
	.section	.AMDGPU.csdata,"",@progbits
; Kernel info:
; codeLenInByte = 11652
; NumSgprs: 54
; NumVgprs: 18
; ScratchSize: 0
; MemoryBound: 0
; FloatMode: 240
; IeeeMode: 1
; LDSByteSize: 0 bytes/workgroup (compile time only)
; SGPRBlocks: 6
; VGPRBlocks: 2
; NumSGPRsForWavesPerEU: 54
; NumVGPRsForWavesPerEU: 18
; Occupancy: 16
; WaveLimiterHint : 1
; COMPUTE_PGM_RSRC2:SCRATCH_EN: 0
; COMPUTE_PGM_RSRC2:USER_SGPR: 15
; COMPUTE_PGM_RSRC2:TRAP_HANDLER: 0
; COMPUTE_PGM_RSRC2:TGID_X_EN: 1
; COMPUTE_PGM_RSRC2:TGID_Y_EN: 0
; COMPUTE_PGM_RSRC2:TGID_Z_EN: 0
; COMPUTE_PGM_RSRC2:TIDIG_COMP_CNT: 0
	.section	.text._ZN2at6native32elementwise_kernel_manual_unrollILi128ELi4EZNS0_15gpu_kernel_implINS0_11FillFunctorIN3c1014Float8_e8m0fnuEEEEEvRNS_18TensorIteratorBaseERKT_EUlibE_EEviT1_,"axG",@progbits,_ZN2at6native32elementwise_kernel_manual_unrollILi128ELi4EZNS0_15gpu_kernel_implINS0_11FillFunctorIN3c1014Float8_e8m0fnuEEEEEvRNS_18TensorIteratorBaseERKT_EUlibE_EEviT1_,comdat
	.protected	_ZN2at6native32elementwise_kernel_manual_unrollILi128ELi4EZNS0_15gpu_kernel_implINS0_11FillFunctorIN3c1014Float8_e8m0fnuEEEEEvRNS_18TensorIteratorBaseERKT_EUlibE_EEviT1_ ; -- Begin function _ZN2at6native32elementwise_kernel_manual_unrollILi128ELi4EZNS0_15gpu_kernel_implINS0_11FillFunctorIN3c1014Float8_e8m0fnuEEEEEvRNS_18TensorIteratorBaseERKT_EUlibE_EEviT1_
	.globl	_ZN2at6native32elementwise_kernel_manual_unrollILi128ELi4EZNS0_15gpu_kernel_implINS0_11FillFunctorIN3c1014Float8_e8m0fnuEEEEEvRNS_18TensorIteratorBaseERKT_EUlibE_EEviT1_
	.p2align	8
	.type	_ZN2at6native32elementwise_kernel_manual_unrollILi128ELi4EZNS0_15gpu_kernel_implINS0_11FillFunctorIN3c1014Float8_e8m0fnuEEEEEvRNS_18TensorIteratorBaseERKT_EUlibE_EEviT1_,@function
_ZN2at6native32elementwise_kernel_manual_unrollILi128ELi4EZNS0_15gpu_kernel_implINS0_11FillFunctorIN3c1014Float8_e8m0fnuEEEEEvRNS_18TensorIteratorBaseERKT_EUlibE_EEviT1_: ; @_ZN2at6native32elementwise_kernel_manual_unrollILi128ELi4EZNS0_15gpu_kernel_implINS0_11FillFunctorIN3c1014Float8_e8m0fnuEEEEEvRNS_18TensorIteratorBaseERKT_EUlibE_EEviT1_
; %bb.0:
	s_clause 0x1
	s_load_b128 s[16:19], s[0:1], 0x8
	s_load_b32 s22, s[0:1], 0x0
	v_lshl_or_b32 v24, s15, 9, v0
	s_mov_b32 s12, 0
	s_mov_b32 s2, 0
	s_mov_b32 s0, exec_lo
	s_delay_alu instid0(VALU_DEP_1) | instskip(SKIP_2) | instid1(VALU_DEP_2)
	v_or_b32_e32 v0, 0x180, v24
	s_waitcnt lgkmcnt(0)
	v_lshrrev_b16 v10, 8, s19
	v_cmpx_le_i32_e64 s22, v0
	s_xor_b32 s13, exec_lo, s0
	s_cbranch_execz .LBB150_151
; %bb.1:
	s_and_b32 s0, s19, 0xff
	v_and_b32_e64 v3, 0xff, s19
	s_lshl_b32 s23, s0, 23
	v_mov_b32_e32 v4, 0x7f800001
	v_trunc_f32_e32 v2, s23
	s_add_i32 s0, s23, 0x487ffff
	v_cmp_eq_u16_e32 vcc_lo, 0xff, v3
	v_cmp_eq_u16_e64 s10, 0, v3
	s_lshr_b32 s0, s0, 20
	v_mul_f32_e32 v0, 0x2f800000, v2
	v_cvt_u32_f32_e32 v5, s23
	v_cndmask_b32_e64 v8, |s23|, v4, vcc_lo
	s_and_b32 s1, vcc_lo, exec_lo
	s_cselect_b32 s0, 64, s0
	v_floor_f32_e32 v6, v0
	s_and_b32 s1, s10, exec_lo
	v_cndmask_b32_e64 v8, v8, 0x400000, s10
	v_cvt_f64_f32_e32 v[0:1], s23
	s_cselect_b32 s21, 0x4c, s0
	v_fmamk_f32 v7, v6, 0xcf800000, v2
	v_cvt_u32_f32_e32 v6, v6
	v_add_f32_e32 v22, 0x46000000, v8
	s_add_i32 s0, s23, 0x88fffff
	v_add_f32_e32 v18, 0x42800000, v8
	v_cvt_u32_f32_e32 v3, v7
	s_lshr_b32 s1, s0, 21
	v_cndmask_b32_e64 v7, v6, 0, s10
	s_and_b32 s0, vcc_lo, exec_lo
	s_cselect_b32 s1, 64, s1
	v_cndmask_b32_e64 v6, v3, 0, s10
	v_and_b32_e32 v3, 0xff, v22
	s_and_b32 s2, s10, exec_lo
	s_cselect_b32 s20, 0x46, s1
	s_add_i32 s1, s23, 0x407ffff
	v_cndmask_b32_e64 v23, v5, 0, s10
	v_cmp_ne_u32_e64 s9, 0, v3
	s_lshr_b32 s1, s1, 20
	v_cndmask_b32_e32 v3, s23, v4, vcc_lo
	s_and_b32 s11, vcc_lo, exec_lo
	s_cselect_b32 s1, 56, s1
	s_and_b32 s11, s10, exec_lo
	s_cselect_b32 s15, 0x44, s1
	s_add_i32 s1, s23, 0x80fffff
	v_and_b32_e32 v5, 0xff, v18
	v_cndmask_b32_e64 v14, v3, 0x400000, s10
	v_mul_f32_e64 v4, 0x2f800000, |v2|
	s_lshr_b32 s11, s1, 21
	s_and_b32 s14, vcc_lo, exec_lo
	s_cselect_b32 s11, 60, s11
	s_and_b32 s14, s10, exec_lo
	v_cmp_ne_u32_e64 s6, 0, v5
	v_mov_b32_e32 v3, 0x7f
	s_cselect_b32 s14, 0x42, s11
	v_cmp_lt_u32_e64 s11, 0x7f800000, v8
	v_add_nc_u32_e32 v5, 0x7fff, v14
	v_floor_f32_e32 v4, v4
	v_cmp_gt_u32_e64 s8, 0x43800000, v8
	v_cmp_lt_u32_e64 s7, 0x3bffffff, v8
	v_cndmask_b32_e64 v21, 0x7e, v3, s11
	v_cndmask_b32_e64 v20, 0x7c, v3, s11
	v_lshrrev_b32_e32 v3, 16, v5
	v_fma_f32 v5, 0xcf800000, v4, |v2|
	v_cmp_o_f32_e64 s11, v14, v14
	v_ashrrev_i32_e32 v2, 31, v2
	v_cvt_u32_f32_e32 v4, v4
	v_cmp_lt_u32_e64 s0, 0x477fffff, v8
	v_cvt_u32_f32_e32 v5, v5
	v_cndmask_b32_e64 v16, 0x7fc0, v3, s11
	v_cvt_f16_f32_e32 v3, s23
	v_cmp_gt_u32_e64 s5, 0x47800000, v8
	v_cmp_lt_u32_e64 s4, 0x37ffffff, v8
	v_xor_b32_e32 v5, v5, v2
	v_cmp_lt_u32_e64 s2, 0x43efffff, v8
	v_and_b32_e32 v3, 0xffff, v3
	v_cmp_gt_u32_e64 s3, 0x3c800000, v8
	v_add_f32_e32 v17, 0x46800000, v8
	v_cmp_gt_u32_e64 s1, 0x38800000, v8
	v_add_f32_e32 v19, 0x43000000, v8
	v_cndmask_b32_e64 v0, v0, 0x20000000, vcc_lo
	v_cndmask_b32_e64 v1, v1, 0x7ff80000, vcc_lo
	s_and_b32 s11, vcc_lo, exec_lo
	v_cndmask_b32_e64 v3, v3, 0x7e00, vcc_lo
	v_xor_b32_e32 v4, v4, v2
	v_cvt_i32_f32_e32 v8, s23
	v_sub_co_u32 v9, vcc_lo, v5, v2
	s_delay_alu instid0(VALU_DEP_4) | instskip(NEXT) | instid1(VALU_DEP_4)
	v_cndmask_b32_e64 v15, v3, 0, s10
	v_sub_co_ci_u32_e32 v2, vcc_lo, v4, v2, vcc_lo
	s_delay_alu instid0(VALU_DEP_4) | instskip(NEXT) | instid1(VALU_DEP_4)
	v_and_b32_e32 v3, 0xff, v8
	v_and_b32_e32 v11, 0xff, v9
	v_cndmask_b32_e64 v1, v1, 0x38000000, s10
	v_cndmask_b32_e64 v0, v0, 0, s10
	;; [unrolled: 1-line block ×7, first 2 shown]
	s_cselect_b32 s11, 0x7f800001, s23
	s_and_b32 s23, s10, exec_lo
	s_mov_b32 s25, 0
	s_cselect_b32 s11, 0x400000, s11
	s_mov_b32 s26, -1
	s_mov_b32 s23, 0
	s_mov_b32 s24, exec_lo
	v_cmpx_gt_i32_e64 s22, v24
	s_cbranch_execz .LBB150_100
; %bb.2:
	v_mul_lo_u32 v2, v24, s18
	v_cmp_gt_i16_e32 vcc_lo, 11, v10
	s_delay_alu instid0(VALU_DEP_2) | instskip(SKIP_1) | instid1(VALU_DEP_1)
	v_ashrrev_i32_e32 v3, 31, v2
	v_add_co_u32 v8, s10, s16, v2
	v_add_co_ci_u32_e64 v9, s10, s17, v3, s10
	s_cbranch_vccnz .LBB150_9
; %bb.3:
	v_cmp_lt_i16_e32 vcc_lo, 25, v10
	s_cbranch_vccz .LBB150_12
; %bb.4:
	v_cmp_lt_i16_e32 vcc_lo, 28, v10
	s_cbranch_vccz .LBB150_13
	;; [unrolled: 3-line block ×4, first 2 shown]
; %bb.7:
	v_cmp_eq_u16_e32 vcc_lo, 46, v10
	s_mov_b32 s26, 0
	s_mov_b32 s10, -1
	s_cbranch_vccz .LBB150_16
; %bb.8:
	s_mov_b32 s23, -1
	s_mov_b32 s10, 0
	global_store_b32 v[8:9], v16, off
	s_branch .LBB150_16
.LBB150_9:
	s_mov_b32 s10, 0
	s_and_b32 vcc_lo, exec_lo, s26
	s_cbranch_vccnz .LBB150_60
.LBB150_10:
	s_and_not1_b32 vcc_lo, exec_lo, s23
	s_cbranch_vccnz .LBB150_98
.LBB150_11:
	v_add_nc_u32_e32 v24, 0x80, v24
	s_mov_b32 s26, -1
	s_branch .LBB150_99
.LBB150_12:
	s_mov_b32 s10, 0
	s_and_b32 vcc_lo, exec_lo, s26
	s_cbranch_vccnz .LBB150_38
	s_branch .LBB150_59
.LBB150_13:
	s_mov_b32 s10, 0
	s_branch .LBB150_24
.LBB150_14:
	s_mov_b32 s10, 0
	s_branch .LBB150_20
.LBB150_15:
	s_mov_b32 s10, 0
.LBB150_16:
	s_and_b32 vcc_lo, exec_lo, s26
	s_cbranch_vccz .LBB150_19
; %bb.17:
	v_cmp_eq_u16_e32 vcc_lo, 44, v10
	s_mov_b32 s10, -1
	s_cbranch_vccz .LBB150_19
; %bb.18:
	v_mov_b32_e32 v2, s19
	s_mov_b32 s23, -1
	s_mov_b32 s10, 0
	s_mov_b32 s26, 0
	global_store_b8 v[8:9], v2, off
	s_branch .LBB150_20
.LBB150_19:
	s_mov_b32 s26, 0
.LBB150_20:
	s_delay_alu instid0(SALU_CYCLE_1)
	s_and_b32 vcc_lo, exec_lo, s26
	s_cbranch_vccz .LBB150_23
; %bb.21:
	v_cmp_eq_u16_e32 vcc_lo, 29, v10
	s_mov_b32 s10, -1
	s_cbranch_vccz .LBB150_23
; %bb.22:
	s_mov_b32 s23, -1
	s_mov_b32 s10, 0
	global_store_b64 v[8:9], v[6:7], off
.LBB150_23:
	s_mov_b32 s26, 0
.LBB150_24:
	s_delay_alu instid0(SALU_CYCLE_1)
	s_and_b32 vcc_lo, exec_lo, s26
	s_cbranch_vccz .LBB150_37
; %bb.25:
	v_cmp_gt_i16_e32 vcc_lo, 27, v10
	s_mov_b32 s23, -1
	s_cbranch_vccnz .LBB150_31
; %bb.26:
	v_cmp_lt_i16_e32 vcc_lo, 27, v10
	s_cbranch_vccz .LBB150_28
; %bb.27:
	s_mov_b32 s23, 0
	global_store_b32 v[8:9], v23, off
.LBB150_28:
	s_and_not1_b32 vcc_lo, exec_lo, s23
	s_cbranch_vccnz .LBB150_30
; %bb.29:
	global_store_b16 v[8:9], v23, off
.LBB150_30:
	s_mov_b32 s23, 0
.LBB150_31:
	s_delay_alu instid0(SALU_CYCLE_1)
	s_and_not1_b32 vcc_lo, exec_lo, s23
	s_cbranch_vccnz .LBB150_36
; %bb.32:
	v_mov_b32_e32 v2, 0x80
	s_and_not1_b32 vcc_lo, exec_lo, s8
	s_cbranch_vccnz .LBB150_35
; %bb.33:
	v_mov_b32_e32 v2, 0
	s_or_b32 s23, s7, s9
	s_delay_alu instid0(SALU_CYCLE_1)
	s_and_not1_b32 vcc_lo, exec_lo, s23
	s_cbranch_vccnz .LBB150_35
; %bb.34:
	v_cndmask_b32_e64 v2, v22, s21, s7
.LBB150_35:
	global_store_b8 v[8:9], v2, off
.LBB150_36:
	s_mov_b32 s23, -1
.LBB150_37:
	s_branch .LBB150_59
.LBB150_38:
	v_cmp_lt_i16_e32 vcc_lo, 22, v10
	s_mov_b32 s26, -1
	s_cbranch_vccz .LBB150_51
; %bb.39:
	v_cmp_gt_i16_e32 vcc_lo, 24, v10
	s_mov_b32 s23, -1
	s_cbranch_vccnz .LBB150_48
; %bb.40:
	v_cmp_lt_i16_e32 vcc_lo, 24, v10
	s_cbranch_vccz .LBB150_45
; %bb.41:
	v_mov_b32_e32 v2, 0x80
	s_and_not1_b32 vcc_lo, exec_lo, s5
	s_cbranch_vccnz .LBB150_44
; %bb.42:
	v_mov_b32_e32 v2, 0
	s_or_b32 s23, s4, s6
	s_delay_alu instid0(SALU_CYCLE_1)
	s_and_not1_b32 vcc_lo, exec_lo, s23
	s_cbranch_vccnz .LBB150_44
; %bb.43:
	v_cndmask_b32_e64 v2, v18, s20, s4
.LBB150_44:
	s_mov_b32 s23, 0
	global_store_b8 v[8:9], v2, off
.LBB150_45:
	s_and_b32 vcc_lo, exec_lo, s23
	s_cbranch_vccz .LBB150_47
; %bb.46:
	v_cndmask_b32_e64 v2, s15, v17, s3
	s_delay_alu instid0(VALU_DEP_1)
	v_cndmask_b32_e64 v2, v2, v21, s2
	global_store_b8 v[8:9], v2, off
.LBB150_47:
	s_mov_b32 s23, 0
.LBB150_48:
	s_delay_alu instid0(SALU_CYCLE_1)
	s_and_not1_b32 vcc_lo, exec_lo, s23
	s_cbranch_vccnz .LBB150_50
; %bb.49:
	v_cndmask_b32_e64 v2, s14, v19, s1
	s_delay_alu instid0(VALU_DEP_1)
	v_cndmask_b32_e64 v2, v2, v20, s0
	global_store_b8 v[8:9], v2, off
.LBB150_50:
	s_mov_b32 s26, 0
	s_mov_b32 s23, -1
.LBB150_51:
	s_and_not1_b32 vcc_lo, exec_lo, s26
	s_cbranch_vccnz .LBB150_59
; %bb.52:
	v_cmp_lt_i16_e32 vcc_lo, 14, v10
	s_mov_b32 s26, -1
	s_cbranch_vccz .LBB150_56
; %bb.53:
	v_cmp_eq_u16_e32 vcc_lo, 15, v10
	s_mov_b32 s10, -1
	s_cbranch_vccz .LBB150_55
; %bb.54:
	s_mov_b32 s23, -1
	s_mov_b32 s10, 0
	global_store_b16 v[8:9], v16, off
.LBB150_55:
	s_mov_b32 s26, 0
.LBB150_56:
	s_delay_alu instid0(SALU_CYCLE_1)
	s_and_b32 vcc_lo, exec_lo, s26
	s_cbranch_vccz .LBB150_59
; %bb.57:
	v_cmp_eq_u16_e32 vcc_lo, 11, v10
	s_mov_b32 s10, -1
	s_cbranch_vccz .LBB150_59
; %bb.58:
	v_mov_b32_e32 v2, 1
	s_mov_b32 s23, -1
	s_mov_b32 s10, 0
	global_store_b8 v[8:9], v2, off
.LBB150_59:
	s_branch .LBB150_10
.LBB150_60:
	v_cmp_gt_i16_e32 vcc_lo, 5, v10
	s_mov_b32 s23, -1
	s_cbranch_vccnz .LBB150_81
; %bb.61:
	v_cmp_gt_i16_e32 vcc_lo, 8, v10
	s_cbranch_vccnz .LBB150_71
; %bb.62:
	v_cmp_gt_i16_e32 vcc_lo, 9, v10
	s_cbranch_vccnz .LBB150_68
; %bb.63:
	v_cmp_lt_i16_e32 vcc_lo, 9, v10
	s_cbranch_vccz .LBB150_65
; %bb.64:
	v_mov_b32_e32 v2, 0
	s_mov_b32 s23, 0
	s_delay_alu instid0(VALU_DEP_1)
	v_mov_b32_e32 v3, v2
	global_store_b128 v[8:9], v[0:3], off
.LBB150_65:
	s_and_not1_b32 vcc_lo, exec_lo, s23
	s_cbranch_vccnz .LBB150_67
; %bb.66:
	v_dual_mov_b32 v2, s11 :: v_dual_mov_b32 v3, 0
	global_store_b64 v[8:9], v[2:3], off
.LBB150_67:
	s_mov_b32 s23, 0
.LBB150_68:
	s_delay_alu instid0(SALU_CYCLE_1)
	s_and_not1_b32 vcc_lo, exec_lo, s23
	s_cbranch_vccnz .LBB150_70
; %bb.69:
	global_store_b32 v[8:9], v15, off
.LBB150_70:
	s_mov_b32 s23, 0
.LBB150_71:
	s_delay_alu instid0(SALU_CYCLE_1)
	s_and_not1_b32 vcc_lo, exec_lo, s23
	s_cbranch_vccnz .LBB150_80
; %bb.72:
	v_cmp_gt_i16_e32 vcc_lo, 6, v10
	s_mov_b32 s23, -1
	s_cbranch_vccnz .LBB150_78
; %bb.73:
	v_cmp_lt_i16_e32 vcc_lo, 6, v10
	s_cbranch_vccz .LBB150_75
; %bb.74:
	s_mov_b32 s23, 0
	global_store_b64 v[8:9], v[0:1], off
.LBB150_75:
	s_and_not1_b32 vcc_lo, exec_lo, s23
	s_cbranch_vccnz .LBB150_77
; %bb.76:
	global_store_b32 v[8:9], v14, off
.LBB150_77:
	s_mov_b32 s23, 0
.LBB150_78:
	s_delay_alu instid0(SALU_CYCLE_1)
	s_and_not1_b32 vcc_lo, exec_lo, s23
	s_cbranch_vccnz .LBB150_80
; %bb.79:
	global_store_b16 v[8:9], v15, off
.LBB150_80:
	s_mov_b32 s23, 0
.LBB150_81:
	s_delay_alu instid0(SALU_CYCLE_1)
	s_and_not1_b32 vcc_lo, exec_lo, s23
	s_cbranch_vccnz .LBB150_97
; %bb.82:
	v_cmp_gt_i16_e32 vcc_lo, 2, v10
	s_mov_b32 s23, -1
	s_cbranch_vccnz .LBB150_92
; %bb.83:
	v_cmp_gt_i16_e32 vcc_lo, 3, v10
	s_cbranch_vccnz .LBB150_89
; %bb.84:
	v_cmp_lt_i16_e32 vcc_lo, 3, v10
	s_cbranch_vccz .LBB150_86
; %bb.85:
	s_mov_b32 s23, 0
	global_store_b64 v[8:9], v[4:5], off
.LBB150_86:
	s_and_not1_b32 vcc_lo, exec_lo, s23
	s_cbranch_vccnz .LBB150_88
; %bb.87:
	global_store_b32 v[8:9], v13, off
.LBB150_88:
	s_mov_b32 s23, 0
.LBB150_89:
	s_delay_alu instid0(SALU_CYCLE_1)
	s_and_not1_b32 vcc_lo, exec_lo, s23
	s_cbranch_vccnz .LBB150_91
; %bb.90:
	global_store_b16 v[8:9], v13, off
.LBB150_91:
	s_mov_b32 s23, 0
.LBB150_92:
	s_delay_alu instid0(SALU_CYCLE_1)
	s_and_not1_b32 vcc_lo, exec_lo, s23
	s_cbranch_vccnz .LBB150_97
; %bb.93:
	v_cmp_lt_i16_e32 vcc_lo, 0, v10
	s_mov_b32 s23, -1
	s_cbranch_vccz .LBB150_95
; %bb.94:
	s_mov_b32 s23, 0
	global_store_b8 v[8:9], v12, off
.LBB150_95:
	s_and_not1_b32 vcc_lo, exec_lo, s23
	s_cbranch_vccnz .LBB150_97
; %bb.96:
	global_store_b8 v[8:9], v11, off
.LBB150_97:
	s_branch .LBB150_11
.LBB150_98:
	s_mov_b32 s26, 0
                                        ; implicit-def: $vgpr24
.LBB150_99:
	s_and_b32 s23, s10, exec_lo
	s_or_not1_b32 s26, s26, exec_lo
.LBB150_100:
	s_or_b32 exec_lo, exec_lo, s24
	s_mov_b32 s10, 0
                                        ; implicit-def: $vgpr8_vgpr9
	s_and_saveexec_b32 s24, s26
	s_cbranch_execz .LBB150_109
; %bb.101:
	s_mov_b32 s10, -1
	s_mov_b32 s25, s23
	s_mov_b32 s26, exec_lo
	v_cmpx_gt_i32_e64 s22, v24
	s_cbranch_execz .LBB150_324
; %bb.102:
	v_mul_lo_u32 v2, v24, s18
	v_cmp_gt_i16_e32 vcc_lo, 11, v10
	s_delay_alu instid0(VALU_DEP_2) | instskip(SKIP_1) | instid1(VALU_DEP_1)
	v_ashrrev_i32_e32 v3, 31, v2
	v_add_co_u32 v8, s10, s16, v2
	v_add_co_ci_u32_e64 v9, s10, s17, v3, s10
	s_cbranch_vccnz .LBB150_217
; %bb.103:
	v_cmp_lt_i16_e32 vcc_lo, 25, v10
	s_cbranch_vccz .LBB150_220
; %bb.104:
	v_cmp_lt_i16_e32 vcc_lo, 28, v10
	s_cbranch_vccz .LBB150_221
	;; [unrolled: 3-line block ×4, first 2 shown]
; %bb.107:
	v_cmp_eq_u16_e32 vcc_lo, 46, v10
	s_mov_b32 s27, 0
	s_mov_b32 s10, -1
	s_mov_b32 s25, 0
	s_cbranch_vccz .LBB150_239
; %bb.108:
	s_mov_b32 s25, -1
	s_mov_b32 s10, 0
	global_store_b32 v[8:9], v16, off
	s_branch .LBB150_239
.LBB150_109:
	s_or_b32 exec_lo, exec_lo, s24
	s_mov_b32 s0, 0
	s_and_saveexec_b32 s1, s23
	s_cbranch_execnz .LBB150_785
.LBB150_110:
	s_or_b32 exec_lo, exec_lo, s1
	s_and_saveexec_b32 s1, s25
	s_delay_alu instid0(SALU_CYCLE_1)
	s_xor_b32 s1, exec_lo, s1
	s_cbranch_execz .LBB150_112
.LBB150_111:
	v_mov_b32_e32 v2, 1
	global_store_b8 v[8:9], v2, off
.LBB150_112:
	s_or_b32 exec_lo, exec_lo, s1
	s_and_saveexec_b32 s1, s10
	s_delay_alu instid0(SALU_CYCLE_1)
	s_xor_b32 s1, exec_lo, s1
	s_cbranch_execz .LBB150_150
; %bb.113:
	v_cmp_gt_i16_e32 vcc_lo, 5, v10
	s_mov_b32 s2, -1
	s_cbranch_vccnz .LBB150_134
; %bb.114:
	v_cmp_gt_i16_e32 vcc_lo, 8, v10
	s_cbranch_vccnz .LBB150_124
; %bb.115:
	v_cmp_gt_i16_e32 vcc_lo, 9, v10
	s_cbranch_vccnz .LBB150_121
; %bb.116:
	v_cmp_lt_i16_e32 vcc_lo, 9, v10
	s_cbranch_vccz .LBB150_118
; %bb.117:
	v_mov_b32_e32 v2, 0
	s_mov_b32 s2, 0
	s_delay_alu instid0(VALU_DEP_1)
	v_mov_b32_e32 v3, v2
	global_store_b128 v[8:9], v[0:3], off
.LBB150_118:
	s_and_not1_b32 vcc_lo, exec_lo, s2
	s_cbranch_vccnz .LBB150_120
; %bb.119:
	v_dual_mov_b32 v2, s11 :: v_dual_mov_b32 v3, 0
	global_store_b64 v[8:9], v[2:3], off
.LBB150_120:
	s_mov_b32 s2, 0
.LBB150_121:
	s_delay_alu instid0(SALU_CYCLE_1)
	s_and_not1_b32 vcc_lo, exec_lo, s2
	s_cbranch_vccnz .LBB150_123
; %bb.122:
	global_store_b32 v[8:9], v15, off
.LBB150_123:
	s_mov_b32 s2, 0
.LBB150_124:
	s_delay_alu instid0(SALU_CYCLE_1)
	s_and_not1_b32 vcc_lo, exec_lo, s2
	s_cbranch_vccnz .LBB150_133
; %bb.125:
	v_cmp_gt_i16_e32 vcc_lo, 6, v10
	s_mov_b32 s2, -1
	s_cbranch_vccnz .LBB150_131
; %bb.126:
	v_cmp_lt_i16_e32 vcc_lo, 6, v10
	s_cbranch_vccz .LBB150_128
; %bb.127:
	s_mov_b32 s2, 0
	global_store_b64 v[8:9], v[0:1], off
.LBB150_128:
	s_and_not1_b32 vcc_lo, exec_lo, s2
	s_cbranch_vccnz .LBB150_130
; %bb.129:
	global_store_b32 v[8:9], v14, off
.LBB150_130:
	s_mov_b32 s2, 0
.LBB150_131:
	s_delay_alu instid0(SALU_CYCLE_1)
	s_and_not1_b32 vcc_lo, exec_lo, s2
	s_cbranch_vccnz .LBB150_133
; %bb.132:
	global_store_b16 v[8:9], v15, off
.LBB150_133:
	s_mov_b32 s2, 0
.LBB150_134:
	s_delay_alu instid0(SALU_CYCLE_1)
	s_and_not1_b32 vcc_lo, exec_lo, s2
	s_cbranch_vccnz .LBB150_150
; %bb.135:
	v_cmp_gt_i16_e32 vcc_lo, 2, v10
	s_mov_b32 s2, -1
	s_cbranch_vccnz .LBB150_145
; %bb.136:
	v_cmp_gt_i16_e32 vcc_lo, 3, v10
	s_cbranch_vccnz .LBB150_142
; %bb.137:
	v_cmp_lt_i16_e32 vcc_lo, 3, v10
	s_cbranch_vccz .LBB150_139
; %bb.138:
	s_mov_b32 s2, 0
	global_store_b64 v[8:9], v[4:5], off
.LBB150_139:
	s_and_not1_b32 vcc_lo, exec_lo, s2
	s_cbranch_vccnz .LBB150_141
; %bb.140:
	global_store_b32 v[8:9], v13, off
.LBB150_141:
	s_mov_b32 s2, 0
.LBB150_142:
	s_delay_alu instid0(SALU_CYCLE_1)
	s_and_not1_b32 vcc_lo, exec_lo, s2
	s_cbranch_vccnz .LBB150_144
; %bb.143:
	global_store_b16 v[8:9], v13, off
.LBB150_144:
	s_mov_b32 s2, 0
.LBB150_145:
	s_delay_alu instid0(SALU_CYCLE_1)
	s_and_not1_b32 vcc_lo, exec_lo, s2
	s_cbranch_vccnz .LBB150_150
; %bb.146:
	v_cmp_lt_i16_e32 vcc_lo, 0, v10
	s_mov_b32 s2, -1
	s_cbranch_vccz .LBB150_148
; %bb.147:
	s_mov_b32 s2, 0
	global_store_b8 v[8:9], v12, off
.LBB150_148:
	s_and_not1_b32 vcc_lo, exec_lo, s2
	s_cbranch_vccnz .LBB150_150
; %bb.149:
	global_store_b8 v[8:9], v11, off
.LBB150_150:
	s_or_b32 exec_lo, exec_lo, s1
	s_delay_alu instid0(SALU_CYCLE_1)
	s_and_b32 s2, s0, exec_lo
                                        ; implicit-def: $vgpr10
                                        ; implicit-def: $vgpr24
.LBB150_151:
	s_or_saveexec_b32 s3, s13
	s_mov_b32 s0, 0
                                        ; implicit-def: $vgpr0_vgpr1
	s_xor_b32 exec_lo, exec_lo, s3
	s_cbranch_execz .LBB150_679
; %bb.152:
	v_mul_lo_u32 v2, s18, v24
	v_cmp_gt_i16_e32 vcc_lo, 11, v10
	s_delay_alu instid0(VALU_DEP_2) | instskip(SKIP_1) | instid1(VALU_DEP_1)
	v_ashrrev_i32_e32 v1, 31, v2
	v_add_co_u32 v0, s0, s16, v2
	v_add_co_ci_u32_e64 v1, s0, s17, v1, s0
	s_cbranch_vccnz .LBB150_178
; %bb.153:
	v_cmp_lt_i16_e32 vcc_lo, 25, v10
	s_mov_b32 s1, -1
	s_mov_b32 s5, 0
	s_mov_b32 s0, 0
	;; [unrolled: 1-line block ×3, first 2 shown]
	s_cbranch_vccz .LBB150_231
; %bb.154:
	v_cmp_lt_i16_e32 vcc_lo, 28, v10
	s_cbranch_vccz .LBB150_167
; %bb.155:
	v_cmp_lt_i16_e32 vcc_lo, 43, v10
	;; [unrolled: 3-line block ×3, first 2 shown]
	s_cbranch_vccz .LBB150_159
; %bb.157:
	v_cmp_eq_u16_e32 vcc_lo, 46, v10
	s_mov_b32 s4, -1
	s_mov_b32 s1, 0
	s_cbranch_vccz .LBB150_159
; %bb.158:
	v_and_b32_e64 v3, 0xff, s19
	s_and_b32 s0, s19, 0xff
	s_mov_b32 s4, 0
	s_lshl_b32 s0, s0, 23
	s_delay_alu instid0(SALU_CYCLE_1) | instskip(SKIP_2) | instid1(VALU_DEP_2)
	v_mov_b32_e32 v4, s0
	v_cmp_ne_u16_e32 vcc_lo, 0xff, v3
	s_mov_b32 s0, -1
	v_cndmask_b32_e32 v4, 0x7f800001, v4, vcc_lo
	v_cmp_ne_u16_e32 vcc_lo, 0, v3
	s_delay_alu instid0(VALU_DEP_2) | instskip(NEXT) | instid1(VALU_DEP_1)
	v_cndmask_b32_e32 v3, 0x400000, v4, vcc_lo
	v_add_nc_u32_e32 v4, 0x7fff, v3
	v_cmp_o_f32_e32 vcc_lo, v3, v3
	s_delay_alu instid0(VALU_DEP_2) | instskip(NEXT) | instid1(VALU_DEP_1)
	v_lshrrev_b32_e32 v4, 16, v4
	v_cndmask_b32_e32 v3, 0x7fc0, v4, vcc_lo
	global_store_b32 v[0:1], v3, off
.LBB150_159:
	s_and_b32 vcc_lo, exec_lo, s1
	s_cbranch_vccz .LBB150_162
; %bb.160:
	v_cmp_eq_u16_e32 vcc_lo, 44, v10
	s_mov_b32 s4, -1
	s_cbranch_vccz .LBB150_162
; %bb.161:
	v_mov_b32_e32 v3, s19
	s_mov_b32 s4, 0
	s_mov_b32 s0, -1
	global_store_b8 v[0:1], v3, off
.LBB150_162:
	s_mov_b32 s1, 0
.LBB150_163:
	s_delay_alu instid0(SALU_CYCLE_1)
	s_and_b32 vcc_lo, exec_lo, s1
	s_cbranch_vccz .LBB150_166
; %bb.164:
	v_cmp_eq_u16_e32 vcc_lo, 29, v10
	s_mov_b32 s4, -1
	s_cbranch_vccz .LBB150_166
; %bb.165:
	s_and_b32 s0, s19, 0xff
	v_and_b32_e64 v5, 0xff, s19
	s_lshl_b32 s0, s0, 23
	s_mov_b32 s4, 0
	v_trunc_f32_e32 v3, s0
	s_mov_b32 s0, -1
	v_cmp_ne_u16_e32 vcc_lo, 0, v5
	s_delay_alu instid0(VALU_DEP_2) | instskip(NEXT) | instid1(VALU_DEP_1)
	v_mul_f32_e32 v4, 0x2f800000, v3
	v_floor_f32_e32 v4, v4
	s_delay_alu instid0(VALU_DEP_1) | instskip(SKIP_1) | instid1(VALU_DEP_1)
	v_fmamk_f32 v3, v4, 0xcf800000, v3
	v_cvt_u32_f32_e32 v4, v4
	v_cndmask_b32_e32 v4, 0, v4, vcc_lo
	s_delay_alu instid0(VALU_DEP_3) | instskip(NEXT) | instid1(VALU_DEP_1)
	v_cvt_u32_f32_e32 v3, v3
	v_cndmask_b32_e32 v3, 0, v3, vcc_lo
	global_store_b64 v[0:1], v[3:4], off
.LBB150_166:
	s_mov_b32 s1, 0
.LBB150_167:
	s_delay_alu instid0(SALU_CYCLE_1)
	s_and_b32 vcc_lo, exec_lo, s1
	s_cbranch_vccz .LBB150_230
; %bb.168:
	v_cmp_gt_i16_e32 vcc_lo, 27, v10
	s_mov_b32 s0, -1
	s_cbranch_vccnz .LBB150_174
; %bb.169:
	v_cmp_lt_i16_e32 vcc_lo, 27, v10
	s_cbranch_vccz .LBB150_171
; %bb.170:
	v_and_b32_e64 v3, 0xff, s19
	s_and_b32 s0, s19, 0xff
	s_delay_alu instid0(SALU_CYCLE_1) | instskip(NEXT) | instid1(SALU_CYCLE_1)
	s_lshl_b32 s0, s0, 23
	v_cvt_u32_f32_e32 v4, s0
	s_delay_alu instid0(VALU_DEP_2) | instskip(SKIP_1) | instid1(VALU_DEP_2)
	v_cmp_ne_u16_e32 vcc_lo, 0, v3
	s_mov_b32 s0, 0
	v_cndmask_b32_e32 v3, 0, v4, vcc_lo
	global_store_b32 v[0:1], v3, off
.LBB150_171:
	s_and_not1_b32 vcc_lo, exec_lo, s0
	s_cbranch_vccnz .LBB150_173
; %bb.172:
	v_and_b32_e64 v3, 0xff, s19
	s_and_b32 s0, s19, 0xff
	s_delay_alu instid0(SALU_CYCLE_1) | instskip(NEXT) | instid1(SALU_CYCLE_1)
	s_lshl_b32 s0, s0, 23
	v_cvt_u32_f32_e32 v4, s0
	s_delay_alu instid0(VALU_DEP_2) | instskip(NEXT) | instid1(VALU_DEP_2)
	v_cmp_ne_u16_e32 vcc_lo, 0, v3
	v_cndmask_b32_e32 v3, 0, v4, vcc_lo
	global_store_b16 v[0:1], v3, off
.LBB150_173:
	s_mov_b32 s0, 0
.LBB150_174:
	s_delay_alu instid0(SALU_CYCLE_1)
	s_and_not1_b32 vcc_lo, exec_lo, s0
	s_cbranch_vccnz .LBB150_229
; %bb.175:
	v_and_b32_e64 v3, 0xff, s19
	v_mov_b32_e32 v4, 0x7f800001
	s_and_b32 s0, s19, 0xff
	v_mov_b32_e32 v5, 0x80
	s_lshl_b32 s7, s0, 23
	v_cmp_eq_u16_e64 s1, 0xff, v3
	v_cmp_eq_u16_e64 s0, 0, v3
	s_mov_b32 s6, 0
	s_delay_alu instid0(VALU_DEP_2) | instskip(NEXT) | instid1(VALU_DEP_1)
	v_cndmask_b32_e64 v4, |s7|, v4, s1
	v_cndmask_b32_e64 v3, v4, 0x400000, s0
	s_delay_alu instid0(VALU_DEP_1)
	v_cmp_lt_u32_e32 vcc_lo, 0x437fffff, v3
	s_cbranch_vccnz .LBB150_228
; %bb.176:
	v_cmp_lt_u32_e32 vcc_lo, 0x3bffffff, v3
	s_cbranch_vccz .LBB150_223
; %bb.177:
	s_add_i32 s6, s7, 0x487ffff
	s_mov_b32 s7, 0
	s_lshr_b32 s6, s6, 20
	s_and_b32 s1, s1, exec_lo
	s_cselect_b32 s1, 0x840, s6
	s_and_b32 s0, s0, exec_lo
	s_cselect_b32 s0, 0x4c, s1
	s_mov_b32 s6, -1
	s_branch .LBB150_224
.LBB150_178:
	s_mov_b32 s0, 0
	s_mov_b32 s4, s2
	s_cbranch_execz .LBB150_380
; %bb.179:
	v_cmp_gt_i16_e32 vcc_lo, 5, v10
	s_mov_b32 s0, -1
	s_cbranch_vccnz .LBB150_200
; %bb.180:
	v_cmp_gt_i16_e32 vcc_lo, 8, v10
	s_cbranch_vccnz .LBB150_190
; %bb.181:
	v_cmp_gt_i16_e32 vcc_lo, 9, v10
	s_cbranch_vccnz .LBB150_187
; %bb.182:
	v_cmp_lt_i16_e32 vcc_lo, 9, v10
	s_cbranch_vccz .LBB150_184
; %bb.183:
	s_and_b32 s0, s19, 0xff
	v_and_b32_e64 v5, 0xff, s19
	s_lshl_b32 s0, s0, 23
	s_delay_alu instid0(SALU_CYCLE_1) | instskip(SKIP_1) | instid1(VALU_DEP_2)
	v_cvt_f64_f32_e32 v[3:4], s0
	s_mov_b32 s0, 0
	v_cmp_ne_u16_e32 vcc_lo, 0xff, v5
	s_delay_alu instid0(VALU_DEP_2) | instskip(NEXT) | instid1(VALU_DEP_3)
	v_cndmask_b32_e32 v3, 0x20000000, v3, vcc_lo
	v_cndmask_b32_e32 v4, 0x7ff80000, v4, vcc_lo
	v_cmp_ne_u16_e32 vcc_lo, 0, v5
	s_delay_alu instid0(VALU_DEP_2) | instskip(NEXT) | instid1(VALU_DEP_1)
	v_dual_mov_b32 v5, 0 :: v_dual_cndmask_b32 v4, 0x38000000, v4
	v_dual_mov_b32 v6, v5 :: v_dual_cndmask_b32 v3, 0, v3
	global_store_b128 v[0:1], v[3:6], off
.LBB150_184:
	s_and_not1_b32 vcc_lo, exec_lo, s0
	s_cbranch_vccnz .LBB150_186
; %bb.185:
	v_and_b32_e64 v3, 0xff, s19
	s_and_b32 s1, s19, 0xff
	v_mov_b32_e32 v4, 0
	s_lshl_b32 s1, s1, 23
	s_delay_alu instid0(VALU_DEP_2) | instskip(SKIP_3) | instid1(VALU_DEP_1)
	v_cmp_ne_u16_e32 vcc_lo, 0xff, v3
	v_cmp_ne_u16_e64 s0, 0, v3
	s_and_b32 s5, vcc_lo, exec_lo
	s_cselect_b32 s1, s1, 0x7f800001
	s_and_b32 s0, s0, exec_lo
	s_cselect_b32 s0, s1, 0x400000
	s_delay_alu instid0(SALU_CYCLE_1)
	v_mov_b32_e32 v3, s0
	global_store_b64 v[0:1], v[3:4], off
.LBB150_186:
	s_mov_b32 s0, 0
.LBB150_187:
	s_delay_alu instid0(SALU_CYCLE_1)
	s_and_not1_b32 vcc_lo, exec_lo, s0
	s_cbranch_vccnz .LBB150_189
; %bb.188:
	s_and_b32 s0, s19, 0xff
	v_and_b32_e64 v4, 0xff, s19
	s_lshl_b32 s0, s0, 23
	s_delay_alu instid0(SALU_CYCLE_1) | instskip(NEXT) | instid1(VALU_DEP_2)
	v_cvt_f16_f32_e32 v3, s0
	v_cmp_ne_u16_e32 vcc_lo, 0xff, v4
	s_delay_alu instid0(VALU_DEP_2) | instskip(NEXT) | instid1(VALU_DEP_1)
	v_and_b32_e32 v3, 0xffff, v3
	v_cndmask_b32_e32 v3, 0x7e00, v3, vcc_lo
	v_cmp_ne_u16_e32 vcc_lo, 0, v4
	s_delay_alu instid0(VALU_DEP_2)
	v_cndmask_b32_e32 v3, 0, v3, vcc_lo
	global_store_b32 v[0:1], v3, off
.LBB150_189:
	s_mov_b32 s0, 0
.LBB150_190:
	s_delay_alu instid0(SALU_CYCLE_1)
	s_and_not1_b32 vcc_lo, exec_lo, s0
	s_cbranch_vccnz .LBB150_199
; %bb.191:
	v_cmp_gt_i16_e32 vcc_lo, 6, v10
	s_mov_b32 s0, -1
	s_cbranch_vccnz .LBB150_197
; %bb.192:
	v_cmp_lt_i16_e32 vcc_lo, 6, v10
	s_cbranch_vccz .LBB150_194
; %bb.193:
	s_and_b32 s0, s19, 0xff
	v_and_b32_e64 v5, 0xff, s19
	s_lshl_b32 s0, s0, 23
	s_delay_alu instid0(SALU_CYCLE_1) | instskip(SKIP_1) | instid1(VALU_DEP_2)
	v_cvt_f64_f32_e32 v[3:4], s0
	s_mov_b32 s0, 0
	v_cmp_ne_u16_e32 vcc_lo, 0xff, v5
	s_delay_alu instid0(VALU_DEP_2) | instskip(NEXT) | instid1(VALU_DEP_3)
	v_cndmask_b32_e32 v3, 0x20000000, v3, vcc_lo
	v_cndmask_b32_e32 v4, 0x7ff80000, v4, vcc_lo
	v_cmp_ne_u16_e32 vcc_lo, 0, v5
	s_delay_alu instid0(VALU_DEP_2) | instskip(NEXT) | instid1(VALU_DEP_4)
	v_cndmask_b32_e32 v4, 0x38000000, v4, vcc_lo
	v_cndmask_b32_e32 v3, 0, v3, vcc_lo
	global_store_b64 v[0:1], v[3:4], off
.LBB150_194:
	s_and_not1_b32 vcc_lo, exec_lo, s0
	s_cbranch_vccnz .LBB150_196
; %bb.195:
	v_and_b32_e64 v3, 0xff, s19
	s_and_b32 s0, s19, 0xff
	s_delay_alu instid0(SALU_CYCLE_1) | instskip(NEXT) | instid1(SALU_CYCLE_1)
	s_lshl_b32 s0, s0, 23
	v_mov_b32_e32 v4, s0
	s_delay_alu instid0(VALU_DEP_2) | instskip(NEXT) | instid1(VALU_DEP_2)
	v_cmp_ne_u16_e32 vcc_lo, 0xff, v3
	v_cndmask_b32_e32 v4, 0x7f800001, v4, vcc_lo
	v_cmp_ne_u16_e32 vcc_lo, 0, v3
	s_delay_alu instid0(VALU_DEP_2)
	v_cndmask_b32_e32 v3, 0x400000, v4, vcc_lo
	global_store_b32 v[0:1], v3, off
.LBB150_196:
	s_mov_b32 s0, 0
.LBB150_197:
	s_delay_alu instid0(SALU_CYCLE_1)
	s_and_not1_b32 vcc_lo, exec_lo, s0
	s_cbranch_vccnz .LBB150_199
; %bb.198:
	v_and_b32_e64 v3, 0xff, s19
	s_and_b32 s0, s19, 0xff
	s_delay_alu instid0(SALU_CYCLE_1) | instskip(NEXT) | instid1(SALU_CYCLE_1)
	s_lshl_b32 s0, s0, 23
	v_cvt_f16_f32_e32 v4, s0
	s_delay_alu instid0(VALU_DEP_2) | instskip(NEXT) | instid1(VALU_DEP_2)
	v_cmp_ne_u16_e32 vcc_lo, 0xff, v3
	v_cndmask_b32_e32 v4, 0x7e00, v4, vcc_lo
	v_cmp_ne_u16_e32 vcc_lo, 0, v3
	s_delay_alu instid0(VALU_DEP_2)
	v_cndmask_b32_e32 v3, 0, v4, vcc_lo
	global_store_b16 v[0:1], v3, off
.LBB150_199:
	s_mov_b32 s0, 0
.LBB150_200:
	s_delay_alu instid0(SALU_CYCLE_1)
	s_and_not1_b32 vcc_lo, exec_lo, s0
	s_cbranch_vccnz .LBB150_216
; %bb.201:
	v_cmp_gt_i16_e32 vcc_lo, 2, v10
	s_mov_b32 s0, -1
	s_cbranch_vccnz .LBB150_211
; %bb.202:
	v_cmp_gt_i16_e32 vcc_lo, 3, v10
	s_cbranch_vccnz .LBB150_208
; %bb.203:
	v_cmp_lt_i16_e32 vcc_lo, 3, v10
	s_cbranch_vccz .LBB150_205
; %bb.204:
	s_and_b32 s0, s19, 0xff
	v_and_b32_e64 v6, 0xff, s19
	s_lshl_b32 s0, s0, 23
	s_delay_alu instid0(SALU_CYCLE_1) | instskip(SKIP_1) | instid1(VALU_DEP_1)
	v_trunc_f32_e32 v3, s0
	s_mov_b32 s0, 0
	v_mul_f32_e64 v4, 0x2f800000, |v3|
	s_delay_alu instid0(VALU_DEP_1) | instskip(NEXT) | instid1(VALU_DEP_1)
	v_floor_f32_e32 v4, v4
	v_fma_f32 v5, 0xcf800000, v4, |v3|
	v_ashrrev_i32_e32 v3, 31, v3
	v_cvt_u32_f32_e32 v4, v4
	s_delay_alu instid0(VALU_DEP_3) | instskip(NEXT) | instid1(VALU_DEP_2)
	v_cvt_u32_f32_e32 v5, v5
	v_xor_b32_e32 v4, v4, v3
	s_delay_alu instid0(VALU_DEP_2) | instskip(NEXT) | instid1(VALU_DEP_1)
	v_xor_b32_e32 v5, v5, v3
	v_sub_co_u32 v5, vcc_lo, v5, v3
	s_delay_alu instid0(VALU_DEP_3) | instskip(SKIP_1) | instid1(VALU_DEP_2)
	v_sub_co_ci_u32_e32 v3, vcc_lo, v4, v3, vcc_lo
	v_cmp_ne_u16_e32 vcc_lo, 0, v6
	v_dual_cndmask_b32 v4, 0, v3 :: v_dual_cndmask_b32 v3, 0, v5
	global_store_b64 v[0:1], v[3:4], off
.LBB150_205:
	s_and_not1_b32 vcc_lo, exec_lo, s0
	s_cbranch_vccnz .LBB150_207
; %bb.206:
	v_and_b32_e64 v3, 0xff, s19
	s_and_b32 s0, s19, 0xff
	s_delay_alu instid0(SALU_CYCLE_1) | instskip(NEXT) | instid1(SALU_CYCLE_1)
	s_lshl_b32 s0, s0, 23
	v_cvt_i32_f32_e32 v4, s0
	s_delay_alu instid0(VALU_DEP_2) | instskip(NEXT) | instid1(VALU_DEP_2)
	v_cmp_ne_u16_e32 vcc_lo, 0, v3
	v_cndmask_b32_e32 v3, 0, v4, vcc_lo
	global_store_b32 v[0:1], v3, off
.LBB150_207:
	s_mov_b32 s0, 0
.LBB150_208:
	s_delay_alu instid0(SALU_CYCLE_1)
	s_and_not1_b32 vcc_lo, exec_lo, s0
	s_cbranch_vccnz .LBB150_210
; %bb.209:
	v_and_b32_e64 v3, 0xff, s19
	s_and_b32 s0, s19, 0xff
	s_delay_alu instid0(SALU_CYCLE_1) | instskip(NEXT) | instid1(SALU_CYCLE_1)
	s_lshl_b32 s0, s0, 23
	v_cvt_i32_f32_e32 v4, s0
	s_delay_alu instid0(VALU_DEP_2) | instskip(NEXT) | instid1(VALU_DEP_2)
	v_cmp_ne_u16_e32 vcc_lo, 0, v3
	v_cndmask_b32_e32 v3, 0, v4, vcc_lo
	global_store_b16 v[0:1], v3, off
.LBB150_210:
	s_mov_b32 s0, 0
.LBB150_211:
	s_delay_alu instid0(SALU_CYCLE_1)
	s_and_not1_b32 vcc_lo, exec_lo, s0
	s_cbranch_vccnz .LBB150_216
; %bb.212:
	v_cmp_lt_i16_e32 vcc_lo, 0, v10
	s_mov_b32 s0, -1
	s_cbranch_vccz .LBB150_214
; %bb.213:
	v_and_b32_e64 v3, 0xff, s19
	s_and_b32 s0, s19, 0xff
	s_delay_alu instid0(SALU_CYCLE_1) | instskip(NEXT) | instid1(SALU_CYCLE_1)
	s_lshl_b32 s0, s0, 23
	v_cvt_i32_f32_e32 v4, s0
	s_delay_alu instid0(VALU_DEP_2) | instskip(SKIP_1) | instid1(VALU_DEP_2)
	v_cmp_ne_u16_e32 vcc_lo, 0, v3
	s_mov_b32 s0, 0
	v_cndmask_b32_e32 v3, 0, v4, vcc_lo
	global_store_b8 v[0:1], v3, off
.LBB150_214:
	s_and_not1_b32 vcc_lo, exec_lo, s0
	s_cbranch_vccnz .LBB150_216
; %bb.215:
	s_and_b32 s0, s19, 0xff
	v_and_b32_e64 v5, 0xff, s19
	s_lshl_b32 s0, s0, 23
	s_delay_alu instid0(SALU_CYCLE_1) | instskip(NEXT) | instid1(VALU_DEP_2)
	v_trunc_f32_e32 v3, s0
	v_cmp_ne_u16_e32 vcc_lo, 0, v5
	s_delay_alu instid0(VALU_DEP_2) | instskip(NEXT) | instid1(VALU_DEP_1)
	v_mul_f32_e64 v4, 0x2f800000, |v3|
	v_floor_f32_e32 v4, v4
	s_delay_alu instid0(VALU_DEP_1) | instskip(SKIP_1) | instid1(VALU_DEP_2)
	v_fma_f32 v4, 0xcf800000, v4, |v3|
	v_ashrrev_i32_e32 v3, 31, v3
	v_cvt_u32_f32_e32 v4, v4
	s_delay_alu instid0(VALU_DEP_1) | instskip(NEXT) | instid1(VALU_DEP_1)
	v_xor_b32_e32 v4, v4, v3
	v_sub_nc_u32_e32 v3, v4, v3
	s_delay_alu instid0(VALU_DEP_1)
	v_cndmask_b32_e32 v3, 0, v3, vcc_lo
	global_store_b8 v[0:1], v3, off
.LBB150_216:
	s_branch .LBB150_381
.LBB150_217:
	s_mov_b32 s25, 0
	s_mov_b32 s10, s23
	s_cbranch_execnz .LBB150_284
.LBB150_218:
	s_and_not1_b32 vcc_lo, exec_lo, s25
	s_cbranch_vccnz .LBB150_322
.LBB150_219:
	v_add_nc_u32_e32 v24, 0x80, v24
	s_mov_b32 s27, -1
	s_branch .LBB150_323
.LBB150_220:
	s_mov_b32 s27, -1
	s_mov_b32 s25, 0
	s_mov_b32 s10, s23
	s_branch .LBB150_261
.LBB150_221:
	s_mov_b32 s27, -1
	s_mov_b32 s25, 0
	s_mov_b32 s10, s23
	s_branch .LBB150_247
.LBB150_222:
	s_mov_b32 s27, -1
	s_mov_b32 s25, 0
	s_mov_b32 s10, s23
	s_branch .LBB150_243
.LBB150_223:
	s_mov_b32 s7, -1
                                        ; implicit-def: $sgpr0
.LBB150_224:
	v_mov_b32_e32 v4, s0
	s_and_not1_b32 vcc_lo, exec_lo, s7
                                        ; implicit-def: $sgpr0
	s_cbranch_vccnz .LBB150_226
; %bb.225:
	v_add_f32_e32 v3, 0x46000000, v3
	s_mov_b32 s0, 0
	s_delay_alu instid0(VALU_DEP_1) | instskip(NEXT) | instid1(VALU_DEP_1)
	v_and_b32_e32 v4, 0xff, v3
	v_cmp_ne_u32_e64 s6, 0, v4
.LBB150_226:
	v_mov_b32_e32 v5, s0
	s_delay_alu instid0(VALU_DEP_2)
	s_and_not1_b32 vcc_lo, exec_lo, s6
	s_cbranch_vccnz .LBB150_228
; %bb.227:
	v_mov_b32_e32 v5, v4
.LBB150_228:
	global_store_b8 v[0:1], v5, off
.LBB150_229:
	s_mov_b32 s0, -1
.LBB150_230:
	s_mov_b32 s1, 0
.LBB150_231:
	s_delay_alu instid0(SALU_CYCLE_1)
	s_and_b32 vcc_lo, exec_lo, s1
	s_cbranch_vccz .LBB150_376
; %bb.232:
	v_cmp_lt_i16_e32 vcc_lo, 22, v10
	s_mov_b32 s1, -1
	s_cbranch_vccz .LBB150_369
; %bb.233:
	v_cmp_gt_i16_e32 vcc_lo, 24, v10
	s_mov_b32 s0, -1
	s_cbranch_vccnz .LBB150_356
; %bb.234:
	v_cmp_lt_i16_e32 vcc_lo, 24, v10
	s_mov_b32 s5, -1
	s_cbranch_vccz .LBB150_343
; %bb.235:
	v_and_b32_e64 v3, 0xff, s19
	v_mov_b32_e32 v4, 0x7f800001
	s_and_b32 s0, s19, 0xff
	v_mov_b32_e32 v5, 0x80
	s_lshl_b32 s6, s0, 23
	v_cmp_eq_u16_e64 s1, 0xff, v3
	v_cmp_eq_u16_e64 s0, 0, v3
	s_mov_b32 s5, 0
	s_delay_alu instid0(VALU_DEP_2) | instskip(NEXT) | instid1(VALU_DEP_1)
	v_cndmask_b32_e64 v4, |s6|, v4, s1
	v_cndmask_b32_e64 v3, v4, 0x400000, s0
	s_delay_alu instid0(VALU_DEP_1)
	v_cmp_lt_u32_e32 vcc_lo, 0x477fffff, v3
	s_cbranch_vccnz .LBB150_342
; %bb.236:
	v_cmp_lt_u32_e32 vcc_lo, 0x37ffffff, v3
	s_cbranch_vccz .LBB150_337
; %bb.237:
	s_add_i32 s7, s6, 0x88fffff
	s_mov_b32 s6, 0
	s_lshr_b32 s7, s7, 21
	s_and_b32 s1, s1, exec_lo
	s_cselect_b32 s1, 0x440, s7
	s_and_b32 s0, s0, exec_lo
	s_cselect_b32 s1, 0x46, s1
	s_mov_b32 s0, -1
	s_branch .LBB150_338
.LBB150_238:
	s_mov_b32 s27, -1
	s_mov_b32 s25, 0
	s_mov_b32 s10, s23
.LBB150_239:
	s_and_b32 vcc_lo, exec_lo, s27
	s_cbranch_vccz .LBB150_242
; %bb.240:
	v_cmp_eq_u16_e32 vcc_lo, 44, v10
	s_mov_b32 s10, -1
	s_cbranch_vccz .LBB150_242
; %bb.241:
	v_mov_b32_e32 v2, s19
	s_mov_b32 s25, -1
	s_mov_b32 s10, 0
	global_store_b8 v[8:9], v2, off
.LBB150_242:
	s_mov_b32 s27, 0
.LBB150_243:
	s_delay_alu instid0(SALU_CYCLE_1)
	s_and_b32 vcc_lo, exec_lo, s27
	s_cbranch_vccz .LBB150_246
; %bb.244:
	v_cmp_eq_u16_e32 vcc_lo, 29, v10
	s_mov_b32 s10, -1
	s_cbranch_vccz .LBB150_246
; %bb.245:
	s_mov_b32 s25, -1
	s_mov_b32 s10, 0
	global_store_b64 v[8:9], v[6:7], off
.LBB150_246:
	s_mov_b32 s27, 0
.LBB150_247:
	s_delay_alu instid0(SALU_CYCLE_1)
	s_and_b32 vcc_lo, exec_lo, s27
	s_cbranch_vccz .LBB150_260
; %bb.248:
	v_cmp_gt_i16_e32 vcc_lo, 27, v10
	s_mov_b32 s25, -1
	s_cbranch_vccnz .LBB150_254
; %bb.249:
	v_cmp_lt_i16_e32 vcc_lo, 27, v10
	s_cbranch_vccz .LBB150_251
; %bb.250:
	s_mov_b32 s25, 0
	global_store_b32 v[8:9], v23, off
.LBB150_251:
	s_and_not1_b32 vcc_lo, exec_lo, s25
	s_cbranch_vccnz .LBB150_253
; %bb.252:
	global_store_b16 v[8:9], v23, off
.LBB150_253:
	s_mov_b32 s25, 0
.LBB150_254:
	s_delay_alu instid0(SALU_CYCLE_1)
	s_and_not1_b32 vcc_lo, exec_lo, s25
	s_cbranch_vccnz .LBB150_259
; %bb.255:
	v_mov_b32_e32 v2, 0x80
	s_and_not1_b32 vcc_lo, exec_lo, s8
	s_cbranch_vccnz .LBB150_258
; %bb.256:
	v_mov_b32_e32 v2, 0
	s_or_b32 s25, s7, s9
	s_delay_alu instid0(SALU_CYCLE_1)
	s_and_not1_b32 vcc_lo, exec_lo, s25
	s_cbranch_vccnz .LBB150_258
; %bb.257:
	v_cndmask_b32_e64 v2, v22, s21, s7
.LBB150_258:
	global_store_b8 v[8:9], v2, off
.LBB150_259:
	s_mov_b32 s25, -1
.LBB150_260:
	s_mov_b32 s27, 0
.LBB150_261:
	s_delay_alu instid0(SALU_CYCLE_1)
	s_and_b32 vcc_lo, exec_lo, s27
	s_cbranch_vccz .LBB150_283
; %bb.262:
	v_cmp_lt_i16_e32 vcc_lo, 22, v10
	s_mov_b32 s27, -1
	s_cbranch_vccz .LBB150_275
; %bb.263:
	v_cmp_gt_i16_e32 vcc_lo, 24, v10
	s_mov_b32 s25, -1
	s_cbranch_vccnz .LBB150_272
; %bb.264:
	v_cmp_lt_i16_e32 vcc_lo, 24, v10
	s_cbranch_vccz .LBB150_269
; %bb.265:
	v_mov_b32_e32 v2, 0x80
	s_and_not1_b32 vcc_lo, exec_lo, s5
	s_cbranch_vccnz .LBB150_268
; %bb.266:
	v_mov_b32_e32 v2, 0
	s_or_b32 s25, s4, s6
	s_delay_alu instid0(SALU_CYCLE_1)
	s_and_not1_b32 vcc_lo, exec_lo, s25
	s_cbranch_vccnz .LBB150_268
; %bb.267:
	v_cndmask_b32_e64 v2, v18, s20, s4
.LBB150_268:
	s_mov_b32 s25, 0
	global_store_b8 v[8:9], v2, off
.LBB150_269:
	s_and_b32 vcc_lo, exec_lo, s25
	s_cbranch_vccz .LBB150_271
; %bb.270:
	v_cndmask_b32_e64 v2, s15, v17, s3
	s_delay_alu instid0(VALU_DEP_1)
	v_cndmask_b32_e64 v2, v2, v21, s2
	global_store_b8 v[8:9], v2, off
.LBB150_271:
	s_mov_b32 s25, 0
.LBB150_272:
	s_delay_alu instid0(SALU_CYCLE_1)
	s_and_not1_b32 vcc_lo, exec_lo, s25
	s_cbranch_vccnz .LBB150_274
; %bb.273:
	v_cndmask_b32_e64 v2, s14, v19, s1
	s_delay_alu instid0(VALU_DEP_1)
	v_cndmask_b32_e64 v2, v2, v20, s0
	global_store_b8 v[8:9], v2, off
.LBB150_274:
	s_mov_b32 s27, 0
	s_mov_b32 s25, -1
.LBB150_275:
	s_and_not1_b32 vcc_lo, exec_lo, s27
	s_cbranch_vccnz .LBB150_283
; %bb.276:
	v_cmp_lt_i16_e32 vcc_lo, 14, v10
	s_mov_b32 s27, -1
	s_cbranch_vccz .LBB150_280
; %bb.277:
	v_cmp_eq_u16_e32 vcc_lo, 15, v10
	s_mov_b32 s10, -1
	s_cbranch_vccz .LBB150_279
; %bb.278:
	s_mov_b32 s25, -1
	s_mov_b32 s10, 0
	global_store_b16 v[8:9], v16, off
.LBB150_279:
	s_mov_b32 s27, 0
.LBB150_280:
	s_delay_alu instid0(SALU_CYCLE_1)
	s_and_b32 vcc_lo, exec_lo, s27
	s_cbranch_vccz .LBB150_283
; %bb.281:
	v_cmp_eq_u16_e32 vcc_lo, 11, v10
	s_mov_b32 s10, -1
	s_cbranch_vccz .LBB150_283
; %bb.282:
	v_mov_b32_e32 v2, 1
	s_mov_b32 s25, -1
	s_mov_b32 s10, 0
	global_store_b8 v[8:9], v2, off
.LBB150_283:
	s_branch .LBB150_218
.LBB150_284:
	v_cmp_gt_i16_e32 vcc_lo, 5, v10
	s_mov_b32 s25, -1
	s_cbranch_vccnz .LBB150_305
; %bb.285:
	v_cmp_gt_i16_e32 vcc_lo, 8, v10
	s_cbranch_vccnz .LBB150_295
; %bb.286:
	v_cmp_gt_i16_e32 vcc_lo, 9, v10
	s_cbranch_vccnz .LBB150_292
; %bb.287:
	v_cmp_lt_i16_e32 vcc_lo, 9, v10
	s_cbranch_vccz .LBB150_289
; %bb.288:
	v_mov_b32_e32 v2, 0
	s_mov_b32 s25, 0
	s_delay_alu instid0(VALU_DEP_1)
	v_mov_b32_e32 v3, v2
	global_store_b128 v[8:9], v[0:3], off
.LBB150_289:
	s_and_not1_b32 vcc_lo, exec_lo, s25
	s_cbranch_vccnz .LBB150_291
; %bb.290:
	v_dual_mov_b32 v2, s11 :: v_dual_mov_b32 v3, 0
	global_store_b64 v[8:9], v[2:3], off
.LBB150_291:
	s_mov_b32 s25, 0
.LBB150_292:
	s_delay_alu instid0(SALU_CYCLE_1)
	s_and_not1_b32 vcc_lo, exec_lo, s25
	s_cbranch_vccnz .LBB150_294
; %bb.293:
	global_store_b32 v[8:9], v15, off
.LBB150_294:
	s_mov_b32 s25, 0
.LBB150_295:
	s_delay_alu instid0(SALU_CYCLE_1)
	s_and_not1_b32 vcc_lo, exec_lo, s25
	s_cbranch_vccnz .LBB150_304
; %bb.296:
	v_cmp_gt_i16_e32 vcc_lo, 6, v10
	s_mov_b32 s25, -1
	s_cbranch_vccnz .LBB150_302
; %bb.297:
	v_cmp_lt_i16_e32 vcc_lo, 6, v10
	s_cbranch_vccz .LBB150_299
; %bb.298:
	s_mov_b32 s25, 0
	global_store_b64 v[8:9], v[0:1], off
.LBB150_299:
	s_and_not1_b32 vcc_lo, exec_lo, s25
	s_cbranch_vccnz .LBB150_301
; %bb.300:
	global_store_b32 v[8:9], v14, off
.LBB150_301:
	s_mov_b32 s25, 0
.LBB150_302:
	s_delay_alu instid0(SALU_CYCLE_1)
	s_and_not1_b32 vcc_lo, exec_lo, s25
	s_cbranch_vccnz .LBB150_304
; %bb.303:
	global_store_b16 v[8:9], v15, off
.LBB150_304:
	s_mov_b32 s25, 0
.LBB150_305:
	s_delay_alu instid0(SALU_CYCLE_1)
	s_and_not1_b32 vcc_lo, exec_lo, s25
	s_cbranch_vccnz .LBB150_321
; %bb.306:
	v_cmp_gt_i16_e32 vcc_lo, 2, v10
	s_mov_b32 s25, -1
	s_cbranch_vccnz .LBB150_316
; %bb.307:
	v_cmp_gt_i16_e32 vcc_lo, 3, v10
	s_cbranch_vccnz .LBB150_313
; %bb.308:
	v_cmp_lt_i16_e32 vcc_lo, 3, v10
	s_cbranch_vccz .LBB150_310
; %bb.309:
	s_mov_b32 s25, 0
	global_store_b64 v[8:9], v[4:5], off
.LBB150_310:
	s_and_not1_b32 vcc_lo, exec_lo, s25
	s_cbranch_vccnz .LBB150_312
; %bb.311:
	global_store_b32 v[8:9], v13, off
.LBB150_312:
	s_mov_b32 s25, 0
.LBB150_313:
	s_delay_alu instid0(SALU_CYCLE_1)
	s_and_not1_b32 vcc_lo, exec_lo, s25
	s_cbranch_vccnz .LBB150_315
; %bb.314:
	global_store_b16 v[8:9], v13, off
.LBB150_315:
	s_mov_b32 s25, 0
.LBB150_316:
	s_delay_alu instid0(SALU_CYCLE_1)
	s_and_not1_b32 vcc_lo, exec_lo, s25
	s_cbranch_vccnz .LBB150_321
; %bb.317:
	v_cmp_lt_i16_e32 vcc_lo, 0, v10
	s_mov_b32 s25, -1
	s_cbranch_vccz .LBB150_319
; %bb.318:
	s_mov_b32 s25, 0
	global_store_b8 v[8:9], v12, off
.LBB150_319:
	s_and_not1_b32 vcc_lo, exec_lo, s25
	s_cbranch_vccnz .LBB150_321
; %bb.320:
	global_store_b8 v[8:9], v11, off
.LBB150_321:
	s_branch .LBB150_219
.LBB150_322:
	s_mov_b32 s27, 0
                                        ; implicit-def: $vgpr24
.LBB150_323:
	s_and_not1_b32 s25, s23, exec_lo
	s_and_b32 s10, s10, exec_lo
	s_delay_alu instid0(SALU_CYCLE_1)
	s_or_b32 s25, s25, s10
	s_or_not1_b32 s10, s27, exec_lo
.LBB150_324:
	s_or_b32 exec_lo, exec_lo, s26
	s_mov_b32 s27, 0
	s_mov_b32 s29, 0
                                        ; implicit-def: $vgpr8_vgpr9
	s_and_saveexec_b32 s26, s10
	s_cbranch_execz .LBB150_784
; %bb.325:
	s_mov_b32 s30, -1
	s_mov_b32 s28, s25
	s_mov_b32 s27, exec_lo
	v_cmpx_gt_i32_e64 s22, v24
	s_cbranch_execz .LBB150_554
; %bb.326:
	v_mul_lo_u32 v2, v24, s18
	v_cmp_gt_i16_e32 vcc_lo, 11, v10
	s_delay_alu instid0(VALU_DEP_2) | instskip(SKIP_1) | instid1(VALU_DEP_1)
	v_ashrrev_i32_e32 v3, 31, v2
	v_add_co_u32 v8, s10, s16, v2
	v_add_co_ci_u32_e64 v9, s10, s17, v3, s10
	s_cbranch_vccnz .LBB150_333
; %bb.327:
	v_cmp_lt_i16_e32 vcc_lo, 25, v10
	s_cbranch_vccz .LBB150_334
; %bb.328:
	v_cmp_lt_i16_e32 vcc_lo, 28, v10
	s_cbranch_vccz .LBB150_335
	;; [unrolled: 3-line block ×4, first 2 shown]
; %bb.331:
	v_cmp_eq_u16_e32 vcc_lo, 46, v10
	s_mov_b32 s10, -1
	s_mov_b32 s28, 0
	s_cbranch_vccz .LBB150_466
; %bb.332:
	s_mov_b32 s28, -1
	s_mov_b32 s10, 0
	global_store_b32 v[8:9], v16, off
	s_branch .LBB150_466
.LBB150_333:
	s_mov_b32 s29, -1
	s_mov_b32 s28, 0
	s_mov_b32 s10, s25
	s_branch .LBB150_511
.LBB150_334:
	s_mov_b32 s29, -1
	s_mov_b32 s28, 0
	s_mov_b32 s10, s25
	s_branch .LBB150_488
.LBB150_335:
	s_mov_b32 s29, -1
	s_mov_b32 s28, 0
	s_mov_b32 s10, s25
	s_branch .LBB150_474
.LBB150_336:
	s_mov_b32 s29, -1
	s_mov_b32 s28, 0
	s_mov_b32 s10, s25
	s_branch .LBB150_470
.LBB150_337:
	s_mov_b32 s6, -1
	s_mov_b32 s0, 0
                                        ; implicit-def: $sgpr1
.LBB150_338:
	v_mov_b32_e32 v4, s1
	s_and_not1_b32 vcc_lo, exec_lo, s6
                                        ; implicit-def: $sgpr1
	s_cbranch_vccnz .LBB150_340
; %bb.339:
	v_add_f32_e32 v3, 0x42800000, v3
	s_mov_b32 s1, 0
	s_delay_alu instid0(VALU_DEP_1) | instskip(NEXT) | instid1(VALU_DEP_1)
	v_and_b32_e32 v4, 0xff, v3
	v_cmp_ne_u32_e64 s0, 0, v4
.LBB150_340:
	v_mov_b32_e32 v5, s1
	s_delay_alu instid0(VALU_DEP_2)
	s_and_not1_b32 vcc_lo, exec_lo, s0
	s_cbranch_vccnz .LBB150_342
; %bb.341:
	v_mov_b32_e32 v5, v4
.LBB150_342:
	global_store_b8 v[0:1], v5, off
.LBB150_343:
	s_and_b32 vcc_lo, exec_lo, s5
	s_cbranch_vccz .LBB150_355
; %bb.344:
	v_and_b32_e64 v3, 0xff, s19
	v_mov_b32_e32 v4, 0x7f800001
	s_and_b32 s0, s19, 0xff
	s_delay_alu instid0(SALU_CYCLE_1) | instskip(NEXT) | instid1(VALU_DEP_2)
	s_lshl_b32 s5, s0, 23
	v_cmp_eq_u16_e64 s1, 0xff, v3
	v_cmp_eq_u16_e64 s0, 0, v3
	s_delay_alu instid0(VALU_DEP_2) | instskip(NEXT) | instid1(VALU_DEP_1)
	v_cndmask_b32_e64 v4, |s5|, v4, s1
	v_cndmask_b32_e64 v3, v4, 0x400000, s0
	s_delay_alu instid0(VALU_DEP_1)
	v_cmp_gt_u32_e32 vcc_lo, 0x43f00000, v3
	s_cbranch_vccz .LBB150_347
; %bb.345:
	v_cmp_lt_u32_e32 vcc_lo, 0x3c7fffff, v3
	s_cbranch_vccz .LBB150_348
; %bb.346:
	s_add_i32 s5, s5, 0x407ffff
	s_delay_alu instid0(SALU_CYCLE_1)
	s_lshr_b32 s5, s5, 20
	s_and_b32 s1, s1, exec_lo
	s_cselect_b32 s1, 0x838, s5
	s_and_b32 s0, s0, exec_lo
	s_cselect_b32 s1, 0x44, s1
	s_mov_b32 s0, 0
	s_branch .LBB150_349
.LBB150_347:
	s_mov_b32 s0, -1
                                        ; implicit-def: $vgpr4
	s_branch .LBB150_352
.LBB150_348:
	s_mov_b32 s0, -1
                                        ; implicit-def: $sgpr1
.LBB150_349:
	v_mov_b32_e32 v4, s1
	s_and_not1_b32 vcc_lo, exec_lo, s0
	s_cbranch_vccnz .LBB150_351
; %bb.350:
	v_add_f32_e32 v4, 0x46800000, v3
.LBB150_351:
	s_mov_b32 s0, 0
.LBB150_352:
	s_delay_alu instid0(SALU_CYCLE_1)
	s_and_not1_b32 vcc_lo, exec_lo, s0
	s_cbranch_vccnz .LBB150_354
; %bb.353:
	v_mov_b32_e32 v4, 0x7f
	v_cmp_lt_u32_e32 vcc_lo, 0x7f800000, v3
	s_delay_alu instid0(VALU_DEP_2)
	v_cndmask_b32_e32 v4, 0x7e, v4, vcc_lo
.LBB150_354:
	global_store_b8 v[0:1], v4, off
.LBB150_355:
	s_mov_b32 s0, 0
.LBB150_356:
	s_delay_alu instid0(SALU_CYCLE_1)
	s_and_not1_b32 vcc_lo, exec_lo, s0
	s_cbranch_vccnz .LBB150_368
; %bb.357:
	v_and_b32_e64 v3, 0xff, s19
	v_mov_b32_e32 v4, 0x7f800001
	s_and_b32 s0, s19, 0xff
	s_delay_alu instid0(SALU_CYCLE_1) | instskip(NEXT) | instid1(VALU_DEP_2)
	s_lshl_b32 s5, s0, 23
	v_cmp_eq_u16_e64 s1, 0xff, v3
	v_cmp_eq_u16_e64 s0, 0, v3
	s_delay_alu instid0(VALU_DEP_2) | instskip(NEXT) | instid1(VALU_DEP_1)
	v_cndmask_b32_e64 v4, |s5|, v4, s1
	v_cndmask_b32_e64 v3, v4, 0x400000, s0
	s_delay_alu instid0(VALU_DEP_1)
	v_cmp_gt_u32_e32 vcc_lo, 0x47800000, v3
	s_cbranch_vccz .LBB150_360
; %bb.358:
	v_cmp_lt_u32_e32 vcc_lo, 0x387fffff, v3
	s_cbranch_vccz .LBB150_361
; %bb.359:
	s_add_i32 s5, s5, 0x80fffff
	s_delay_alu instid0(SALU_CYCLE_1)
	s_lshr_b32 s5, s5, 21
	s_and_b32 s1, s1, exec_lo
	s_cselect_b32 s1, 0x43c, s5
	s_and_b32 s0, s0, exec_lo
	s_cselect_b32 s1, 0x42, s1
	s_mov_b32 s0, 0
	s_branch .LBB150_362
.LBB150_360:
	s_mov_b32 s0, -1
                                        ; implicit-def: $vgpr4
	s_branch .LBB150_365
.LBB150_361:
	s_mov_b32 s0, -1
                                        ; implicit-def: $sgpr1
.LBB150_362:
	v_mov_b32_e32 v4, s1
	s_and_not1_b32 vcc_lo, exec_lo, s0
	s_cbranch_vccnz .LBB150_364
; %bb.363:
	v_add_f32_e32 v4, 0x43000000, v3
.LBB150_364:
	s_mov_b32 s0, 0
.LBB150_365:
	s_delay_alu instid0(SALU_CYCLE_1)
	s_and_not1_b32 vcc_lo, exec_lo, s0
	s_cbranch_vccnz .LBB150_367
; %bb.366:
	v_mov_b32_e32 v4, 0x7f
	v_cmp_lt_u32_e32 vcc_lo, 0x7f800000, v3
	s_delay_alu instid0(VALU_DEP_2)
	v_cndmask_b32_e32 v4, 0x7c, v4, vcc_lo
.LBB150_367:
	global_store_b8 v[0:1], v4, off
.LBB150_368:
	s_mov_b32 s1, 0
	s_mov_b32 s0, -1
.LBB150_369:
	s_and_not1_b32 vcc_lo, exec_lo, s1
	s_mov_b32 s5, 0
	s_cbranch_vccnz .LBB150_376
; %bb.370:
	v_cmp_lt_i16_e32 vcc_lo, 14, v10
	s_mov_b32 s1, -1
	s_cbranch_vccz .LBB150_374
; %bb.371:
	v_cmp_eq_u16_e32 vcc_lo, 15, v10
	s_mov_b32 s4, -1
	s_cbranch_vccz .LBB150_373
; %bb.372:
	v_and_b32_e64 v3, 0xff, s19
	s_and_b32 s0, s19, 0xff
	s_mov_b32 s4, 0
	s_lshl_b32 s0, s0, 23
	s_delay_alu instid0(SALU_CYCLE_1) | instskip(SKIP_2) | instid1(VALU_DEP_2)
	v_mov_b32_e32 v4, s0
	v_cmp_ne_u16_e32 vcc_lo, 0xff, v3
	s_mov_b32 s0, -1
	v_cndmask_b32_e32 v4, 0x7f800001, v4, vcc_lo
	v_cmp_ne_u16_e32 vcc_lo, 0, v3
	s_delay_alu instid0(VALU_DEP_2) | instskip(NEXT) | instid1(VALU_DEP_1)
	v_cndmask_b32_e32 v3, 0x400000, v4, vcc_lo
	v_add_nc_u32_e32 v4, 0x7fff, v3
	v_cmp_o_f32_e32 vcc_lo, v3, v3
	s_delay_alu instid0(VALU_DEP_2) | instskip(NEXT) | instid1(VALU_DEP_1)
	v_lshrrev_b32_e32 v4, 16, v4
	v_cndmask_b32_e32 v3, 0x7fc0, v4, vcc_lo
	global_store_b16 v[0:1], v3, off
.LBB150_373:
	s_mov_b32 s1, 0
.LBB150_374:
	s_delay_alu instid0(SALU_CYCLE_1)
	s_and_b32 vcc_lo, exec_lo, s1
	s_cbranch_vccz .LBB150_376
; %bb.375:
	v_cmp_ne_u16_e64 s4, 11, v10
	s_mov_b32 s5, -1
.LBB150_376:
	s_delay_alu instid0(VALU_DEP_1)
	s_and_b32 vcc_lo, exec_lo, s4
	s_mov_b32 s4, s2
	s_cbranch_vccnz .LBB150_446
; %bb.377:
	s_and_not1_b32 vcc_lo, exec_lo, s5
	s_cbranch_vccnz .LBB150_379
.LBB150_378:
	v_mov_b32_e32 v3, 1
	s_mov_b32 s0, -1
	global_store_b8 v[0:1], v3, off
.LBB150_379:
.LBB150_380:
	s_and_not1_b32 vcc_lo, exec_lo, s0
	s_cbranch_vccnz .LBB150_677
.LBB150_381:
	s_lshl_b32 s5, s18, 7
	v_cmp_gt_i16_e32 vcc_lo, 11, v10
	v_add_nc_u32_e32 v2, s5, v2
	s_delay_alu instid0(VALU_DEP_1) | instskip(SKIP_1) | instid1(VALU_DEP_1)
	v_ashrrev_i32_e32 v1, 31, v2
	v_add_co_u32 v0, s0, s16, v2
	v_add_co_ci_u32_e64 v1, s0, s17, v1, s0
	s_cbranch_vccnz .LBB150_407
; %bb.382:
	v_cmp_lt_i16_e32 vcc_lo, 25, v10
	s_mov_b32 s1, -1
	s_mov_b32 s7, 0
	s_mov_b32 s0, 0
	;; [unrolled: 1-line block ×3, first 2 shown]
	s_cbranch_vccz .LBB150_458
; %bb.383:
	v_cmp_lt_i16_e32 vcc_lo, 28, v10
	s_cbranch_vccz .LBB150_396
; %bb.384:
	v_cmp_lt_i16_e32 vcc_lo, 43, v10
	;; [unrolled: 3-line block ×3, first 2 shown]
	s_cbranch_vccz .LBB150_388
; %bb.386:
	v_cmp_eq_u16_e32 vcc_lo, 46, v10
	s_mov_b32 s6, -1
	s_mov_b32 s1, 0
	s_cbranch_vccz .LBB150_388
; %bb.387:
	v_and_b32_e64 v3, 0xff, s19
	s_and_b32 s0, s19, 0xff
	s_mov_b32 s6, 0
	s_lshl_b32 s0, s0, 23
	s_delay_alu instid0(SALU_CYCLE_1) | instskip(SKIP_2) | instid1(VALU_DEP_2)
	v_mov_b32_e32 v4, s0
	v_cmp_ne_u16_e32 vcc_lo, 0xff, v3
	s_mov_b32 s0, -1
	v_cndmask_b32_e32 v4, 0x7f800001, v4, vcc_lo
	v_cmp_ne_u16_e32 vcc_lo, 0, v3
	s_delay_alu instid0(VALU_DEP_2) | instskip(NEXT) | instid1(VALU_DEP_1)
	v_cndmask_b32_e32 v3, 0x400000, v4, vcc_lo
	v_add_nc_u32_e32 v4, 0x7fff, v3
	v_cmp_o_f32_e32 vcc_lo, v3, v3
	s_delay_alu instid0(VALU_DEP_2) | instskip(NEXT) | instid1(VALU_DEP_1)
	v_lshrrev_b32_e32 v4, 16, v4
	v_cndmask_b32_e32 v3, 0x7fc0, v4, vcc_lo
	global_store_b32 v[0:1], v3, off
.LBB150_388:
	s_and_b32 vcc_lo, exec_lo, s1
	s_cbranch_vccz .LBB150_391
; %bb.389:
	v_cmp_eq_u16_e32 vcc_lo, 44, v10
	s_mov_b32 s6, -1
	s_cbranch_vccz .LBB150_391
; %bb.390:
	v_mov_b32_e32 v3, s19
	s_mov_b32 s6, 0
	s_mov_b32 s0, -1
	global_store_b8 v[0:1], v3, off
.LBB150_391:
	s_mov_b32 s1, 0
.LBB150_392:
	s_delay_alu instid0(SALU_CYCLE_1)
	s_and_b32 vcc_lo, exec_lo, s1
	s_cbranch_vccz .LBB150_395
; %bb.393:
	v_cmp_eq_u16_e32 vcc_lo, 29, v10
	s_mov_b32 s6, -1
	s_cbranch_vccz .LBB150_395
; %bb.394:
	s_and_b32 s0, s19, 0xff
	v_and_b32_e64 v5, 0xff, s19
	s_lshl_b32 s0, s0, 23
	s_mov_b32 s6, 0
	v_trunc_f32_e32 v3, s0
	s_mov_b32 s0, -1
	v_cmp_ne_u16_e32 vcc_lo, 0, v5
	s_delay_alu instid0(VALU_DEP_2) | instskip(NEXT) | instid1(VALU_DEP_1)
	v_mul_f32_e32 v4, 0x2f800000, v3
	v_floor_f32_e32 v4, v4
	s_delay_alu instid0(VALU_DEP_1) | instskip(SKIP_1) | instid1(VALU_DEP_1)
	v_fmamk_f32 v3, v4, 0xcf800000, v3
	v_cvt_u32_f32_e32 v4, v4
	v_cndmask_b32_e32 v4, 0, v4, vcc_lo
	s_delay_alu instid0(VALU_DEP_3) | instskip(NEXT) | instid1(VALU_DEP_1)
	v_cvt_u32_f32_e32 v3, v3
	v_cndmask_b32_e32 v3, 0, v3, vcc_lo
	global_store_b64 v[0:1], v[3:4], off
.LBB150_395:
	s_mov_b32 s1, 0
.LBB150_396:
	s_delay_alu instid0(SALU_CYCLE_1)
	s_and_b32 vcc_lo, exec_lo, s1
	s_cbranch_vccz .LBB150_457
; %bb.397:
	v_cmp_gt_i16_e32 vcc_lo, 27, v10
	s_mov_b32 s0, -1
	s_cbranch_vccnz .LBB150_403
; %bb.398:
	v_cmp_lt_i16_e32 vcc_lo, 27, v10
	s_cbranch_vccz .LBB150_400
; %bb.399:
	v_and_b32_e64 v3, 0xff, s19
	s_and_b32 s0, s19, 0xff
	s_delay_alu instid0(SALU_CYCLE_1) | instskip(NEXT) | instid1(SALU_CYCLE_1)
	s_lshl_b32 s0, s0, 23
	v_cvt_u32_f32_e32 v4, s0
	s_delay_alu instid0(VALU_DEP_2) | instskip(SKIP_1) | instid1(VALU_DEP_2)
	v_cmp_ne_u16_e32 vcc_lo, 0, v3
	s_mov_b32 s0, 0
	v_cndmask_b32_e32 v3, 0, v4, vcc_lo
	global_store_b32 v[0:1], v3, off
.LBB150_400:
	s_and_not1_b32 vcc_lo, exec_lo, s0
	s_cbranch_vccnz .LBB150_402
; %bb.401:
	v_and_b32_e64 v3, 0xff, s19
	s_and_b32 s0, s19, 0xff
	s_delay_alu instid0(SALU_CYCLE_1) | instskip(NEXT) | instid1(SALU_CYCLE_1)
	s_lshl_b32 s0, s0, 23
	v_cvt_u32_f32_e32 v4, s0
	s_delay_alu instid0(VALU_DEP_2) | instskip(NEXT) | instid1(VALU_DEP_2)
	v_cmp_ne_u16_e32 vcc_lo, 0, v3
	v_cndmask_b32_e32 v3, 0, v4, vcc_lo
	global_store_b16 v[0:1], v3, off
.LBB150_402:
	s_mov_b32 s0, 0
.LBB150_403:
	s_delay_alu instid0(SALU_CYCLE_1)
	s_and_not1_b32 vcc_lo, exec_lo, s0
	s_cbranch_vccnz .LBB150_456
; %bb.404:
	v_and_b32_e64 v3, 0xff, s19
	v_mov_b32_e32 v4, 0x7f800001
	s_and_b32 s0, s19, 0xff
	v_mov_b32_e32 v5, 0x80
	s_lshl_b32 s9, s0, 23
	v_cmp_eq_u16_e64 s1, 0xff, v3
	v_cmp_eq_u16_e64 s0, 0, v3
	s_mov_b32 s8, 0
	s_delay_alu instid0(VALU_DEP_2) | instskip(NEXT) | instid1(VALU_DEP_1)
	v_cndmask_b32_e64 v4, |s9|, v4, s1
	v_cndmask_b32_e64 v3, v4, 0x400000, s0
	s_delay_alu instid0(VALU_DEP_1)
	v_cmp_lt_u32_e32 vcc_lo, 0x437fffff, v3
	s_cbranch_vccnz .LBB150_455
; %bb.405:
	v_cmp_lt_u32_e32 vcc_lo, 0x3bffffff, v3
	s_cbranch_vccz .LBB150_450
; %bb.406:
	s_add_i32 s8, s9, 0x487ffff
	s_mov_b32 s9, 0
	s_lshr_b32 s8, s8, 20
	s_and_b32 s1, s1, exec_lo
	s_cselect_b32 s1, 0x840, s8
	s_and_b32 s0, s0, exec_lo
	s_cselect_b32 s0, 0x4c, s1
	s_mov_b32 s8, -1
	s_branch .LBB150_451
.LBB150_407:
	s_mov_b32 s0, 0
	s_cbranch_execz .LBB150_611
; %bb.408:
	v_cmp_gt_i16_e32 vcc_lo, 5, v10
	s_mov_b32 s0, -1
	s_cbranch_vccnz .LBB150_429
; %bb.409:
	v_cmp_gt_i16_e32 vcc_lo, 8, v10
	s_cbranch_vccnz .LBB150_419
; %bb.410:
	v_cmp_gt_i16_e32 vcc_lo, 9, v10
	s_cbranch_vccnz .LBB150_416
; %bb.411:
	v_cmp_lt_i16_e32 vcc_lo, 9, v10
	s_cbranch_vccz .LBB150_413
; %bb.412:
	s_and_b32 s0, s19, 0xff
	v_and_b32_e64 v5, 0xff, s19
	s_lshl_b32 s0, s0, 23
	s_delay_alu instid0(SALU_CYCLE_1) | instskip(SKIP_1) | instid1(VALU_DEP_2)
	v_cvt_f64_f32_e32 v[3:4], s0
	s_mov_b32 s0, 0
	v_cmp_ne_u16_e32 vcc_lo, 0xff, v5
	s_delay_alu instid0(VALU_DEP_2) | instskip(NEXT) | instid1(VALU_DEP_3)
	v_cndmask_b32_e32 v3, 0x20000000, v3, vcc_lo
	v_cndmask_b32_e32 v4, 0x7ff80000, v4, vcc_lo
	v_cmp_ne_u16_e32 vcc_lo, 0, v5
	s_delay_alu instid0(VALU_DEP_2) | instskip(NEXT) | instid1(VALU_DEP_1)
	v_dual_mov_b32 v5, 0 :: v_dual_cndmask_b32 v4, 0x38000000, v4
	v_dual_mov_b32 v6, v5 :: v_dual_cndmask_b32 v3, 0, v3
	global_store_b128 v[0:1], v[3:6], off
.LBB150_413:
	s_and_not1_b32 vcc_lo, exec_lo, s0
	s_cbranch_vccnz .LBB150_415
; %bb.414:
	v_and_b32_e64 v3, 0xff, s19
	s_and_b32 s1, s19, 0xff
	v_mov_b32_e32 v4, 0
	s_lshl_b32 s1, s1, 23
	s_delay_alu instid0(VALU_DEP_2) | instskip(SKIP_3) | instid1(VALU_DEP_1)
	v_cmp_ne_u16_e32 vcc_lo, 0xff, v3
	v_cmp_ne_u16_e64 s0, 0, v3
	s_and_b32 s6, vcc_lo, exec_lo
	s_cselect_b32 s1, s1, 0x7f800001
	s_and_b32 s0, s0, exec_lo
	s_cselect_b32 s0, s1, 0x400000
	s_delay_alu instid0(SALU_CYCLE_1)
	v_mov_b32_e32 v3, s0
	global_store_b64 v[0:1], v[3:4], off
.LBB150_415:
	s_mov_b32 s0, 0
.LBB150_416:
	s_delay_alu instid0(SALU_CYCLE_1)
	s_and_not1_b32 vcc_lo, exec_lo, s0
	s_cbranch_vccnz .LBB150_418
; %bb.417:
	s_and_b32 s0, s19, 0xff
	v_and_b32_e64 v4, 0xff, s19
	s_lshl_b32 s0, s0, 23
	s_delay_alu instid0(SALU_CYCLE_1) | instskip(NEXT) | instid1(VALU_DEP_2)
	v_cvt_f16_f32_e32 v3, s0
	v_cmp_ne_u16_e32 vcc_lo, 0xff, v4
	s_delay_alu instid0(VALU_DEP_2) | instskip(NEXT) | instid1(VALU_DEP_1)
	v_and_b32_e32 v3, 0xffff, v3
	v_cndmask_b32_e32 v3, 0x7e00, v3, vcc_lo
	v_cmp_ne_u16_e32 vcc_lo, 0, v4
	s_delay_alu instid0(VALU_DEP_2)
	v_cndmask_b32_e32 v3, 0, v3, vcc_lo
	global_store_b32 v[0:1], v3, off
.LBB150_418:
	s_mov_b32 s0, 0
.LBB150_419:
	s_delay_alu instid0(SALU_CYCLE_1)
	s_and_not1_b32 vcc_lo, exec_lo, s0
	s_cbranch_vccnz .LBB150_428
; %bb.420:
	v_cmp_gt_i16_e32 vcc_lo, 6, v10
	s_mov_b32 s0, -1
	s_cbranch_vccnz .LBB150_426
; %bb.421:
	v_cmp_lt_i16_e32 vcc_lo, 6, v10
	s_cbranch_vccz .LBB150_423
; %bb.422:
	s_and_b32 s0, s19, 0xff
	v_and_b32_e64 v5, 0xff, s19
	s_lshl_b32 s0, s0, 23
	s_delay_alu instid0(SALU_CYCLE_1) | instskip(SKIP_1) | instid1(VALU_DEP_2)
	v_cvt_f64_f32_e32 v[3:4], s0
	s_mov_b32 s0, 0
	v_cmp_ne_u16_e32 vcc_lo, 0xff, v5
	s_delay_alu instid0(VALU_DEP_2) | instskip(NEXT) | instid1(VALU_DEP_3)
	v_cndmask_b32_e32 v3, 0x20000000, v3, vcc_lo
	v_cndmask_b32_e32 v4, 0x7ff80000, v4, vcc_lo
	v_cmp_ne_u16_e32 vcc_lo, 0, v5
	s_delay_alu instid0(VALU_DEP_2) | instskip(NEXT) | instid1(VALU_DEP_4)
	v_cndmask_b32_e32 v4, 0x38000000, v4, vcc_lo
	v_cndmask_b32_e32 v3, 0, v3, vcc_lo
	global_store_b64 v[0:1], v[3:4], off
.LBB150_423:
	s_and_not1_b32 vcc_lo, exec_lo, s0
	s_cbranch_vccnz .LBB150_425
; %bb.424:
	v_and_b32_e64 v3, 0xff, s19
	s_and_b32 s0, s19, 0xff
	s_delay_alu instid0(SALU_CYCLE_1) | instskip(NEXT) | instid1(SALU_CYCLE_1)
	s_lshl_b32 s0, s0, 23
	v_mov_b32_e32 v4, s0
	s_delay_alu instid0(VALU_DEP_2) | instskip(NEXT) | instid1(VALU_DEP_2)
	v_cmp_ne_u16_e32 vcc_lo, 0xff, v3
	v_cndmask_b32_e32 v4, 0x7f800001, v4, vcc_lo
	v_cmp_ne_u16_e32 vcc_lo, 0, v3
	s_delay_alu instid0(VALU_DEP_2)
	v_cndmask_b32_e32 v3, 0x400000, v4, vcc_lo
	global_store_b32 v[0:1], v3, off
.LBB150_425:
	s_mov_b32 s0, 0
.LBB150_426:
	s_delay_alu instid0(SALU_CYCLE_1)
	s_and_not1_b32 vcc_lo, exec_lo, s0
	s_cbranch_vccnz .LBB150_428
; %bb.427:
	v_and_b32_e64 v3, 0xff, s19
	s_and_b32 s0, s19, 0xff
	s_delay_alu instid0(SALU_CYCLE_1) | instskip(NEXT) | instid1(SALU_CYCLE_1)
	s_lshl_b32 s0, s0, 23
	v_cvt_f16_f32_e32 v4, s0
	s_delay_alu instid0(VALU_DEP_2) | instskip(NEXT) | instid1(VALU_DEP_2)
	v_cmp_ne_u16_e32 vcc_lo, 0xff, v3
	v_cndmask_b32_e32 v4, 0x7e00, v4, vcc_lo
	v_cmp_ne_u16_e32 vcc_lo, 0, v3
	s_delay_alu instid0(VALU_DEP_2)
	v_cndmask_b32_e32 v3, 0, v4, vcc_lo
	global_store_b16 v[0:1], v3, off
.LBB150_428:
	s_mov_b32 s0, 0
.LBB150_429:
	s_delay_alu instid0(SALU_CYCLE_1)
	s_and_not1_b32 vcc_lo, exec_lo, s0
	s_cbranch_vccnz .LBB150_445
; %bb.430:
	v_cmp_gt_i16_e32 vcc_lo, 2, v10
	s_mov_b32 s0, -1
	s_cbranch_vccnz .LBB150_440
; %bb.431:
	v_cmp_gt_i16_e32 vcc_lo, 3, v10
	s_cbranch_vccnz .LBB150_437
; %bb.432:
	v_cmp_lt_i16_e32 vcc_lo, 3, v10
	s_cbranch_vccz .LBB150_434
; %bb.433:
	s_and_b32 s0, s19, 0xff
	v_and_b32_e64 v6, 0xff, s19
	s_lshl_b32 s0, s0, 23
	s_delay_alu instid0(SALU_CYCLE_1) | instskip(SKIP_1) | instid1(VALU_DEP_1)
	v_trunc_f32_e32 v3, s0
	s_mov_b32 s0, 0
	v_mul_f32_e64 v4, 0x2f800000, |v3|
	s_delay_alu instid0(VALU_DEP_1) | instskip(NEXT) | instid1(VALU_DEP_1)
	v_floor_f32_e32 v4, v4
	v_fma_f32 v5, 0xcf800000, v4, |v3|
	v_ashrrev_i32_e32 v3, 31, v3
	v_cvt_u32_f32_e32 v4, v4
	s_delay_alu instid0(VALU_DEP_3) | instskip(NEXT) | instid1(VALU_DEP_2)
	v_cvt_u32_f32_e32 v5, v5
	v_xor_b32_e32 v4, v4, v3
	s_delay_alu instid0(VALU_DEP_2) | instskip(NEXT) | instid1(VALU_DEP_1)
	v_xor_b32_e32 v5, v5, v3
	v_sub_co_u32 v5, vcc_lo, v5, v3
	s_delay_alu instid0(VALU_DEP_3) | instskip(SKIP_1) | instid1(VALU_DEP_2)
	v_sub_co_ci_u32_e32 v3, vcc_lo, v4, v3, vcc_lo
	v_cmp_ne_u16_e32 vcc_lo, 0, v6
	v_dual_cndmask_b32 v4, 0, v3 :: v_dual_cndmask_b32 v3, 0, v5
	global_store_b64 v[0:1], v[3:4], off
.LBB150_434:
	s_and_not1_b32 vcc_lo, exec_lo, s0
	s_cbranch_vccnz .LBB150_436
; %bb.435:
	v_and_b32_e64 v3, 0xff, s19
	s_and_b32 s0, s19, 0xff
	s_delay_alu instid0(SALU_CYCLE_1) | instskip(NEXT) | instid1(SALU_CYCLE_1)
	s_lshl_b32 s0, s0, 23
	v_cvt_i32_f32_e32 v4, s0
	s_delay_alu instid0(VALU_DEP_2) | instskip(NEXT) | instid1(VALU_DEP_2)
	v_cmp_ne_u16_e32 vcc_lo, 0, v3
	v_cndmask_b32_e32 v3, 0, v4, vcc_lo
	global_store_b32 v[0:1], v3, off
.LBB150_436:
	s_mov_b32 s0, 0
.LBB150_437:
	s_delay_alu instid0(SALU_CYCLE_1)
	s_and_not1_b32 vcc_lo, exec_lo, s0
	s_cbranch_vccnz .LBB150_439
; %bb.438:
	v_and_b32_e64 v3, 0xff, s19
	s_and_b32 s0, s19, 0xff
	s_delay_alu instid0(SALU_CYCLE_1) | instskip(NEXT) | instid1(SALU_CYCLE_1)
	s_lshl_b32 s0, s0, 23
	v_cvt_i32_f32_e32 v4, s0
	s_delay_alu instid0(VALU_DEP_2) | instskip(NEXT) | instid1(VALU_DEP_2)
	v_cmp_ne_u16_e32 vcc_lo, 0, v3
	v_cndmask_b32_e32 v3, 0, v4, vcc_lo
	global_store_b16 v[0:1], v3, off
.LBB150_439:
	s_mov_b32 s0, 0
.LBB150_440:
	s_delay_alu instid0(SALU_CYCLE_1)
	s_and_not1_b32 vcc_lo, exec_lo, s0
	s_cbranch_vccnz .LBB150_445
; %bb.441:
	v_cmp_lt_i16_e32 vcc_lo, 0, v10
	s_mov_b32 s0, -1
	s_cbranch_vccz .LBB150_443
; %bb.442:
	v_and_b32_e64 v3, 0xff, s19
	s_and_b32 s0, s19, 0xff
	s_delay_alu instid0(SALU_CYCLE_1) | instskip(NEXT) | instid1(SALU_CYCLE_1)
	s_lshl_b32 s0, s0, 23
	v_cvt_i32_f32_e32 v4, s0
	s_delay_alu instid0(VALU_DEP_2) | instskip(SKIP_1) | instid1(VALU_DEP_2)
	v_cmp_ne_u16_e32 vcc_lo, 0, v3
	s_mov_b32 s0, 0
	v_cndmask_b32_e32 v3, 0, v4, vcc_lo
	global_store_b8 v[0:1], v3, off
.LBB150_443:
	s_and_not1_b32 vcc_lo, exec_lo, s0
	s_cbranch_vccnz .LBB150_445
; %bb.444:
	s_and_b32 s0, s19, 0xff
	v_and_b32_e64 v5, 0xff, s19
	s_lshl_b32 s0, s0, 23
	s_delay_alu instid0(SALU_CYCLE_1) | instskip(NEXT) | instid1(VALU_DEP_2)
	v_trunc_f32_e32 v3, s0
	v_cmp_ne_u16_e32 vcc_lo, 0, v5
	s_delay_alu instid0(VALU_DEP_2) | instskip(NEXT) | instid1(VALU_DEP_1)
	v_mul_f32_e64 v4, 0x2f800000, |v3|
	v_floor_f32_e32 v4, v4
	s_delay_alu instid0(VALU_DEP_1) | instskip(SKIP_1) | instid1(VALU_DEP_2)
	v_fma_f32 v4, 0xcf800000, v4, |v3|
	v_ashrrev_i32_e32 v3, 31, v3
	v_cvt_u32_f32_e32 v4, v4
	s_delay_alu instid0(VALU_DEP_1) | instskip(NEXT) | instid1(VALU_DEP_1)
	v_xor_b32_e32 v4, v4, v3
	v_sub_nc_u32_e32 v3, v4, v3
	s_delay_alu instid0(VALU_DEP_1)
	v_cndmask_b32_e32 v3, 0, v3, vcc_lo
	global_store_b8 v[0:1], v3, off
.LBB150_445:
	s_branch .LBB150_612
.LBB150_446:
	s_cbranch_execnz .LBB150_448
; %bb.447:
	s_or_b32 s4, s2, exec_lo
	s_cbranch_execz .LBB150_378
	s_branch .LBB150_379
.LBB150_448:
	s_trap 2
	s_sendmsg_rtn_b32 s0, sendmsg(MSG_RTN_GET_DOORBELL)
	s_mov_b32 ttmp2, m0
	s_waitcnt lgkmcnt(0)
	s_and_b32 s0, s0, 0x3ff
	s_delay_alu instid0(SALU_CYCLE_1) | instskip(NEXT) | instid1(SALU_CYCLE_1)
	s_bitset1_b32 s0, 10
	s_mov_b32 m0, s0
	s_sendmsg sendmsg(MSG_INTERRUPT)
	s_mov_b32 m0, ttmp2
.LBB150_449:                            ; =>This Inner Loop Header: Depth=1
	s_sethalt 5
	s_branch .LBB150_449
.LBB150_450:
	s_mov_b32 s9, -1
                                        ; implicit-def: $sgpr0
.LBB150_451:
	v_mov_b32_e32 v4, s0
	s_and_not1_b32 vcc_lo, exec_lo, s9
                                        ; implicit-def: $sgpr0
	s_cbranch_vccnz .LBB150_453
; %bb.452:
	v_add_f32_e32 v3, 0x46000000, v3
	s_mov_b32 s0, 0
	s_delay_alu instid0(VALU_DEP_1) | instskip(NEXT) | instid1(VALU_DEP_1)
	v_and_b32_e32 v4, 0xff, v3
	v_cmp_ne_u32_e64 s8, 0, v4
.LBB150_453:
	v_mov_b32_e32 v5, s0
	s_delay_alu instid0(VALU_DEP_2)
	s_and_not1_b32 vcc_lo, exec_lo, s8
	s_cbranch_vccnz .LBB150_455
; %bb.454:
	v_mov_b32_e32 v5, v4
.LBB150_455:
	global_store_b8 v[0:1], v5, off
.LBB150_456:
	s_mov_b32 s0, -1
.LBB150_457:
	s_mov_b32 s1, 0
.LBB150_458:
	s_delay_alu instid0(SALU_CYCLE_1)
	s_and_b32 vcc_lo, exec_lo, s1
	s_cbranch_vccz .LBB150_607
; %bb.459:
	v_cmp_lt_i16_e32 vcc_lo, 22, v10
	s_mov_b32 s1, -1
	s_cbranch_vccz .LBB150_600
; %bb.460:
	v_cmp_gt_i16_e32 vcc_lo, 24, v10
	s_mov_b32 s0, -1
	s_cbranch_vccnz .LBB150_587
; %bb.461:
	v_cmp_lt_i16_e32 vcc_lo, 24, v10
	s_mov_b32 s7, -1
	s_cbranch_vccz .LBB150_574
; %bb.462:
	v_and_b32_e64 v3, 0xff, s19
	v_mov_b32_e32 v4, 0x7f800001
	s_and_b32 s0, s19, 0xff
	v_mov_b32_e32 v5, 0x80
	s_lshl_b32 s8, s0, 23
	v_cmp_eq_u16_e64 s1, 0xff, v3
	v_cmp_eq_u16_e64 s0, 0, v3
	s_mov_b32 s7, 0
	s_delay_alu instid0(VALU_DEP_2) | instskip(NEXT) | instid1(VALU_DEP_1)
	v_cndmask_b32_e64 v4, |s8|, v4, s1
	v_cndmask_b32_e64 v3, v4, 0x400000, s0
	s_delay_alu instid0(VALU_DEP_1)
	v_cmp_lt_u32_e32 vcc_lo, 0x477fffff, v3
	s_cbranch_vccnz .LBB150_573
; %bb.463:
	v_cmp_lt_u32_e32 vcc_lo, 0x37ffffff, v3
	s_cbranch_vccz .LBB150_568
; %bb.464:
	s_add_i32 s9, s8, 0x88fffff
	s_mov_b32 s8, 0
	s_lshr_b32 s9, s9, 21
	s_and_b32 s1, s1, exec_lo
	s_cselect_b32 s1, 0x440, s9
	s_and_b32 s0, s0, exec_lo
	s_cselect_b32 s1, 0x46, s1
	s_mov_b32 s0, -1
	s_branch .LBB150_569
.LBB150_465:
	s_mov_b32 s29, -1
	s_mov_b32 s28, 0
	s_mov_b32 s10, s25
.LBB150_466:
	s_and_b32 vcc_lo, exec_lo, s29
	s_cbranch_vccz .LBB150_469
; %bb.467:
	v_cmp_eq_u16_e32 vcc_lo, 44, v10
	s_mov_b32 s10, -1
	s_cbranch_vccz .LBB150_469
; %bb.468:
	v_mov_b32_e32 v2, s19
	s_mov_b32 s28, -1
	s_mov_b32 s10, 0
	global_store_b8 v[8:9], v2, off
.LBB150_469:
	s_mov_b32 s29, 0
.LBB150_470:
	s_delay_alu instid0(SALU_CYCLE_1)
	s_and_b32 vcc_lo, exec_lo, s29
	s_cbranch_vccz .LBB150_473
; %bb.471:
	v_cmp_eq_u16_e32 vcc_lo, 29, v10
	s_mov_b32 s10, -1
	s_cbranch_vccz .LBB150_473
; %bb.472:
	s_mov_b32 s28, -1
	s_mov_b32 s10, 0
	global_store_b64 v[8:9], v[6:7], off
.LBB150_473:
	s_mov_b32 s29, 0
.LBB150_474:
	s_delay_alu instid0(SALU_CYCLE_1)
	s_and_b32 vcc_lo, exec_lo, s29
	s_cbranch_vccz .LBB150_487
; %bb.475:
	v_cmp_gt_i16_e32 vcc_lo, 27, v10
	s_mov_b32 s28, -1
	s_cbranch_vccnz .LBB150_481
; %bb.476:
	v_cmp_lt_i16_e32 vcc_lo, 27, v10
	s_cbranch_vccz .LBB150_478
; %bb.477:
	s_mov_b32 s28, 0
	global_store_b32 v[8:9], v23, off
.LBB150_478:
	s_and_not1_b32 vcc_lo, exec_lo, s28
	s_cbranch_vccnz .LBB150_480
; %bb.479:
	global_store_b16 v[8:9], v23, off
.LBB150_480:
	s_mov_b32 s28, 0
.LBB150_481:
	s_delay_alu instid0(SALU_CYCLE_1)
	s_and_not1_b32 vcc_lo, exec_lo, s28
	s_cbranch_vccnz .LBB150_486
; %bb.482:
	v_mov_b32_e32 v2, 0x80
	s_and_not1_b32 vcc_lo, exec_lo, s8
	s_cbranch_vccnz .LBB150_485
; %bb.483:
	v_mov_b32_e32 v2, 0
	s_or_b32 s28, s7, s9
	s_delay_alu instid0(SALU_CYCLE_1)
	s_and_not1_b32 vcc_lo, exec_lo, s28
	s_cbranch_vccnz .LBB150_485
; %bb.484:
	v_cndmask_b32_e64 v2, v22, s21, s7
.LBB150_485:
	global_store_b8 v[8:9], v2, off
.LBB150_486:
	s_mov_b32 s28, -1
.LBB150_487:
	s_mov_b32 s29, 0
.LBB150_488:
	s_delay_alu instid0(SALU_CYCLE_1)
	s_and_b32 vcc_lo, exec_lo, s29
	s_cbranch_vccz .LBB150_510
; %bb.489:
	v_cmp_lt_i16_e32 vcc_lo, 22, v10
	s_mov_b32 s29, -1
	s_cbranch_vccz .LBB150_502
; %bb.490:
	v_cmp_gt_i16_e32 vcc_lo, 24, v10
	s_mov_b32 s28, -1
	s_cbranch_vccnz .LBB150_499
; %bb.491:
	v_cmp_lt_i16_e32 vcc_lo, 24, v10
	s_cbranch_vccz .LBB150_496
; %bb.492:
	v_mov_b32_e32 v2, 0x80
	s_and_not1_b32 vcc_lo, exec_lo, s5
	s_cbranch_vccnz .LBB150_495
; %bb.493:
	v_mov_b32_e32 v2, 0
	s_or_b32 s28, s4, s6
	s_delay_alu instid0(SALU_CYCLE_1)
	s_and_not1_b32 vcc_lo, exec_lo, s28
	s_cbranch_vccnz .LBB150_495
; %bb.494:
	v_cndmask_b32_e64 v2, v18, s20, s4
.LBB150_495:
	s_mov_b32 s28, 0
	global_store_b8 v[8:9], v2, off
.LBB150_496:
	s_and_b32 vcc_lo, exec_lo, s28
	s_cbranch_vccz .LBB150_498
; %bb.497:
	v_cndmask_b32_e64 v2, s15, v17, s3
	s_delay_alu instid0(VALU_DEP_1)
	v_cndmask_b32_e64 v2, v2, v21, s2
	global_store_b8 v[8:9], v2, off
.LBB150_498:
	s_mov_b32 s28, 0
.LBB150_499:
	s_delay_alu instid0(SALU_CYCLE_1)
	s_and_not1_b32 vcc_lo, exec_lo, s28
	s_cbranch_vccnz .LBB150_501
; %bb.500:
	v_cndmask_b32_e64 v2, s14, v19, s1
	s_delay_alu instid0(VALU_DEP_1)
	v_cndmask_b32_e64 v2, v2, v20, s0
	global_store_b8 v[8:9], v2, off
.LBB150_501:
	s_mov_b32 s29, 0
	s_mov_b32 s28, -1
.LBB150_502:
	s_and_not1_b32 vcc_lo, exec_lo, s29
	s_cbranch_vccnz .LBB150_510
; %bb.503:
	v_cmp_lt_i16_e32 vcc_lo, 14, v10
	s_mov_b32 s29, -1
	s_cbranch_vccz .LBB150_507
; %bb.504:
	v_cmp_eq_u16_e32 vcc_lo, 15, v10
	s_mov_b32 s10, -1
	s_cbranch_vccz .LBB150_506
; %bb.505:
	s_mov_b32 s28, -1
	s_mov_b32 s10, 0
	global_store_b16 v[8:9], v16, off
.LBB150_506:
	s_mov_b32 s29, 0
.LBB150_507:
	s_delay_alu instid0(SALU_CYCLE_1)
	s_and_b32 vcc_lo, exec_lo, s29
	s_cbranch_vccz .LBB150_510
; %bb.508:
	v_cmp_eq_u16_e32 vcc_lo, 11, v10
	s_mov_b32 s10, -1
	s_cbranch_vccz .LBB150_510
; %bb.509:
	v_mov_b32_e32 v2, 1
	s_mov_b32 s28, -1
	s_mov_b32 s10, 0
	global_store_b8 v[8:9], v2, off
.LBB150_510:
	s_mov_b32 s29, 0
.LBB150_511:
	s_delay_alu instid0(SALU_CYCLE_1)
	s_and_b32 vcc_lo, exec_lo, s29
	s_cbranch_vccz .LBB150_550
; %bb.512:
	v_cmp_gt_i16_e32 vcc_lo, 5, v10
	s_mov_b32 s28, -1
	s_cbranch_vccnz .LBB150_533
; %bb.513:
	v_cmp_gt_i16_e32 vcc_lo, 8, v10
	s_cbranch_vccnz .LBB150_523
; %bb.514:
	v_cmp_gt_i16_e32 vcc_lo, 9, v10
	s_cbranch_vccnz .LBB150_520
; %bb.515:
	v_cmp_lt_i16_e32 vcc_lo, 9, v10
	s_cbranch_vccz .LBB150_517
; %bb.516:
	v_mov_b32_e32 v2, 0
	s_mov_b32 s28, 0
	s_delay_alu instid0(VALU_DEP_1)
	v_mov_b32_e32 v3, v2
	global_store_b128 v[8:9], v[0:3], off
.LBB150_517:
	s_and_not1_b32 vcc_lo, exec_lo, s28
	s_cbranch_vccnz .LBB150_519
; %bb.518:
	v_dual_mov_b32 v2, s11 :: v_dual_mov_b32 v3, 0
	global_store_b64 v[8:9], v[2:3], off
.LBB150_519:
	s_mov_b32 s28, 0
.LBB150_520:
	s_delay_alu instid0(SALU_CYCLE_1)
	s_and_not1_b32 vcc_lo, exec_lo, s28
	s_cbranch_vccnz .LBB150_522
; %bb.521:
	global_store_b32 v[8:9], v15, off
.LBB150_522:
	s_mov_b32 s28, 0
.LBB150_523:
	s_delay_alu instid0(SALU_CYCLE_1)
	s_and_not1_b32 vcc_lo, exec_lo, s28
	s_cbranch_vccnz .LBB150_532
; %bb.524:
	v_cmp_gt_i16_e32 vcc_lo, 6, v10
	s_mov_b32 s28, -1
	s_cbranch_vccnz .LBB150_530
; %bb.525:
	v_cmp_lt_i16_e32 vcc_lo, 6, v10
	s_cbranch_vccz .LBB150_527
; %bb.526:
	s_mov_b32 s28, 0
	global_store_b64 v[8:9], v[0:1], off
.LBB150_527:
	s_and_not1_b32 vcc_lo, exec_lo, s28
	s_cbranch_vccnz .LBB150_529
; %bb.528:
	global_store_b32 v[8:9], v14, off
.LBB150_529:
	s_mov_b32 s28, 0
.LBB150_530:
	s_delay_alu instid0(SALU_CYCLE_1)
	s_and_not1_b32 vcc_lo, exec_lo, s28
	s_cbranch_vccnz .LBB150_532
; %bb.531:
	global_store_b16 v[8:9], v15, off
.LBB150_532:
	s_mov_b32 s28, 0
.LBB150_533:
	s_delay_alu instid0(SALU_CYCLE_1)
	s_and_not1_b32 vcc_lo, exec_lo, s28
	s_cbranch_vccnz .LBB150_549
; %bb.534:
	v_cmp_gt_i16_e32 vcc_lo, 2, v10
	s_mov_b32 s28, -1
	s_cbranch_vccnz .LBB150_544
; %bb.535:
	v_cmp_gt_i16_e32 vcc_lo, 3, v10
	s_cbranch_vccnz .LBB150_541
; %bb.536:
	v_cmp_lt_i16_e32 vcc_lo, 3, v10
	s_cbranch_vccz .LBB150_538
; %bb.537:
	s_mov_b32 s28, 0
	global_store_b64 v[8:9], v[4:5], off
.LBB150_538:
	s_and_not1_b32 vcc_lo, exec_lo, s28
	s_cbranch_vccnz .LBB150_540
; %bb.539:
	global_store_b32 v[8:9], v13, off
.LBB150_540:
	s_mov_b32 s28, 0
.LBB150_541:
	s_delay_alu instid0(SALU_CYCLE_1)
	s_and_not1_b32 vcc_lo, exec_lo, s28
	s_cbranch_vccnz .LBB150_543
; %bb.542:
	global_store_b16 v[8:9], v13, off
.LBB150_543:
	s_mov_b32 s28, 0
.LBB150_544:
	s_delay_alu instid0(SALU_CYCLE_1)
	s_and_not1_b32 vcc_lo, exec_lo, s28
	s_cbranch_vccnz .LBB150_549
; %bb.545:
	v_cmp_lt_i16_e32 vcc_lo, 0, v10
	s_mov_b32 s28, -1
	s_cbranch_vccz .LBB150_547
; %bb.546:
	s_mov_b32 s28, 0
	global_store_b8 v[8:9], v12, off
.LBB150_547:
	s_and_not1_b32 vcc_lo, exec_lo, s28
	s_cbranch_vccnz .LBB150_549
; %bb.548:
	global_store_b8 v[8:9], v11, off
.LBB150_549:
	s_mov_b32 s28, -1
.LBB150_550:
	s_delay_alu instid0(SALU_CYCLE_1)
	s_and_not1_b32 vcc_lo, exec_lo, s28
	s_cbranch_vccnz .LBB150_552
; %bb.551:
	v_add_nc_u32_e32 v24, 0x80, v24
	s_mov_b32 s29, -1
	s_branch .LBB150_553
.LBB150_552:
	s_mov_b32 s29, 0
                                        ; implicit-def: $vgpr24
.LBB150_553:
	s_and_not1_b32 s28, s25, exec_lo
	s_and_b32 s10, s10, exec_lo
	s_or_not1_b32 s30, s29, exec_lo
	s_or_b32 s28, s28, s10
.LBB150_554:
	s_or_b32 exec_lo, exec_lo, s27
	s_mov_b32 s10, 0
	s_mov_b32 s29, 0
                                        ; implicit-def: $vgpr8_vgpr9
	s_and_saveexec_b32 s27, s30
	s_cbranch_execz .LBB150_783
; %bb.555:
	v_cmp_gt_i32_e32 vcc_lo, s22, v24
	s_mov_b32 s30, s28
                                        ; implicit-def: $vgpr8_vgpr9
	s_and_saveexec_b32 s22, vcc_lo
	s_cbranch_execz .LBB150_782
; %bb.556:
	v_mul_lo_u32 v2, v24, s18
	v_cmp_gt_i16_e32 vcc_lo, 11, v10
	s_delay_alu instid0(VALU_DEP_2) | instskip(SKIP_1) | instid1(VALU_DEP_1)
	v_ashrrev_i32_e32 v3, 31, v2
	v_add_co_u32 v8, s10, s16, v2
	v_add_co_ci_u32_e64 v9, s10, s17, v3, s10
	s_cbranch_vccnz .LBB150_567
; %bb.557:
	v_cmp_lt_i16_e32 vcc_lo, 25, v10
	s_mov_b32 s29, -1
	s_mov_b32 s10, s28
	s_cbranch_vccz .LBB150_759
; %bb.558:
	v_cmp_lt_i16_e32 vcc_lo, 28, v10
	s_mov_b32 s10, s28
	s_cbranch_vccz .LBB150_746
; %bb.559:
	v_cmp_lt_i16_e32 vcc_lo, 43, v10
	;; [unrolled: 4-line block ×3, first 2 shown]
	s_mov_b32 s10, s28
	s_cbranch_vccz .LBB150_564
; %bb.561:
	v_cmp_eq_u16_e32 vcc_lo, 46, v10
	s_mov_b32 s10, -1
	s_cbranch_vccz .LBB150_563
; %bb.562:
	s_mov_b32 s10, 0
	global_store_b32 v[8:9], v16, off
.LBB150_563:
	s_mov_b32 s29, 0
.LBB150_564:
	s_delay_alu instid0(SALU_CYCLE_1)
	s_and_b32 vcc_lo, exec_lo, s29
	s_cbranch_vccz .LBB150_741
; %bb.565:
	v_cmp_eq_u16_e32 vcc_lo, 44, v10
	s_mov_b32 s10, -1
	s_cbranch_vccz .LBB150_741
; %bb.566:
	v_mov_b32_e32 v2, s19
	s_mov_b32 s10, 0
	s_mov_b32 s29, 0
	global_store_b8 v[8:9], v2, off
	s_branch .LBB150_742
.LBB150_567:
	s_mov_b32 s0, 0
	s_mov_b32 s7, -1
	s_mov_b32 s10, s28
	s_branch .LBB150_781
.LBB150_568:
	s_mov_b32 s8, -1
	s_mov_b32 s0, 0
                                        ; implicit-def: $sgpr1
.LBB150_569:
	v_mov_b32_e32 v4, s1
	s_and_not1_b32 vcc_lo, exec_lo, s8
                                        ; implicit-def: $sgpr1
	s_cbranch_vccnz .LBB150_571
; %bb.570:
	v_add_f32_e32 v3, 0x42800000, v3
	s_mov_b32 s1, 0
	s_delay_alu instid0(VALU_DEP_1) | instskip(NEXT) | instid1(VALU_DEP_1)
	v_and_b32_e32 v4, 0xff, v3
	v_cmp_ne_u32_e64 s0, 0, v4
.LBB150_571:
	v_mov_b32_e32 v5, s1
	s_delay_alu instid0(VALU_DEP_2)
	s_and_not1_b32 vcc_lo, exec_lo, s0
	s_cbranch_vccnz .LBB150_573
; %bb.572:
	v_mov_b32_e32 v5, v4
.LBB150_573:
	global_store_b8 v[0:1], v5, off
.LBB150_574:
	s_and_b32 vcc_lo, exec_lo, s7
	s_cbranch_vccz .LBB150_586
; %bb.575:
	v_and_b32_e64 v3, 0xff, s19
	v_mov_b32_e32 v4, 0x7f800001
	s_and_b32 s0, s19, 0xff
	s_delay_alu instid0(SALU_CYCLE_1) | instskip(NEXT) | instid1(VALU_DEP_2)
	s_lshl_b32 s7, s0, 23
	v_cmp_eq_u16_e64 s1, 0xff, v3
	v_cmp_eq_u16_e64 s0, 0, v3
	s_delay_alu instid0(VALU_DEP_2) | instskip(NEXT) | instid1(VALU_DEP_1)
	v_cndmask_b32_e64 v4, |s7|, v4, s1
	v_cndmask_b32_e64 v3, v4, 0x400000, s0
	s_delay_alu instid0(VALU_DEP_1)
	v_cmp_gt_u32_e32 vcc_lo, 0x43f00000, v3
	s_cbranch_vccz .LBB150_578
; %bb.576:
	v_cmp_lt_u32_e32 vcc_lo, 0x3c7fffff, v3
	s_cbranch_vccz .LBB150_579
; %bb.577:
	s_add_i32 s7, s7, 0x407ffff
	s_delay_alu instid0(SALU_CYCLE_1)
	s_lshr_b32 s7, s7, 20
	s_and_b32 s1, s1, exec_lo
	s_cselect_b32 s1, 0x838, s7
	s_and_b32 s0, s0, exec_lo
	s_cselect_b32 s1, 0x44, s1
	s_mov_b32 s0, 0
	s_branch .LBB150_580
.LBB150_578:
	s_mov_b32 s0, -1
                                        ; implicit-def: $vgpr4
	s_branch .LBB150_583
.LBB150_579:
	s_mov_b32 s0, -1
                                        ; implicit-def: $sgpr1
.LBB150_580:
	v_mov_b32_e32 v4, s1
	s_and_not1_b32 vcc_lo, exec_lo, s0
	s_cbranch_vccnz .LBB150_582
; %bb.581:
	v_add_f32_e32 v4, 0x46800000, v3
.LBB150_582:
	s_mov_b32 s0, 0
.LBB150_583:
	s_delay_alu instid0(SALU_CYCLE_1)
	s_and_not1_b32 vcc_lo, exec_lo, s0
	s_cbranch_vccnz .LBB150_585
; %bb.584:
	v_mov_b32_e32 v4, 0x7f
	v_cmp_lt_u32_e32 vcc_lo, 0x7f800000, v3
	s_delay_alu instid0(VALU_DEP_2)
	v_cndmask_b32_e32 v4, 0x7e, v4, vcc_lo
.LBB150_585:
	global_store_b8 v[0:1], v4, off
.LBB150_586:
	s_mov_b32 s0, 0
.LBB150_587:
	s_delay_alu instid0(SALU_CYCLE_1)
	s_and_not1_b32 vcc_lo, exec_lo, s0
	s_cbranch_vccnz .LBB150_599
; %bb.588:
	v_and_b32_e64 v3, 0xff, s19
	v_mov_b32_e32 v4, 0x7f800001
	s_and_b32 s0, s19, 0xff
	s_delay_alu instid0(SALU_CYCLE_1) | instskip(NEXT) | instid1(VALU_DEP_2)
	s_lshl_b32 s7, s0, 23
	v_cmp_eq_u16_e64 s1, 0xff, v3
	v_cmp_eq_u16_e64 s0, 0, v3
	s_delay_alu instid0(VALU_DEP_2) | instskip(NEXT) | instid1(VALU_DEP_1)
	v_cndmask_b32_e64 v4, |s7|, v4, s1
	v_cndmask_b32_e64 v3, v4, 0x400000, s0
	s_delay_alu instid0(VALU_DEP_1)
	v_cmp_gt_u32_e32 vcc_lo, 0x47800000, v3
	s_cbranch_vccz .LBB150_591
; %bb.589:
	v_cmp_lt_u32_e32 vcc_lo, 0x387fffff, v3
	s_cbranch_vccz .LBB150_592
; %bb.590:
	s_add_i32 s7, s7, 0x80fffff
	s_delay_alu instid0(SALU_CYCLE_1)
	s_lshr_b32 s7, s7, 21
	s_and_b32 s1, s1, exec_lo
	s_cselect_b32 s1, 0x43c, s7
	s_and_b32 s0, s0, exec_lo
	s_cselect_b32 s1, 0x42, s1
	s_mov_b32 s0, 0
	s_branch .LBB150_593
.LBB150_591:
	s_mov_b32 s0, -1
                                        ; implicit-def: $vgpr4
	s_branch .LBB150_596
.LBB150_592:
	s_mov_b32 s0, -1
                                        ; implicit-def: $sgpr1
.LBB150_593:
	v_mov_b32_e32 v4, s1
	s_and_not1_b32 vcc_lo, exec_lo, s0
	s_cbranch_vccnz .LBB150_595
; %bb.594:
	v_add_f32_e32 v4, 0x43000000, v3
.LBB150_595:
	s_mov_b32 s0, 0
.LBB150_596:
	s_delay_alu instid0(SALU_CYCLE_1)
	s_and_not1_b32 vcc_lo, exec_lo, s0
	s_cbranch_vccnz .LBB150_598
; %bb.597:
	v_mov_b32_e32 v4, 0x7f
	v_cmp_lt_u32_e32 vcc_lo, 0x7f800000, v3
	s_delay_alu instid0(VALU_DEP_2)
	v_cndmask_b32_e32 v4, 0x7c, v4, vcc_lo
.LBB150_598:
	global_store_b8 v[0:1], v4, off
.LBB150_599:
	s_mov_b32 s1, 0
	s_mov_b32 s0, -1
.LBB150_600:
	s_and_not1_b32 vcc_lo, exec_lo, s1
	s_mov_b32 s7, 0
	s_cbranch_vccnz .LBB150_607
; %bb.601:
	v_cmp_lt_i16_e32 vcc_lo, 14, v10
	s_mov_b32 s1, -1
	s_cbranch_vccz .LBB150_605
; %bb.602:
	v_cmp_eq_u16_e32 vcc_lo, 15, v10
	s_mov_b32 s6, -1
	s_cbranch_vccz .LBB150_604
; %bb.603:
	v_and_b32_e64 v3, 0xff, s19
	s_and_b32 s0, s19, 0xff
	s_mov_b32 s6, 0
	s_lshl_b32 s0, s0, 23
	s_delay_alu instid0(SALU_CYCLE_1) | instskip(SKIP_2) | instid1(VALU_DEP_2)
	v_mov_b32_e32 v4, s0
	v_cmp_ne_u16_e32 vcc_lo, 0xff, v3
	s_mov_b32 s0, -1
	v_cndmask_b32_e32 v4, 0x7f800001, v4, vcc_lo
	v_cmp_ne_u16_e32 vcc_lo, 0, v3
	s_delay_alu instid0(VALU_DEP_2) | instskip(NEXT) | instid1(VALU_DEP_1)
	v_cndmask_b32_e32 v3, 0x400000, v4, vcc_lo
	v_add_nc_u32_e32 v4, 0x7fff, v3
	v_cmp_o_f32_e32 vcc_lo, v3, v3
	s_delay_alu instid0(VALU_DEP_2) | instskip(NEXT) | instid1(VALU_DEP_1)
	v_lshrrev_b32_e32 v4, 16, v4
	v_cndmask_b32_e32 v3, 0x7fc0, v4, vcc_lo
	global_store_b16 v[0:1], v3, off
.LBB150_604:
	s_mov_b32 s1, 0
.LBB150_605:
	s_delay_alu instid0(SALU_CYCLE_1)
	s_and_b32 vcc_lo, exec_lo, s1
	s_cbranch_vccz .LBB150_607
; %bb.606:
	v_cmp_ne_u16_e64 s6, 11, v10
	s_mov_b32 s7, -1
.LBB150_607:
	s_delay_alu instid0(VALU_DEP_1)
	s_and_b32 vcc_lo, exec_lo, s6
	s_cbranch_vccnz .LBB150_722
; %bb.608:
	s_and_not1_b32 vcc_lo, exec_lo, s7
	s_cbranch_vccnz .LBB150_610
.LBB150_609:
	v_mov_b32_e32 v3, 1
	s_mov_b32 s0, -1
	global_store_b8 v[0:1], v3, off
.LBB150_610:
.LBB150_611:
	s_and_not1_b32 vcc_lo, exec_lo, s0
	s_cbranch_vccnz .LBB150_677
.LBB150_612:
	v_add_nc_u32_e32 v2, s5, v2
	v_cmp_gt_i16_e32 vcc_lo, 11, v10
	s_delay_alu instid0(VALU_DEP_2) | instskip(SKIP_1) | instid1(VALU_DEP_1)
	v_ashrrev_i32_e32 v1, 31, v2
	v_add_co_u32 v0, s0, s16, v2
	v_add_co_ci_u32_e64 v1, s0, s17, v1, s0
	s_cbranch_vccnz .LBB150_638
; %bb.613:
	v_cmp_lt_i16_e32 vcc_lo, 25, v10
	s_mov_b32 s1, -1
	s_mov_b32 s7, 0
	s_mov_b32 s0, 0
	;; [unrolled: 1-line block ×3, first 2 shown]
	s_cbranch_vccz .LBB150_734
; %bb.614:
	v_cmp_lt_i16_e32 vcc_lo, 28, v10
	s_cbranch_vccz .LBB150_627
; %bb.615:
	v_cmp_lt_i16_e32 vcc_lo, 43, v10
	;; [unrolled: 3-line block ×3, first 2 shown]
	s_cbranch_vccz .LBB150_619
; %bb.617:
	v_cmp_eq_u16_e32 vcc_lo, 46, v10
	s_mov_b32 s6, -1
	s_mov_b32 s1, 0
	s_cbranch_vccz .LBB150_619
; %bb.618:
	v_and_b32_e64 v3, 0xff, s19
	s_and_b32 s0, s19, 0xff
	s_mov_b32 s6, 0
	s_lshl_b32 s0, s0, 23
	s_delay_alu instid0(SALU_CYCLE_1) | instskip(SKIP_2) | instid1(VALU_DEP_2)
	v_mov_b32_e32 v4, s0
	v_cmp_ne_u16_e32 vcc_lo, 0xff, v3
	s_mov_b32 s0, -1
	v_cndmask_b32_e32 v4, 0x7f800001, v4, vcc_lo
	v_cmp_ne_u16_e32 vcc_lo, 0, v3
	s_delay_alu instid0(VALU_DEP_2) | instskip(NEXT) | instid1(VALU_DEP_1)
	v_cndmask_b32_e32 v3, 0x400000, v4, vcc_lo
	v_add_nc_u32_e32 v4, 0x7fff, v3
	v_cmp_o_f32_e32 vcc_lo, v3, v3
	s_delay_alu instid0(VALU_DEP_2) | instskip(NEXT) | instid1(VALU_DEP_1)
	v_lshrrev_b32_e32 v4, 16, v4
	v_cndmask_b32_e32 v3, 0x7fc0, v4, vcc_lo
	global_store_b32 v[0:1], v3, off
.LBB150_619:
	s_and_b32 vcc_lo, exec_lo, s1
	s_cbranch_vccz .LBB150_622
; %bb.620:
	v_cmp_eq_u16_e32 vcc_lo, 44, v10
	s_mov_b32 s6, -1
	s_cbranch_vccz .LBB150_622
; %bb.621:
	v_mov_b32_e32 v3, s19
	s_mov_b32 s6, 0
	s_mov_b32 s0, -1
	global_store_b8 v[0:1], v3, off
.LBB150_622:
	s_mov_b32 s1, 0
.LBB150_623:
	s_delay_alu instid0(SALU_CYCLE_1)
	s_and_b32 vcc_lo, exec_lo, s1
	s_cbranch_vccz .LBB150_626
; %bb.624:
	v_cmp_eq_u16_e32 vcc_lo, 29, v10
	s_mov_b32 s6, -1
	s_cbranch_vccz .LBB150_626
; %bb.625:
	s_and_b32 s0, s19, 0xff
	v_and_b32_e64 v5, 0xff, s19
	s_lshl_b32 s0, s0, 23
	s_mov_b32 s6, 0
	v_trunc_f32_e32 v3, s0
	s_mov_b32 s0, -1
	v_cmp_ne_u16_e32 vcc_lo, 0, v5
	s_delay_alu instid0(VALU_DEP_2) | instskip(NEXT) | instid1(VALU_DEP_1)
	v_mul_f32_e32 v4, 0x2f800000, v3
	v_floor_f32_e32 v4, v4
	s_delay_alu instid0(VALU_DEP_1) | instskip(SKIP_1) | instid1(VALU_DEP_1)
	v_fmamk_f32 v3, v4, 0xcf800000, v3
	v_cvt_u32_f32_e32 v4, v4
	v_cndmask_b32_e32 v4, 0, v4, vcc_lo
	s_delay_alu instid0(VALU_DEP_3) | instskip(NEXT) | instid1(VALU_DEP_1)
	v_cvt_u32_f32_e32 v3, v3
	v_cndmask_b32_e32 v3, 0, v3, vcc_lo
	global_store_b64 v[0:1], v[3:4], off
.LBB150_626:
	s_mov_b32 s1, 0
.LBB150_627:
	s_delay_alu instid0(SALU_CYCLE_1)
	s_and_b32 vcc_lo, exec_lo, s1
	s_cbranch_vccz .LBB150_733
; %bb.628:
	v_cmp_gt_i16_e32 vcc_lo, 27, v10
	s_mov_b32 s0, -1
	s_cbranch_vccnz .LBB150_634
; %bb.629:
	v_cmp_lt_i16_e32 vcc_lo, 27, v10
	s_cbranch_vccz .LBB150_631
; %bb.630:
	v_and_b32_e64 v3, 0xff, s19
	s_and_b32 s0, s19, 0xff
	s_delay_alu instid0(SALU_CYCLE_1) | instskip(NEXT) | instid1(SALU_CYCLE_1)
	s_lshl_b32 s0, s0, 23
	v_cvt_u32_f32_e32 v4, s0
	s_delay_alu instid0(VALU_DEP_2) | instskip(SKIP_1) | instid1(VALU_DEP_2)
	v_cmp_ne_u16_e32 vcc_lo, 0, v3
	s_mov_b32 s0, 0
	v_cndmask_b32_e32 v3, 0, v4, vcc_lo
	global_store_b32 v[0:1], v3, off
.LBB150_631:
	s_and_not1_b32 vcc_lo, exec_lo, s0
	s_cbranch_vccnz .LBB150_633
; %bb.632:
	v_and_b32_e64 v3, 0xff, s19
	s_and_b32 s0, s19, 0xff
	s_delay_alu instid0(SALU_CYCLE_1) | instskip(NEXT) | instid1(SALU_CYCLE_1)
	s_lshl_b32 s0, s0, 23
	v_cvt_u32_f32_e32 v4, s0
	s_delay_alu instid0(VALU_DEP_2) | instskip(NEXT) | instid1(VALU_DEP_2)
	v_cmp_ne_u16_e32 vcc_lo, 0, v3
	v_cndmask_b32_e32 v3, 0, v4, vcc_lo
	global_store_b16 v[0:1], v3, off
.LBB150_633:
	s_mov_b32 s0, 0
.LBB150_634:
	s_delay_alu instid0(SALU_CYCLE_1)
	s_and_not1_b32 vcc_lo, exec_lo, s0
	s_cbranch_vccnz .LBB150_732
; %bb.635:
	v_and_b32_e64 v3, 0xff, s19
	v_mov_b32_e32 v4, 0x7f800001
	s_and_b32 s0, s19, 0xff
	v_mov_b32_e32 v5, 0x80
	s_lshl_b32 s9, s0, 23
	v_cmp_eq_u16_e64 s1, 0xff, v3
	v_cmp_eq_u16_e64 s0, 0, v3
	s_mov_b32 s8, 0
	s_delay_alu instid0(VALU_DEP_2) | instskip(NEXT) | instid1(VALU_DEP_1)
	v_cndmask_b32_e64 v4, |s9|, v4, s1
	v_cndmask_b32_e64 v3, v4, 0x400000, s0
	s_delay_alu instid0(VALU_DEP_1)
	v_cmp_lt_u32_e32 vcc_lo, 0x437fffff, v3
	s_cbranch_vccnz .LBB150_731
; %bb.636:
	v_cmp_lt_u32_e32 vcc_lo, 0x3bffffff, v3
	s_cbranch_vccz .LBB150_726
; %bb.637:
	s_add_i32 s8, s9, 0x487ffff
	s_mov_b32 s9, 0
	s_lshr_b32 s8, s8, 20
	s_and_b32 s1, s1, exec_lo
	s_cselect_b32 s1, 0x840, s8
	s_and_b32 s0, s0, exec_lo
	s_cselect_b32 s0, 0x4c, s1
	s_mov_b32 s8, -1
	s_branch .LBB150_727
.LBB150_638:
	s_mov_b32 s0, 0
	s_cbranch_execz .LBB150_832
; %bb.639:
	v_cmp_gt_i16_e32 vcc_lo, 5, v10
	s_mov_b32 s0, -1
	s_cbranch_vccnz .LBB150_660
; %bb.640:
	v_cmp_gt_i16_e32 vcc_lo, 8, v10
	s_cbranch_vccnz .LBB150_650
; %bb.641:
	v_cmp_gt_i16_e32 vcc_lo, 9, v10
	s_cbranch_vccnz .LBB150_647
; %bb.642:
	v_cmp_lt_i16_e32 vcc_lo, 9, v10
	s_cbranch_vccz .LBB150_644
; %bb.643:
	s_and_b32 s0, s19, 0xff
	v_and_b32_e64 v5, 0xff, s19
	s_lshl_b32 s0, s0, 23
	s_delay_alu instid0(SALU_CYCLE_1) | instskip(SKIP_1) | instid1(VALU_DEP_2)
	v_cvt_f64_f32_e32 v[3:4], s0
	s_mov_b32 s0, 0
	v_cmp_ne_u16_e32 vcc_lo, 0xff, v5
	s_delay_alu instid0(VALU_DEP_2) | instskip(NEXT) | instid1(VALU_DEP_3)
	v_cndmask_b32_e32 v3, 0x20000000, v3, vcc_lo
	v_cndmask_b32_e32 v4, 0x7ff80000, v4, vcc_lo
	v_cmp_ne_u16_e32 vcc_lo, 0, v5
	s_delay_alu instid0(VALU_DEP_2) | instskip(NEXT) | instid1(VALU_DEP_1)
	v_dual_mov_b32 v5, 0 :: v_dual_cndmask_b32 v4, 0x38000000, v4
	v_dual_mov_b32 v6, v5 :: v_dual_cndmask_b32 v3, 0, v3
	global_store_b128 v[0:1], v[3:6], off
.LBB150_644:
	s_and_not1_b32 vcc_lo, exec_lo, s0
	s_cbranch_vccnz .LBB150_646
; %bb.645:
	v_and_b32_e64 v3, 0xff, s19
	s_and_b32 s1, s19, 0xff
	v_mov_b32_e32 v4, 0
	s_lshl_b32 s1, s1, 23
	s_delay_alu instid0(VALU_DEP_2) | instskip(SKIP_3) | instid1(VALU_DEP_1)
	v_cmp_ne_u16_e32 vcc_lo, 0xff, v3
	v_cmp_ne_u16_e64 s0, 0, v3
	s_and_b32 s6, vcc_lo, exec_lo
	s_cselect_b32 s1, s1, 0x7f800001
	s_and_b32 s0, s0, exec_lo
	s_cselect_b32 s0, s1, 0x400000
	s_delay_alu instid0(SALU_CYCLE_1)
	v_mov_b32_e32 v3, s0
	global_store_b64 v[0:1], v[3:4], off
.LBB150_646:
	s_mov_b32 s0, 0
.LBB150_647:
	s_delay_alu instid0(SALU_CYCLE_1)
	s_and_not1_b32 vcc_lo, exec_lo, s0
	s_cbranch_vccnz .LBB150_649
; %bb.648:
	s_and_b32 s0, s19, 0xff
	v_and_b32_e64 v4, 0xff, s19
	s_lshl_b32 s0, s0, 23
	s_delay_alu instid0(SALU_CYCLE_1) | instskip(NEXT) | instid1(VALU_DEP_2)
	v_cvt_f16_f32_e32 v3, s0
	v_cmp_ne_u16_e32 vcc_lo, 0xff, v4
	s_delay_alu instid0(VALU_DEP_2) | instskip(NEXT) | instid1(VALU_DEP_1)
	v_and_b32_e32 v3, 0xffff, v3
	v_cndmask_b32_e32 v3, 0x7e00, v3, vcc_lo
	v_cmp_ne_u16_e32 vcc_lo, 0, v4
	s_delay_alu instid0(VALU_DEP_2)
	v_cndmask_b32_e32 v3, 0, v3, vcc_lo
	global_store_b32 v[0:1], v3, off
.LBB150_649:
	s_mov_b32 s0, 0
.LBB150_650:
	s_delay_alu instid0(SALU_CYCLE_1)
	s_and_not1_b32 vcc_lo, exec_lo, s0
	s_cbranch_vccnz .LBB150_659
; %bb.651:
	v_cmp_gt_i16_e32 vcc_lo, 6, v10
	s_mov_b32 s0, -1
	s_cbranch_vccnz .LBB150_657
; %bb.652:
	v_cmp_lt_i16_e32 vcc_lo, 6, v10
	s_cbranch_vccz .LBB150_654
; %bb.653:
	s_and_b32 s0, s19, 0xff
	v_and_b32_e64 v5, 0xff, s19
	s_lshl_b32 s0, s0, 23
	s_delay_alu instid0(SALU_CYCLE_1) | instskip(SKIP_1) | instid1(VALU_DEP_2)
	v_cvt_f64_f32_e32 v[3:4], s0
	s_mov_b32 s0, 0
	v_cmp_ne_u16_e32 vcc_lo, 0xff, v5
	s_delay_alu instid0(VALU_DEP_2) | instskip(NEXT) | instid1(VALU_DEP_3)
	v_cndmask_b32_e32 v3, 0x20000000, v3, vcc_lo
	v_cndmask_b32_e32 v4, 0x7ff80000, v4, vcc_lo
	v_cmp_ne_u16_e32 vcc_lo, 0, v5
	s_delay_alu instid0(VALU_DEP_2) | instskip(NEXT) | instid1(VALU_DEP_4)
	v_cndmask_b32_e32 v4, 0x38000000, v4, vcc_lo
	v_cndmask_b32_e32 v3, 0, v3, vcc_lo
	global_store_b64 v[0:1], v[3:4], off
.LBB150_654:
	s_and_not1_b32 vcc_lo, exec_lo, s0
	s_cbranch_vccnz .LBB150_656
; %bb.655:
	v_and_b32_e64 v3, 0xff, s19
	s_and_b32 s0, s19, 0xff
	s_delay_alu instid0(SALU_CYCLE_1) | instskip(NEXT) | instid1(SALU_CYCLE_1)
	s_lshl_b32 s0, s0, 23
	v_mov_b32_e32 v4, s0
	s_delay_alu instid0(VALU_DEP_2) | instskip(NEXT) | instid1(VALU_DEP_2)
	v_cmp_ne_u16_e32 vcc_lo, 0xff, v3
	v_cndmask_b32_e32 v4, 0x7f800001, v4, vcc_lo
	v_cmp_ne_u16_e32 vcc_lo, 0, v3
	s_delay_alu instid0(VALU_DEP_2)
	v_cndmask_b32_e32 v3, 0x400000, v4, vcc_lo
	global_store_b32 v[0:1], v3, off
.LBB150_656:
	s_mov_b32 s0, 0
.LBB150_657:
	s_delay_alu instid0(SALU_CYCLE_1)
	s_and_not1_b32 vcc_lo, exec_lo, s0
	s_cbranch_vccnz .LBB150_659
; %bb.658:
	v_and_b32_e64 v3, 0xff, s19
	s_and_b32 s0, s19, 0xff
	s_delay_alu instid0(SALU_CYCLE_1) | instskip(NEXT) | instid1(SALU_CYCLE_1)
	s_lshl_b32 s0, s0, 23
	v_cvt_f16_f32_e32 v4, s0
	s_delay_alu instid0(VALU_DEP_2) | instskip(NEXT) | instid1(VALU_DEP_2)
	v_cmp_ne_u16_e32 vcc_lo, 0xff, v3
	v_cndmask_b32_e32 v4, 0x7e00, v4, vcc_lo
	v_cmp_ne_u16_e32 vcc_lo, 0, v3
	s_delay_alu instid0(VALU_DEP_2)
	v_cndmask_b32_e32 v3, 0, v4, vcc_lo
	global_store_b16 v[0:1], v3, off
.LBB150_659:
	s_mov_b32 s0, 0
.LBB150_660:
	s_delay_alu instid0(SALU_CYCLE_1)
	s_and_not1_b32 vcc_lo, exec_lo, s0
	s_cbranch_vccnz .LBB150_676
; %bb.661:
	v_cmp_gt_i16_e32 vcc_lo, 2, v10
	s_mov_b32 s0, -1
	s_cbranch_vccnz .LBB150_671
; %bb.662:
	v_cmp_gt_i16_e32 vcc_lo, 3, v10
	s_cbranch_vccnz .LBB150_668
; %bb.663:
	v_cmp_lt_i16_e32 vcc_lo, 3, v10
	s_cbranch_vccz .LBB150_665
; %bb.664:
	s_and_b32 s0, s19, 0xff
	v_and_b32_e64 v6, 0xff, s19
	s_lshl_b32 s0, s0, 23
	s_delay_alu instid0(SALU_CYCLE_1) | instskip(SKIP_1) | instid1(VALU_DEP_1)
	v_trunc_f32_e32 v3, s0
	s_mov_b32 s0, 0
	v_mul_f32_e64 v4, 0x2f800000, |v3|
	s_delay_alu instid0(VALU_DEP_1) | instskip(NEXT) | instid1(VALU_DEP_1)
	v_floor_f32_e32 v4, v4
	v_fma_f32 v5, 0xcf800000, v4, |v3|
	v_ashrrev_i32_e32 v3, 31, v3
	v_cvt_u32_f32_e32 v4, v4
	s_delay_alu instid0(VALU_DEP_3) | instskip(NEXT) | instid1(VALU_DEP_2)
	v_cvt_u32_f32_e32 v5, v5
	v_xor_b32_e32 v4, v4, v3
	s_delay_alu instid0(VALU_DEP_2) | instskip(NEXT) | instid1(VALU_DEP_1)
	v_xor_b32_e32 v5, v5, v3
	v_sub_co_u32 v5, vcc_lo, v5, v3
	s_delay_alu instid0(VALU_DEP_3) | instskip(SKIP_1) | instid1(VALU_DEP_2)
	v_sub_co_ci_u32_e32 v3, vcc_lo, v4, v3, vcc_lo
	v_cmp_ne_u16_e32 vcc_lo, 0, v6
	v_dual_cndmask_b32 v4, 0, v3 :: v_dual_cndmask_b32 v3, 0, v5
	global_store_b64 v[0:1], v[3:4], off
.LBB150_665:
	s_and_not1_b32 vcc_lo, exec_lo, s0
	s_cbranch_vccnz .LBB150_667
; %bb.666:
	v_and_b32_e64 v3, 0xff, s19
	s_and_b32 s0, s19, 0xff
	s_delay_alu instid0(SALU_CYCLE_1) | instskip(NEXT) | instid1(SALU_CYCLE_1)
	s_lshl_b32 s0, s0, 23
	v_cvt_i32_f32_e32 v4, s0
	s_delay_alu instid0(VALU_DEP_2) | instskip(NEXT) | instid1(VALU_DEP_2)
	v_cmp_ne_u16_e32 vcc_lo, 0, v3
	v_cndmask_b32_e32 v3, 0, v4, vcc_lo
	global_store_b32 v[0:1], v3, off
.LBB150_667:
	s_mov_b32 s0, 0
.LBB150_668:
	s_delay_alu instid0(SALU_CYCLE_1)
	s_and_not1_b32 vcc_lo, exec_lo, s0
	s_cbranch_vccnz .LBB150_670
; %bb.669:
	v_and_b32_e64 v3, 0xff, s19
	s_and_b32 s0, s19, 0xff
	s_delay_alu instid0(SALU_CYCLE_1) | instskip(NEXT) | instid1(SALU_CYCLE_1)
	s_lshl_b32 s0, s0, 23
	v_cvt_i32_f32_e32 v4, s0
	s_delay_alu instid0(VALU_DEP_2) | instskip(NEXT) | instid1(VALU_DEP_2)
	v_cmp_ne_u16_e32 vcc_lo, 0, v3
	v_cndmask_b32_e32 v3, 0, v4, vcc_lo
	global_store_b16 v[0:1], v3, off
.LBB150_670:
	s_mov_b32 s0, 0
.LBB150_671:
	s_delay_alu instid0(SALU_CYCLE_1)
	s_and_not1_b32 vcc_lo, exec_lo, s0
	s_cbranch_vccnz .LBB150_676
; %bb.672:
	v_cmp_lt_i16_e32 vcc_lo, 0, v10
	s_mov_b32 s0, -1
	s_cbranch_vccz .LBB150_674
; %bb.673:
	v_and_b32_e64 v3, 0xff, s19
	s_and_b32 s0, s19, 0xff
	s_delay_alu instid0(SALU_CYCLE_1) | instskip(NEXT) | instid1(SALU_CYCLE_1)
	s_lshl_b32 s0, s0, 23
	v_cvt_i32_f32_e32 v4, s0
	s_delay_alu instid0(VALU_DEP_2) | instskip(SKIP_1) | instid1(VALU_DEP_2)
	v_cmp_ne_u16_e32 vcc_lo, 0, v3
	s_mov_b32 s0, 0
	v_cndmask_b32_e32 v3, 0, v4, vcc_lo
	global_store_b8 v[0:1], v3, off
.LBB150_674:
	s_and_not1_b32 vcc_lo, exec_lo, s0
	s_cbranch_vccnz .LBB150_676
; %bb.675:
	s_and_b32 s0, s19, 0xff
	v_and_b32_e64 v5, 0xff, s19
	s_lshl_b32 s0, s0, 23
	s_delay_alu instid0(SALU_CYCLE_1) | instskip(NEXT) | instid1(VALU_DEP_2)
	v_trunc_f32_e32 v3, s0
	v_cmp_ne_u16_e32 vcc_lo, 0, v5
	s_delay_alu instid0(VALU_DEP_2) | instskip(NEXT) | instid1(VALU_DEP_1)
	v_mul_f32_e64 v4, 0x2f800000, |v3|
	v_floor_f32_e32 v4, v4
	s_delay_alu instid0(VALU_DEP_1) | instskip(SKIP_1) | instid1(VALU_DEP_2)
	v_fma_f32 v4, 0xcf800000, v4, |v3|
	v_ashrrev_i32_e32 v3, 31, v3
	v_cvt_u32_f32_e32 v4, v4
	s_delay_alu instid0(VALU_DEP_1) | instskip(NEXT) | instid1(VALU_DEP_1)
	v_xor_b32_e32 v4, v4, v3
	v_sub_nc_u32_e32 v3, v4, v3
	s_delay_alu instid0(VALU_DEP_1)
	v_cndmask_b32_e32 v3, 0, v3, vcc_lo
	global_store_b8 v[0:1], v3, off
.LBB150_676:
	s_branch .LBB150_833
.LBB150_677:
	s_mov_b32 s0, 0
	s_mov_b32 s6, 0
                                        ; implicit-def: $vgpr10
                                        ; implicit-def: $vgpr0_vgpr1
.LBB150_678:
	s_and_not1_b32 s1, s2, exec_lo
	s_and_b32 s2, s4, exec_lo
	s_and_b32 s0, s0, exec_lo
	s_and_b32 s12, s6, exec_lo
	s_or_b32 s2, s1, s2
.LBB150_679:
	s_or_b32 exec_lo, exec_lo, s3
	s_and_saveexec_b32 s1, s2
	s_cbranch_execz .LBB150_682
; %bb.680:
	; divergent unreachable
	s_or_b32 exec_lo, exec_lo, s1
	s_and_saveexec_b32 s1, s12
	s_delay_alu instid0(SALU_CYCLE_1)
	s_xor_b32 s1, exec_lo, s1
	s_cbranch_execnz .LBB150_683
.LBB150_681:
	s_or_b32 exec_lo, exec_lo, s1
	s_and_saveexec_b32 s1, s0
	s_cbranch_execnz .LBB150_684
	s_branch .LBB150_721
.LBB150_682:
	s_or_b32 exec_lo, exec_lo, s1
	s_and_saveexec_b32 s1, s12
	s_delay_alu instid0(SALU_CYCLE_1)
	s_xor_b32 s1, exec_lo, s1
	s_cbranch_execz .LBB150_681
.LBB150_683:
	v_mov_b32_e32 v2, 1
	global_store_b8 v[0:1], v2, off
	s_or_b32 exec_lo, exec_lo, s1
	s_and_saveexec_b32 s1, s0
	s_cbranch_execz .LBB150_721
.LBB150_684:
	v_cmp_gt_i16_e32 vcc_lo, 5, v10
	s_mov_b32 s0, -1
	s_cbranch_vccnz .LBB150_705
; %bb.685:
	v_cmp_gt_i16_e32 vcc_lo, 8, v10
	s_cbranch_vccnz .LBB150_695
; %bb.686:
	v_cmp_gt_i16_e32 vcc_lo, 9, v10
	s_cbranch_vccnz .LBB150_692
; %bb.687:
	v_cmp_lt_i16_e32 vcc_lo, 9, v10
	s_cbranch_vccz .LBB150_689
; %bb.688:
	s_and_b32 s0, s19, 0xff
	v_and_b32_e64 v4, 0xff, s19
	s_lshl_b32 s0, s0, 23
	s_delay_alu instid0(SALU_CYCLE_1) | instskip(SKIP_1) | instid1(VALU_DEP_2)
	v_cvt_f64_f32_e32 v[2:3], s0
	s_mov_b32 s0, 0
	v_cmp_ne_u16_e32 vcc_lo, 0xff, v4
	s_delay_alu instid0(VALU_DEP_2) | instskip(NEXT) | instid1(VALU_DEP_3)
	v_cndmask_b32_e32 v2, 0x20000000, v2, vcc_lo
	v_cndmask_b32_e32 v3, 0x7ff80000, v3, vcc_lo
	v_cmp_ne_u16_e32 vcc_lo, 0, v4
	s_delay_alu instid0(VALU_DEP_2) | instskip(NEXT) | instid1(VALU_DEP_1)
	v_dual_mov_b32 v4, 0 :: v_dual_cndmask_b32 v3, 0x38000000, v3
	v_dual_mov_b32 v5, v4 :: v_dual_cndmask_b32 v2, 0, v2
	global_store_b128 v[0:1], v[2:5], off
.LBB150_689:
	s_and_not1_b32 vcc_lo, exec_lo, s0
	s_cbranch_vccnz .LBB150_691
; %bb.690:
	v_and_b32_e64 v2, 0xff, s19
	s_and_b32 s1, s19, 0xff
	v_mov_b32_e32 v3, 0
	s_lshl_b32 s1, s1, 23
	s_delay_alu instid0(VALU_DEP_2) | instskip(SKIP_3) | instid1(VALU_DEP_1)
	v_cmp_ne_u16_e32 vcc_lo, 0xff, v2
	v_cmp_ne_u16_e64 s0, 0, v2
	s_and_b32 s2, vcc_lo, exec_lo
	s_cselect_b32 s1, s1, 0x7f800001
	s_and_b32 s0, s0, exec_lo
	s_cselect_b32 s0, s1, 0x400000
	s_delay_alu instid0(SALU_CYCLE_1)
	v_mov_b32_e32 v2, s0
	global_store_b64 v[0:1], v[2:3], off
.LBB150_691:
	s_mov_b32 s0, 0
.LBB150_692:
	s_delay_alu instid0(SALU_CYCLE_1)
	s_and_not1_b32 vcc_lo, exec_lo, s0
	s_cbranch_vccnz .LBB150_694
; %bb.693:
	s_and_b32 s0, s19, 0xff
	v_and_b32_e64 v3, 0xff, s19
	s_lshl_b32 s0, s0, 23
	s_delay_alu instid0(SALU_CYCLE_1) | instskip(NEXT) | instid1(VALU_DEP_2)
	v_cvt_f16_f32_e32 v2, s0
	v_cmp_ne_u16_e32 vcc_lo, 0xff, v3
	s_delay_alu instid0(VALU_DEP_2) | instskip(NEXT) | instid1(VALU_DEP_1)
	v_and_b32_e32 v2, 0xffff, v2
	v_cndmask_b32_e32 v2, 0x7e00, v2, vcc_lo
	v_cmp_ne_u16_e32 vcc_lo, 0, v3
	s_delay_alu instid0(VALU_DEP_2)
	v_cndmask_b32_e32 v2, 0, v2, vcc_lo
	global_store_b32 v[0:1], v2, off
.LBB150_694:
	s_mov_b32 s0, 0
.LBB150_695:
	s_delay_alu instid0(SALU_CYCLE_1)
	s_and_not1_b32 vcc_lo, exec_lo, s0
	s_cbranch_vccnz .LBB150_704
; %bb.696:
	v_cmp_gt_i16_e32 vcc_lo, 6, v10
	s_mov_b32 s0, -1
	s_cbranch_vccnz .LBB150_702
; %bb.697:
	v_cmp_lt_i16_e32 vcc_lo, 6, v10
	s_cbranch_vccz .LBB150_699
; %bb.698:
	s_and_b32 s0, s19, 0xff
	v_and_b32_e64 v4, 0xff, s19
	s_lshl_b32 s0, s0, 23
	s_delay_alu instid0(SALU_CYCLE_1) | instskip(SKIP_1) | instid1(VALU_DEP_2)
	v_cvt_f64_f32_e32 v[2:3], s0
	s_mov_b32 s0, 0
	v_cmp_ne_u16_e32 vcc_lo, 0xff, v4
	s_delay_alu instid0(VALU_DEP_2) | instskip(NEXT) | instid1(VALU_DEP_3)
	v_cndmask_b32_e32 v2, 0x20000000, v2, vcc_lo
	v_cndmask_b32_e32 v3, 0x7ff80000, v3, vcc_lo
	v_cmp_ne_u16_e32 vcc_lo, 0, v4
	s_delay_alu instid0(VALU_DEP_2) | instskip(NEXT) | instid1(VALU_DEP_4)
	v_cndmask_b32_e32 v3, 0x38000000, v3, vcc_lo
	v_cndmask_b32_e32 v2, 0, v2, vcc_lo
	global_store_b64 v[0:1], v[2:3], off
.LBB150_699:
	s_and_not1_b32 vcc_lo, exec_lo, s0
	s_cbranch_vccnz .LBB150_701
; %bb.700:
	v_and_b32_e64 v2, 0xff, s19
	s_and_b32 s0, s19, 0xff
	s_delay_alu instid0(SALU_CYCLE_1) | instskip(NEXT) | instid1(SALU_CYCLE_1)
	s_lshl_b32 s0, s0, 23
	v_mov_b32_e32 v3, s0
	s_delay_alu instid0(VALU_DEP_2) | instskip(NEXT) | instid1(VALU_DEP_2)
	v_cmp_ne_u16_e32 vcc_lo, 0xff, v2
	v_cndmask_b32_e32 v3, 0x7f800001, v3, vcc_lo
	v_cmp_ne_u16_e32 vcc_lo, 0, v2
	s_delay_alu instid0(VALU_DEP_2)
	v_cndmask_b32_e32 v2, 0x400000, v3, vcc_lo
	global_store_b32 v[0:1], v2, off
.LBB150_701:
	s_mov_b32 s0, 0
.LBB150_702:
	s_delay_alu instid0(SALU_CYCLE_1)
	s_and_not1_b32 vcc_lo, exec_lo, s0
	s_cbranch_vccnz .LBB150_704
; %bb.703:
	v_and_b32_e64 v2, 0xff, s19
	s_and_b32 s0, s19, 0xff
	s_delay_alu instid0(SALU_CYCLE_1) | instskip(NEXT) | instid1(SALU_CYCLE_1)
	s_lshl_b32 s0, s0, 23
	v_cvt_f16_f32_e32 v3, s0
	s_delay_alu instid0(VALU_DEP_2) | instskip(NEXT) | instid1(VALU_DEP_2)
	v_cmp_ne_u16_e32 vcc_lo, 0xff, v2
	v_cndmask_b32_e32 v3, 0x7e00, v3, vcc_lo
	v_cmp_ne_u16_e32 vcc_lo, 0, v2
	s_delay_alu instid0(VALU_DEP_2)
	v_cndmask_b32_e32 v2, 0, v3, vcc_lo
	global_store_b16 v[0:1], v2, off
.LBB150_704:
	s_mov_b32 s0, 0
.LBB150_705:
	s_delay_alu instid0(SALU_CYCLE_1)
	s_and_not1_b32 vcc_lo, exec_lo, s0
	s_cbranch_vccnz .LBB150_721
; %bb.706:
	v_cmp_gt_i16_e32 vcc_lo, 2, v10
	s_mov_b32 s0, -1
	s_cbranch_vccnz .LBB150_716
; %bb.707:
	v_cmp_gt_i16_e32 vcc_lo, 3, v10
	s_cbranch_vccnz .LBB150_713
; %bb.708:
	v_cmp_lt_i16_e32 vcc_lo, 3, v10
	s_cbranch_vccz .LBB150_710
; %bb.709:
	s_and_b32 s0, s19, 0xff
	v_and_b32_e64 v5, 0xff, s19
	s_lshl_b32 s0, s0, 23
	s_delay_alu instid0(SALU_CYCLE_1) | instskip(SKIP_1) | instid1(VALU_DEP_1)
	v_trunc_f32_e32 v2, s0
	s_mov_b32 s0, 0
	v_mul_f32_e64 v3, 0x2f800000, |v2|
	s_delay_alu instid0(VALU_DEP_1) | instskip(NEXT) | instid1(VALU_DEP_1)
	v_floor_f32_e32 v3, v3
	v_fma_f32 v4, 0xcf800000, v3, |v2|
	v_ashrrev_i32_e32 v2, 31, v2
	v_cvt_u32_f32_e32 v3, v3
	s_delay_alu instid0(VALU_DEP_3) | instskip(NEXT) | instid1(VALU_DEP_2)
	v_cvt_u32_f32_e32 v4, v4
	v_xor_b32_e32 v3, v3, v2
	s_delay_alu instid0(VALU_DEP_2) | instskip(NEXT) | instid1(VALU_DEP_1)
	v_xor_b32_e32 v4, v4, v2
	v_sub_co_u32 v4, vcc_lo, v4, v2
	s_delay_alu instid0(VALU_DEP_3) | instskip(SKIP_1) | instid1(VALU_DEP_2)
	v_sub_co_ci_u32_e32 v2, vcc_lo, v3, v2, vcc_lo
	v_cmp_ne_u16_e32 vcc_lo, 0, v5
	v_dual_cndmask_b32 v3, 0, v2 :: v_dual_cndmask_b32 v2, 0, v4
	global_store_b64 v[0:1], v[2:3], off
.LBB150_710:
	s_and_not1_b32 vcc_lo, exec_lo, s0
	s_cbranch_vccnz .LBB150_712
; %bb.711:
	v_and_b32_e64 v2, 0xff, s19
	s_and_b32 s0, s19, 0xff
	s_delay_alu instid0(SALU_CYCLE_1) | instskip(NEXT) | instid1(SALU_CYCLE_1)
	s_lshl_b32 s0, s0, 23
	v_cvt_i32_f32_e32 v3, s0
	s_delay_alu instid0(VALU_DEP_2) | instskip(NEXT) | instid1(VALU_DEP_2)
	v_cmp_ne_u16_e32 vcc_lo, 0, v2
	v_cndmask_b32_e32 v2, 0, v3, vcc_lo
	global_store_b32 v[0:1], v2, off
.LBB150_712:
	s_mov_b32 s0, 0
.LBB150_713:
	s_delay_alu instid0(SALU_CYCLE_1)
	s_and_not1_b32 vcc_lo, exec_lo, s0
	s_cbranch_vccnz .LBB150_715
; %bb.714:
	v_and_b32_e64 v2, 0xff, s19
	s_and_b32 s0, s19, 0xff
	s_delay_alu instid0(SALU_CYCLE_1) | instskip(NEXT) | instid1(SALU_CYCLE_1)
	s_lshl_b32 s0, s0, 23
	v_cvt_i32_f32_e32 v3, s0
	s_delay_alu instid0(VALU_DEP_2) | instskip(NEXT) | instid1(VALU_DEP_2)
	v_cmp_ne_u16_e32 vcc_lo, 0, v2
	v_cndmask_b32_e32 v2, 0, v3, vcc_lo
	global_store_b16 v[0:1], v2, off
.LBB150_715:
	s_mov_b32 s0, 0
.LBB150_716:
	s_delay_alu instid0(SALU_CYCLE_1)
	s_and_not1_b32 vcc_lo, exec_lo, s0
	s_cbranch_vccnz .LBB150_721
; %bb.717:
	v_cmp_lt_i16_e32 vcc_lo, 0, v10
	s_mov_b32 s0, -1
	s_cbranch_vccz .LBB150_719
; %bb.718:
	v_and_b32_e64 v2, 0xff, s19
	s_and_b32 s0, s19, 0xff
	s_delay_alu instid0(SALU_CYCLE_1) | instskip(NEXT) | instid1(SALU_CYCLE_1)
	s_lshl_b32 s0, s0, 23
	v_cvt_i32_f32_e32 v3, s0
	s_delay_alu instid0(VALU_DEP_2) | instskip(SKIP_1) | instid1(VALU_DEP_2)
	v_cmp_ne_u16_e32 vcc_lo, 0, v2
	s_mov_b32 s0, 0
	v_cndmask_b32_e32 v2, 0, v3, vcc_lo
	global_store_b8 v[0:1], v2, off
.LBB150_719:
	s_and_not1_b32 vcc_lo, exec_lo, s0
	s_cbranch_vccnz .LBB150_721
; %bb.720:
	s_and_b32 s0, s19, 0xff
	v_and_b32_e64 v4, 0xff, s19
	s_lshl_b32 s0, s0, 23
	s_delay_alu instid0(SALU_CYCLE_1) | instskip(NEXT) | instid1(VALU_DEP_2)
	v_trunc_f32_e32 v2, s0
	v_cmp_ne_u16_e32 vcc_lo, 0, v4
	s_delay_alu instid0(VALU_DEP_2) | instskip(NEXT) | instid1(VALU_DEP_1)
	v_mul_f32_e64 v3, 0x2f800000, |v2|
	v_floor_f32_e32 v3, v3
	s_delay_alu instid0(VALU_DEP_1) | instskip(SKIP_1) | instid1(VALU_DEP_2)
	v_fma_f32 v3, 0xcf800000, v3, |v2|
	v_ashrrev_i32_e32 v2, 31, v2
	v_cvt_u32_f32_e32 v3, v3
	s_delay_alu instid0(VALU_DEP_1) | instskip(NEXT) | instid1(VALU_DEP_1)
	v_xor_b32_e32 v3, v3, v2
	v_sub_nc_u32_e32 v2, v3, v2
	s_delay_alu instid0(VALU_DEP_1)
	v_cndmask_b32_e32 v2, 0, v2, vcc_lo
	global_store_b8 v[0:1], v2, off
	s_nop 0
	s_sendmsg sendmsg(MSG_DEALLOC_VGPRS)
	s_endpgm
.LBB150_721:
	s_nop 0
	s_sendmsg sendmsg(MSG_DEALLOC_VGPRS)
	s_endpgm
.LBB150_722:
	s_cbranch_execnz .LBB150_724
; %bb.723:
	s_or_b32 s4, s4, exec_lo
	s_cbranch_execz .LBB150_609
	s_branch .LBB150_610
.LBB150_724:
	s_trap 2
	s_sendmsg_rtn_b32 s0, sendmsg(MSG_RTN_GET_DOORBELL)
	s_mov_b32 ttmp2, m0
	s_waitcnt lgkmcnt(0)
	s_and_b32 s0, s0, 0x3ff
	s_delay_alu instid0(SALU_CYCLE_1) | instskip(NEXT) | instid1(SALU_CYCLE_1)
	s_bitset1_b32 s0, 10
	s_mov_b32 m0, s0
	s_sendmsg sendmsg(MSG_INTERRUPT)
	s_mov_b32 m0, ttmp2
.LBB150_725:                            ; =>This Inner Loop Header: Depth=1
	s_sethalt 5
	s_branch .LBB150_725
.LBB150_726:
	s_mov_b32 s9, -1
                                        ; implicit-def: $sgpr0
.LBB150_727:
	v_mov_b32_e32 v4, s0
	s_and_not1_b32 vcc_lo, exec_lo, s9
                                        ; implicit-def: $sgpr0
	s_cbranch_vccnz .LBB150_729
; %bb.728:
	v_add_f32_e32 v3, 0x46000000, v3
	s_mov_b32 s0, 0
	s_delay_alu instid0(VALU_DEP_1) | instskip(NEXT) | instid1(VALU_DEP_1)
	v_and_b32_e32 v4, 0xff, v3
	v_cmp_ne_u32_e64 s8, 0, v4
.LBB150_729:
	v_mov_b32_e32 v5, s0
	s_delay_alu instid0(VALU_DEP_2)
	s_and_not1_b32 vcc_lo, exec_lo, s8
	s_cbranch_vccnz .LBB150_731
; %bb.730:
	v_mov_b32_e32 v5, v4
.LBB150_731:
	global_store_b8 v[0:1], v5, off
.LBB150_732:
	s_mov_b32 s0, -1
.LBB150_733:
	s_mov_b32 s1, 0
.LBB150_734:
	s_delay_alu instid0(SALU_CYCLE_1)
	s_and_b32 vcc_lo, exec_lo, s1
	s_cbranch_vccz .LBB150_828
; %bb.735:
	v_cmp_lt_i16_e32 vcc_lo, 22, v10
	s_mov_b32 s1, -1
	s_cbranch_vccz .LBB150_821
; %bb.736:
	v_cmp_gt_i16_e32 vcc_lo, 24, v10
	s_mov_b32 s0, -1
	s_cbranch_vccnz .LBB150_808
; %bb.737:
	v_cmp_lt_i16_e32 vcc_lo, 24, v10
	s_mov_b32 s7, -1
	s_cbranch_vccz .LBB150_795
; %bb.738:
	v_and_b32_e64 v3, 0xff, s19
	v_mov_b32_e32 v4, 0x7f800001
	s_and_b32 s0, s19, 0xff
	v_mov_b32_e32 v5, 0x80
	s_lshl_b32 s8, s0, 23
	v_cmp_eq_u16_e64 s1, 0xff, v3
	v_cmp_eq_u16_e64 s0, 0, v3
	s_mov_b32 s7, 0
	s_delay_alu instid0(VALU_DEP_2) | instskip(NEXT) | instid1(VALU_DEP_1)
	v_cndmask_b32_e64 v4, |s8|, v4, s1
	v_cndmask_b32_e64 v3, v4, 0x400000, s0
	s_delay_alu instid0(VALU_DEP_1)
	v_cmp_lt_u32_e32 vcc_lo, 0x477fffff, v3
	s_cbranch_vccnz .LBB150_794
; %bb.739:
	v_cmp_lt_u32_e32 vcc_lo, 0x37ffffff, v3
	s_cbranch_vccz .LBB150_789
; %bb.740:
	s_add_i32 s9, s8, 0x88fffff
	s_mov_b32 s8, 0
	s_lshr_b32 s9, s9, 21
	s_and_b32 s1, s1, exec_lo
	s_cselect_b32 s1, 0x440, s9
	s_and_b32 s0, s0, exec_lo
	s_cselect_b32 s1, 0x46, s1
	s_mov_b32 s0, -1
	s_branch .LBB150_790
.LBB150_741:
	s_mov_b32 s29, 0
.LBB150_742:
	s_delay_alu instid0(SALU_CYCLE_1)
	s_and_b32 vcc_lo, exec_lo, s29
	s_cbranch_vccz .LBB150_745
; %bb.743:
	v_cmp_eq_u16_e32 vcc_lo, 29, v10
	s_mov_b32 s10, -1
	s_cbranch_vccz .LBB150_745
; %bb.744:
	s_mov_b32 s10, 0
	global_store_b64 v[8:9], v[6:7], off
.LBB150_745:
	s_mov_b32 s29, 0
.LBB150_746:
	s_delay_alu instid0(SALU_CYCLE_1)
	s_and_b32 vcc_lo, exec_lo, s29
	s_cbranch_vccz .LBB150_758
; %bb.747:
	v_cmp_gt_i16_e32 vcc_lo, 27, v10
	s_mov_b32 s29, -1
	s_cbranch_vccnz .LBB150_753
; %bb.748:
	v_cmp_lt_i16_e32 vcc_lo, 27, v10
	s_cbranch_vccz .LBB150_750
; %bb.749:
	s_mov_b32 s29, 0
	global_store_b32 v[8:9], v23, off
.LBB150_750:
	s_and_not1_b32 vcc_lo, exec_lo, s29
	s_cbranch_vccnz .LBB150_752
; %bb.751:
	global_store_b16 v[8:9], v23, off
.LBB150_752:
	s_mov_b32 s29, 0
.LBB150_753:
	s_delay_alu instid0(SALU_CYCLE_1)
	s_and_not1_b32 vcc_lo, exec_lo, s29
	s_cbranch_vccnz .LBB150_758
; %bb.754:
	v_mov_b32_e32 v2, 0x80
	s_and_not1_b32 vcc_lo, exec_lo, s8
	s_cbranch_vccnz .LBB150_757
; %bb.755:
	v_mov_b32_e32 v2, 0
	s_or_b32 s8, s7, s9
	s_delay_alu instid0(SALU_CYCLE_1)
	s_and_not1_b32 vcc_lo, exec_lo, s8
	s_cbranch_vccnz .LBB150_757
; %bb.756:
	v_cndmask_b32_e64 v2, v22, s21, s7
.LBB150_757:
	global_store_b8 v[8:9], v2, off
.LBB150_758:
	s_mov_b32 s29, 0
.LBB150_759:
	s_delay_alu instid0(SALU_CYCLE_1)
	s_and_b32 vcc_lo, exec_lo, s29
	s_mov_b32 s7, 0
	s_cbranch_vccz .LBB150_780
; %bb.760:
	v_cmp_lt_i16_e32 vcc_lo, 22, v10
	s_mov_b32 s8, -1
	s_cbranch_vccz .LBB150_773
; %bb.761:
	v_cmp_gt_i16_e32 vcc_lo, 24, v10
	s_cbranch_vccnz .LBB150_770
; %bb.762:
	v_cmp_lt_i16_e32 vcc_lo, 24, v10
	s_cbranch_vccz .LBB150_767
; %bb.763:
	v_mov_b32_e32 v2, 0x80
	s_and_not1_b32 vcc_lo, exec_lo, s5
	s_cbranch_vccnz .LBB150_766
; %bb.764:
	v_mov_b32_e32 v2, 0
	s_or_b32 s5, s4, s6
	s_delay_alu instid0(SALU_CYCLE_1)
	s_and_not1_b32 vcc_lo, exec_lo, s5
	s_cbranch_vccnz .LBB150_766
; %bb.765:
	v_cndmask_b32_e64 v2, v18, s20, s4
.LBB150_766:
	s_mov_b32 s8, 0
	global_store_b8 v[8:9], v2, off
.LBB150_767:
	s_and_b32 vcc_lo, exec_lo, s8
	s_cbranch_vccz .LBB150_769
; %bb.768:
	v_cndmask_b32_e64 v2, s15, v17, s3
	s_delay_alu instid0(VALU_DEP_1)
	v_cndmask_b32_e64 v2, v2, v21, s2
	global_store_b8 v[8:9], v2, off
.LBB150_769:
	s_mov_b32 s8, 0
.LBB150_770:
	s_delay_alu instid0(SALU_CYCLE_1)
	s_and_not1_b32 vcc_lo, exec_lo, s8
	s_cbranch_vccnz .LBB150_772
; %bb.771:
	v_cndmask_b32_e64 v2, s14, v19, s1
	s_delay_alu instid0(VALU_DEP_1)
	v_cndmask_b32_e64 v2, v2, v20, s0
	global_store_b8 v[8:9], v2, off
.LBB150_772:
	s_mov_b32 s8, 0
.LBB150_773:
	s_delay_alu instid0(SALU_CYCLE_1)
	s_and_not1_b32 vcc_lo, exec_lo, s8
	s_mov_b32 s0, 0
	s_cbranch_vccnz .LBB150_781
; %bb.774:
	v_cmp_lt_i16_e32 vcc_lo, 14, v10
	s_mov_b32 s0, -1
	s_cbranch_vccz .LBB150_778
; %bb.775:
	v_cmp_eq_u16_e32 vcc_lo, 15, v10
	s_mov_b32 s10, -1
	s_cbranch_vccz .LBB150_777
; %bb.776:
	s_mov_b32 s10, 0
	global_store_b16 v[8:9], v16, off
.LBB150_777:
	s_mov_b32 s0, 0
.LBB150_778:
	s_delay_alu instid0(SALU_CYCLE_1)
	s_and_b32 vcc_lo, exec_lo, s0
	s_mov_b32 s0, 0
	s_cbranch_vccz .LBB150_781
; %bb.779:
	v_cmp_ne_u16_e32 vcc_lo, 11, v10
	s_and_not1_b32 s1, s10, exec_lo
	s_mov_b32 s0, -1
	s_and_b32 s2, vcc_lo, exec_lo
	s_delay_alu instid0(SALU_CYCLE_1)
	s_or_b32 s10, s1, s2
	s_branch .LBB150_781
.LBB150_780:
	s_mov_b32 s0, 0
.LBB150_781:
	s_and_not1_b32 s1, s28, exec_lo
	s_and_b32 s2, s10, exec_lo
	s_and_b32 s29, s7, exec_lo
	;; [unrolled: 1-line block ×3, first 2 shown]
	s_or_b32 s30, s1, s2
.LBB150_782:
	s_or_b32 exec_lo, exec_lo, s22
	s_delay_alu instid0(SALU_CYCLE_1)
	s_and_not1_b32 s0, s28, exec_lo
	s_and_b32 s1, s30, exec_lo
	s_and_b32 s29, s29, exec_lo
	;; [unrolled: 1-line block ×3, first 2 shown]
	s_or_b32 s28, s0, s1
.LBB150_783:
	s_or_b32 exec_lo, exec_lo, s27
	s_delay_alu instid0(SALU_CYCLE_1)
	s_and_not1_b32 s0, s25, exec_lo
	s_and_b32 s1, s28, exec_lo
	s_and_b32 s29, s29, exec_lo
	s_and_b32 s27, s10, exec_lo
	s_or_b32 s25, s0, s1
.LBB150_784:
	s_or_b32 exec_lo, exec_lo, s26
	s_delay_alu instid0(SALU_CYCLE_1)
	s_and_not1_b32 s0, s23, exec_lo
	s_and_b32 s1, s25, exec_lo
	s_and_b32 s10, s29, exec_lo
	;; [unrolled: 1-line block ×3, first 2 shown]
	s_or_b32 s23, s0, s1
	s_or_b32 exec_lo, exec_lo, s24
	s_mov_b32 s0, 0
	s_and_saveexec_b32 s1, s23
	s_cbranch_execz .LBB150_110
.LBB150_785:
	s_cbranch_execnz .LBB150_787
; %bb.786:
	s_mov_b32 s0, exec_lo
	s_and_not1_b32 s25, s25, exec_lo
	s_or_b32 exec_lo, exec_lo, s1
	s_and_saveexec_b32 s1, s25
	s_delay_alu instid0(SALU_CYCLE_1)
	s_xor_b32 s1, exec_lo, s1
	s_cbranch_execnz .LBB150_111
	s_branch .LBB150_112
.LBB150_787:
	s_trap 2
	s_sendmsg_rtn_b32 s0, sendmsg(MSG_RTN_GET_DOORBELL)
	s_mov_b32 ttmp2, m0
	s_waitcnt lgkmcnt(0)
	s_and_b32 s0, s0, 0x3ff
	s_delay_alu instid0(SALU_CYCLE_1) | instskip(NEXT) | instid1(SALU_CYCLE_1)
	s_bitset1_b32 s0, 10
	s_mov_b32 m0, s0
	s_sendmsg sendmsg(MSG_INTERRUPT)
	s_mov_b32 m0, ttmp2
.LBB150_788:                            ; =>This Inner Loop Header: Depth=1
	s_sethalt 5
	s_branch .LBB150_788
.LBB150_789:
	s_mov_b32 s8, -1
	s_mov_b32 s0, 0
                                        ; implicit-def: $sgpr1
.LBB150_790:
	v_mov_b32_e32 v4, s1
	s_and_not1_b32 vcc_lo, exec_lo, s8
                                        ; implicit-def: $sgpr1
	s_cbranch_vccnz .LBB150_792
; %bb.791:
	v_add_f32_e32 v3, 0x42800000, v3
	s_mov_b32 s1, 0
	s_delay_alu instid0(VALU_DEP_1) | instskip(NEXT) | instid1(VALU_DEP_1)
	v_and_b32_e32 v4, 0xff, v3
	v_cmp_ne_u32_e64 s0, 0, v4
.LBB150_792:
	v_mov_b32_e32 v5, s1
	s_delay_alu instid0(VALU_DEP_2)
	s_and_not1_b32 vcc_lo, exec_lo, s0
	s_cbranch_vccnz .LBB150_794
; %bb.793:
	v_mov_b32_e32 v5, v4
.LBB150_794:
	global_store_b8 v[0:1], v5, off
.LBB150_795:
	s_and_b32 vcc_lo, exec_lo, s7
	s_cbranch_vccz .LBB150_807
; %bb.796:
	v_and_b32_e64 v3, 0xff, s19
	v_mov_b32_e32 v4, 0x7f800001
	s_and_b32 s0, s19, 0xff
	s_delay_alu instid0(SALU_CYCLE_1) | instskip(NEXT) | instid1(VALU_DEP_2)
	s_lshl_b32 s7, s0, 23
	v_cmp_eq_u16_e64 s1, 0xff, v3
	v_cmp_eq_u16_e64 s0, 0, v3
	s_delay_alu instid0(VALU_DEP_2) | instskip(NEXT) | instid1(VALU_DEP_1)
	v_cndmask_b32_e64 v4, |s7|, v4, s1
	v_cndmask_b32_e64 v3, v4, 0x400000, s0
	s_delay_alu instid0(VALU_DEP_1)
	v_cmp_gt_u32_e32 vcc_lo, 0x43f00000, v3
	s_cbranch_vccz .LBB150_799
; %bb.797:
	v_cmp_lt_u32_e32 vcc_lo, 0x3c7fffff, v3
	s_cbranch_vccz .LBB150_800
; %bb.798:
	s_add_i32 s7, s7, 0x407ffff
	s_delay_alu instid0(SALU_CYCLE_1)
	s_lshr_b32 s7, s7, 20
	s_and_b32 s1, s1, exec_lo
	s_cselect_b32 s1, 0x838, s7
	s_and_b32 s0, s0, exec_lo
	s_cselect_b32 s1, 0x44, s1
	s_mov_b32 s0, 0
	s_branch .LBB150_801
.LBB150_799:
	s_mov_b32 s0, -1
                                        ; implicit-def: $vgpr4
	s_branch .LBB150_804
.LBB150_800:
	s_mov_b32 s0, -1
                                        ; implicit-def: $sgpr1
.LBB150_801:
	v_mov_b32_e32 v4, s1
	s_and_not1_b32 vcc_lo, exec_lo, s0
	s_cbranch_vccnz .LBB150_803
; %bb.802:
	v_add_f32_e32 v4, 0x46800000, v3
.LBB150_803:
	s_mov_b32 s0, 0
.LBB150_804:
	s_delay_alu instid0(SALU_CYCLE_1)
	s_and_not1_b32 vcc_lo, exec_lo, s0
	s_cbranch_vccnz .LBB150_806
; %bb.805:
	v_mov_b32_e32 v4, 0x7f
	v_cmp_lt_u32_e32 vcc_lo, 0x7f800000, v3
	s_delay_alu instid0(VALU_DEP_2)
	v_cndmask_b32_e32 v4, 0x7e, v4, vcc_lo
.LBB150_806:
	global_store_b8 v[0:1], v4, off
.LBB150_807:
	s_mov_b32 s0, 0
.LBB150_808:
	s_delay_alu instid0(SALU_CYCLE_1)
	s_and_not1_b32 vcc_lo, exec_lo, s0
	s_cbranch_vccnz .LBB150_820
; %bb.809:
	v_and_b32_e64 v3, 0xff, s19
	v_mov_b32_e32 v4, 0x7f800001
	s_and_b32 s0, s19, 0xff
	s_delay_alu instid0(SALU_CYCLE_1) | instskip(NEXT) | instid1(VALU_DEP_2)
	s_lshl_b32 s7, s0, 23
	v_cmp_eq_u16_e64 s1, 0xff, v3
	v_cmp_eq_u16_e64 s0, 0, v3
	s_delay_alu instid0(VALU_DEP_2) | instskip(NEXT) | instid1(VALU_DEP_1)
	v_cndmask_b32_e64 v4, |s7|, v4, s1
	v_cndmask_b32_e64 v3, v4, 0x400000, s0
	s_delay_alu instid0(VALU_DEP_1)
	v_cmp_gt_u32_e32 vcc_lo, 0x47800000, v3
	s_cbranch_vccz .LBB150_812
; %bb.810:
	v_cmp_lt_u32_e32 vcc_lo, 0x387fffff, v3
	s_cbranch_vccz .LBB150_813
; %bb.811:
	s_add_i32 s7, s7, 0x80fffff
	s_delay_alu instid0(SALU_CYCLE_1)
	s_lshr_b32 s7, s7, 21
	s_and_b32 s1, s1, exec_lo
	s_cselect_b32 s1, 0x43c, s7
	s_and_b32 s0, s0, exec_lo
	s_cselect_b32 s1, 0x42, s1
	s_mov_b32 s0, 0
	s_branch .LBB150_814
.LBB150_812:
	s_mov_b32 s0, -1
                                        ; implicit-def: $vgpr4
	s_branch .LBB150_817
.LBB150_813:
	s_mov_b32 s0, -1
                                        ; implicit-def: $sgpr1
.LBB150_814:
	v_mov_b32_e32 v4, s1
	s_and_not1_b32 vcc_lo, exec_lo, s0
	s_cbranch_vccnz .LBB150_816
; %bb.815:
	v_add_f32_e32 v4, 0x43000000, v3
.LBB150_816:
	s_mov_b32 s0, 0
.LBB150_817:
	s_delay_alu instid0(SALU_CYCLE_1)
	s_and_not1_b32 vcc_lo, exec_lo, s0
	s_cbranch_vccnz .LBB150_819
; %bb.818:
	v_mov_b32_e32 v4, 0x7f
	v_cmp_lt_u32_e32 vcc_lo, 0x7f800000, v3
	s_delay_alu instid0(VALU_DEP_2)
	v_cndmask_b32_e32 v4, 0x7c, v4, vcc_lo
.LBB150_819:
	global_store_b8 v[0:1], v4, off
.LBB150_820:
	s_mov_b32 s1, 0
	s_mov_b32 s0, -1
.LBB150_821:
	s_and_not1_b32 vcc_lo, exec_lo, s1
	s_mov_b32 s7, 0
	s_cbranch_vccnz .LBB150_828
; %bb.822:
	v_cmp_lt_i16_e32 vcc_lo, 14, v10
	s_mov_b32 s1, -1
	s_cbranch_vccz .LBB150_826
; %bb.823:
	v_cmp_eq_u16_e32 vcc_lo, 15, v10
	s_mov_b32 s6, -1
	s_cbranch_vccz .LBB150_825
; %bb.824:
	v_and_b32_e64 v3, 0xff, s19
	s_and_b32 s0, s19, 0xff
	s_mov_b32 s6, 0
	s_lshl_b32 s0, s0, 23
	s_delay_alu instid0(SALU_CYCLE_1) | instskip(SKIP_2) | instid1(VALU_DEP_2)
	v_mov_b32_e32 v4, s0
	v_cmp_ne_u16_e32 vcc_lo, 0xff, v3
	s_mov_b32 s0, -1
	v_cndmask_b32_e32 v4, 0x7f800001, v4, vcc_lo
	v_cmp_ne_u16_e32 vcc_lo, 0, v3
	s_delay_alu instid0(VALU_DEP_2) | instskip(NEXT) | instid1(VALU_DEP_1)
	v_cndmask_b32_e32 v3, 0x400000, v4, vcc_lo
	v_add_nc_u32_e32 v4, 0x7fff, v3
	v_cmp_o_f32_e32 vcc_lo, v3, v3
	s_delay_alu instid0(VALU_DEP_2) | instskip(NEXT) | instid1(VALU_DEP_1)
	v_lshrrev_b32_e32 v4, 16, v4
	v_cndmask_b32_e32 v3, 0x7fc0, v4, vcc_lo
	global_store_b16 v[0:1], v3, off
.LBB150_825:
	s_mov_b32 s1, 0
.LBB150_826:
	s_delay_alu instid0(SALU_CYCLE_1)
	s_and_b32 vcc_lo, exec_lo, s1
	s_cbranch_vccz .LBB150_828
; %bb.827:
	v_cmp_ne_u16_e64 s6, 11, v10
	s_mov_b32 s7, -1
.LBB150_828:
	s_delay_alu instid0(VALU_DEP_1)
	s_and_b32 vcc_lo, exec_lo, s6
	s_cbranch_vccnz .LBB150_861
; %bb.829:
	s_and_not1_b32 vcc_lo, exec_lo, s7
	s_cbranch_vccnz .LBB150_831
.LBB150_830:
	v_mov_b32_e32 v3, 1
	s_mov_b32 s0, -1
	global_store_b8 v[0:1], v3, off
.LBB150_831:
.LBB150_832:
	s_and_not1_b32 vcc_lo, exec_lo, s0
	s_cbranch_vccnz .LBB150_677
.LBB150_833:
	v_add_nc_u32_e32 v0, s5, v2
	v_cmp_gt_i16_e32 vcc_lo, 11, v10
	s_delay_alu instid0(VALU_DEP_2) | instskip(SKIP_1) | instid1(VALU_DEP_1)
	v_ashrrev_i32_e32 v1, 31, v0
	v_add_co_u32 v0, s0, s16, v0
	v_add_co_ci_u32_e64 v1, s0, s17, v1, s0
	s_cbranch_vccnz .LBB150_860
; %bb.834:
	v_cmp_lt_i16_e32 vcc_lo, 25, v10
	s_mov_b32 s0, -1
	s_mov_b32 s6, 0
	s_mov_b32 s5, 0
	s_cbranch_vccz .LBB150_872
; %bb.835:
	v_cmp_lt_i16_e32 vcc_lo, 28, v10
	s_cbranch_vccz .LBB150_849
; %bb.836:
	v_cmp_lt_i16_e32 vcc_lo, 43, v10
	;; [unrolled: 3-line block ×3, first 2 shown]
	s_cbranch_vccz .LBB150_841
; %bb.838:
	v_cmp_eq_u16_e32 vcc_lo, 46, v10
	s_mov_b32 s5, -1
	s_cbranch_vccz .LBB150_840
; %bb.839:
	v_and_b32_e64 v2, 0xff, s19
	s_and_b32 s0, s19, 0xff
	s_mov_b32 s5, 0
	s_lshl_b32 s0, s0, 23
	s_delay_alu instid0(SALU_CYCLE_1) | instskip(SKIP_1) | instid1(VALU_DEP_2)
	v_mov_b32_e32 v3, s0
	v_cmp_ne_u16_e32 vcc_lo, 0xff, v2
	v_cndmask_b32_e32 v3, 0x7f800001, v3, vcc_lo
	v_cmp_ne_u16_e32 vcc_lo, 0, v2
	s_delay_alu instid0(VALU_DEP_2) | instskip(NEXT) | instid1(VALU_DEP_1)
	v_cndmask_b32_e32 v2, 0x400000, v3, vcc_lo
	v_add_nc_u32_e32 v3, 0x7fff, v2
	v_cmp_o_f32_e32 vcc_lo, v2, v2
	s_delay_alu instid0(VALU_DEP_2) | instskip(NEXT) | instid1(VALU_DEP_1)
	v_lshrrev_b32_e32 v3, 16, v3
	v_cndmask_b32_e32 v2, 0x7fc0, v3, vcc_lo
	global_store_b32 v[0:1], v2, off
.LBB150_840:
	s_mov_b32 s0, 0
.LBB150_841:
	s_delay_alu instid0(SALU_CYCLE_1)
	s_and_b32 vcc_lo, exec_lo, s0
	s_cbranch_vccz .LBB150_844
; %bb.842:
	v_cmp_eq_u16_e32 vcc_lo, 44, v10
	s_mov_b32 s5, -1
	s_cbranch_vccz .LBB150_844
; %bb.843:
	v_mov_b32_e32 v2, s19
	s_mov_b32 s5, 0
	global_store_b8 v[0:1], v2, off
.LBB150_844:
	s_mov_b32 s0, 0
.LBB150_845:
	s_delay_alu instid0(SALU_CYCLE_1)
	s_and_b32 vcc_lo, exec_lo, s0
	s_cbranch_vccz .LBB150_848
; %bb.846:
	v_cmp_eq_u16_e32 vcc_lo, 29, v10
	s_mov_b32 s5, -1
	s_cbranch_vccz .LBB150_848
; %bb.847:
	s_and_b32 s0, s19, 0xff
	v_and_b32_e64 v4, 0xff, s19
	s_lshl_b32 s0, s0, 23
	s_mov_b32 s5, 0
	v_trunc_f32_e32 v2, s0
	s_delay_alu instid0(VALU_DEP_2) | instskip(NEXT) | instid1(VALU_DEP_2)
	v_cmp_ne_u16_e32 vcc_lo, 0, v4
	v_mul_f32_e32 v3, 0x2f800000, v2
	s_delay_alu instid0(VALU_DEP_1) | instskip(NEXT) | instid1(VALU_DEP_1)
	v_floor_f32_e32 v3, v3
	v_fmamk_f32 v2, v3, 0xcf800000, v2
	v_cvt_u32_f32_e32 v3, v3
	s_delay_alu instid0(VALU_DEP_1) | instskip(NEXT) | instid1(VALU_DEP_3)
	v_cndmask_b32_e32 v3, 0, v3, vcc_lo
	v_cvt_u32_f32_e32 v2, v2
	s_delay_alu instid0(VALU_DEP_1)
	v_cndmask_b32_e32 v2, 0, v2, vcc_lo
	global_store_b64 v[0:1], v[2:3], off
.LBB150_848:
	s_mov_b32 s0, 0
.LBB150_849:
	s_delay_alu instid0(SALU_CYCLE_1)
	s_and_b32 vcc_lo, exec_lo, s0
	s_cbranch_vccz .LBB150_871
; %bb.850:
	v_cmp_gt_i16_e32 vcc_lo, 27, v10
	s_mov_b32 s0, -1
	s_cbranch_vccnz .LBB150_856
; %bb.851:
	v_cmp_lt_i16_e32 vcc_lo, 27, v10
	s_cbranch_vccz .LBB150_853
; %bb.852:
	v_and_b32_e64 v2, 0xff, s19
	s_and_b32 s0, s19, 0xff
	s_delay_alu instid0(SALU_CYCLE_1) | instskip(NEXT) | instid1(SALU_CYCLE_1)
	s_lshl_b32 s0, s0, 23
	v_cvt_u32_f32_e32 v3, s0
	s_delay_alu instid0(VALU_DEP_2) | instskip(SKIP_1) | instid1(VALU_DEP_2)
	v_cmp_ne_u16_e32 vcc_lo, 0, v2
	s_mov_b32 s0, 0
	v_cndmask_b32_e32 v2, 0, v3, vcc_lo
	global_store_b32 v[0:1], v2, off
.LBB150_853:
	s_and_not1_b32 vcc_lo, exec_lo, s0
	s_cbranch_vccnz .LBB150_855
; %bb.854:
	v_and_b32_e64 v2, 0xff, s19
	s_and_b32 s0, s19, 0xff
	s_delay_alu instid0(SALU_CYCLE_1) | instskip(NEXT) | instid1(SALU_CYCLE_1)
	s_lshl_b32 s0, s0, 23
	v_cvt_u32_f32_e32 v3, s0
	s_delay_alu instid0(VALU_DEP_2) | instskip(NEXT) | instid1(VALU_DEP_2)
	v_cmp_ne_u16_e32 vcc_lo, 0, v2
	v_cndmask_b32_e32 v2, 0, v3, vcc_lo
	global_store_b16 v[0:1], v2, off
.LBB150_855:
	s_mov_b32 s0, 0
.LBB150_856:
	s_delay_alu instid0(SALU_CYCLE_1)
	s_and_not1_b32 vcc_lo, exec_lo, s0
	s_cbranch_vccnz .LBB150_871
; %bb.857:
	v_and_b32_e64 v2, 0xff, s19
	v_mov_b32_e32 v3, 0x7f800001
	s_and_b32 s0, s19, 0xff
	v_mov_b32_e32 v4, 0x80
	s_lshl_b32 s8, s0, 23
	v_cmp_eq_u16_e64 s1, 0xff, v2
	v_cmp_eq_u16_e64 s0, 0, v2
	s_mov_b32 s7, 0
	s_delay_alu instid0(VALU_DEP_2) | instskip(NEXT) | instid1(VALU_DEP_1)
	v_cndmask_b32_e64 v3, |s8|, v3, s1
	v_cndmask_b32_e64 v2, v3, 0x400000, s0
	s_delay_alu instid0(VALU_DEP_1)
	v_cmp_lt_u32_e32 vcc_lo, 0x437fffff, v2
	s_cbranch_vccnz .LBB150_870
; %bb.858:
	v_cmp_lt_u32_e32 vcc_lo, 0x3bffffff, v2
	s_cbranch_vccz .LBB150_865
; %bb.859:
	s_add_i32 s7, s8, 0x487ffff
	s_mov_b32 s8, 0
	s_lshr_b32 s7, s7, 20
	s_and_b32 s1, s1, exec_lo
	s_cselect_b32 s1, 0x840, s7
	s_and_b32 s0, s0, exec_lo
	s_cselect_b32 s0, 0x4c, s1
	s_mov_b32 s7, -1
	s_branch .LBB150_866
.LBB150_860:
	s_mov_b32 s6, 0
	s_mov_b32 s0, -1
	s_branch .LBB150_678
.LBB150_861:
	s_cbranch_execnz .LBB150_863
; %bb.862:
	s_or_b32 s4, s4, exec_lo
	s_cbranch_execz .LBB150_830
	s_branch .LBB150_831
.LBB150_863:
	s_trap 2
	s_sendmsg_rtn_b32 s0, sendmsg(MSG_RTN_GET_DOORBELL)
	s_mov_b32 ttmp2, m0
	s_waitcnt lgkmcnt(0)
	s_and_b32 s0, s0, 0x3ff
	s_delay_alu instid0(SALU_CYCLE_1) | instskip(NEXT) | instid1(SALU_CYCLE_1)
	s_bitset1_b32 s0, 10
	s_mov_b32 m0, s0
	s_sendmsg sendmsg(MSG_INTERRUPT)
	s_mov_b32 m0, ttmp2
.LBB150_864:                            ; =>This Inner Loop Header: Depth=1
	s_sethalt 5
	s_branch .LBB150_864
.LBB150_865:
	s_mov_b32 s8, -1
                                        ; implicit-def: $sgpr0
.LBB150_866:
	v_mov_b32_e32 v3, s0
	s_and_not1_b32 vcc_lo, exec_lo, s8
                                        ; implicit-def: $sgpr0
	s_cbranch_vccnz .LBB150_868
; %bb.867:
	v_add_f32_e32 v2, 0x46000000, v2
	s_mov_b32 s0, 0
	s_delay_alu instid0(VALU_DEP_1) | instskip(NEXT) | instid1(VALU_DEP_1)
	v_and_b32_e32 v3, 0xff, v2
	v_cmp_ne_u32_e64 s7, 0, v3
.LBB150_868:
	v_mov_b32_e32 v4, s0
	s_delay_alu instid0(VALU_DEP_2)
	s_and_not1_b32 vcc_lo, exec_lo, s7
	s_cbranch_vccnz .LBB150_870
; %bb.869:
	v_mov_b32_e32 v4, v3
.LBB150_870:
	global_store_b8 v[0:1], v4, off
.LBB150_871:
	s_mov_b32 s0, 0
.LBB150_872:
	s_delay_alu instid0(SALU_CYCLE_1)
	s_and_b32 vcc_lo, exec_lo, s0
	s_cbranch_vccz .LBB150_918
; %bb.873:
	v_cmp_lt_i16_e32 vcc_lo, 22, v10
	s_mov_b32 s0, -1
	s_cbranch_vccz .LBB150_911
; %bb.874:
	v_cmp_gt_i16_e32 vcc_lo, 24, v10
	s_cbranch_vccnz .LBB150_898
; %bb.875:
	v_cmp_lt_i16_e32 vcc_lo, 24, v10
	s_mov_b32 s6, -1
	s_cbranch_vccz .LBB150_885
; %bb.876:
	v_and_b32_e64 v2, 0xff, s19
	v_mov_b32_e32 v3, 0x7f800001
	s_and_b32 s0, s19, 0xff
	v_mov_b32_e32 v4, 0x80
	s_lshl_b32 s7, s0, 23
	v_cmp_eq_u16_e64 s1, 0xff, v2
	v_cmp_eq_u16_e64 s0, 0, v2
	s_mov_b32 s6, 0
	s_delay_alu instid0(VALU_DEP_2) | instskip(NEXT) | instid1(VALU_DEP_1)
	v_cndmask_b32_e64 v3, |s7|, v3, s1
	v_cndmask_b32_e64 v2, v3, 0x400000, s0
	s_delay_alu instid0(VALU_DEP_1)
	v_cmp_lt_u32_e32 vcc_lo, 0x477fffff, v2
	s_cbranch_vccnz .LBB150_884
; %bb.877:
	v_cmp_lt_u32_e32 vcc_lo, 0x37ffffff, v2
	s_cbranch_vccz .LBB150_879
; %bb.878:
	s_add_i32 s8, s7, 0x88fffff
	s_mov_b32 s7, 0
	s_lshr_b32 s8, s8, 21
	s_and_b32 s1, s1, exec_lo
	s_cselect_b32 s1, 0x440, s8
	s_and_b32 s0, s0, exec_lo
	s_cselect_b32 s1, 0x46, s1
	s_mov_b32 s0, -1
	s_branch .LBB150_880
.LBB150_879:
	s_mov_b32 s7, -1
	s_mov_b32 s0, 0
                                        ; implicit-def: $sgpr1
.LBB150_880:
	v_mov_b32_e32 v3, s1
	s_and_not1_b32 vcc_lo, exec_lo, s7
                                        ; implicit-def: $sgpr1
	s_cbranch_vccnz .LBB150_882
; %bb.881:
	v_add_f32_e32 v2, 0x42800000, v2
	s_mov_b32 s1, 0
	s_delay_alu instid0(VALU_DEP_1) | instskip(NEXT) | instid1(VALU_DEP_1)
	v_and_b32_e32 v3, 0xff, v2
	v_cmp_ne_u32_e64 s0, 0, v3
.LBB150_882:
	v_mov_b32_e32 v4, s1
	s_delay_alu instid0(VALU_DEP_2)
	s_and_not1_b32 vcc_lo, exec_lo, s0
	s_cbranch_vccnz .LBB150_884
; %bb.883:
	v_mov_b32_e32 v4, v3
.LBB150_884:
	global_store_b8 v[0:1], v4, off
.LBB150_885:
	s_and_b32 vcc_lo, exec_lo, s6
	s_cbranch_vccz .LBB150_897
; %bb.886:
	v_and_b32_e64 v2, 0xff, s19
	v_mov_b32_e32 v3, 0x7f800001
	s_and_b32 s0, s19, 0xff
	s_delay_alu instid0(SALU_CYCLE_1) | instskip(NEXT) | instid1(VALU_DEP_2)
	s_lshl_b32 s6, s0, 23
	v_cmp_eq_u16_e64 s1, 0xff, v2
	v_cmp_eq_u16_e64 s0, 0, v2
	s_delay_alu instid0(VALU_DEP_2) | instskip(NEXT) | instid1(VALU_DEP_1)
	v_cndmask_b32_e64 v3, |s6|, v3, s1
	v_cndmask_b32_e64 v2, v3, 0x400000, s0
	s_delay_alu instid0(VALU_DEP_1)
	v_cmp_gt_u32_e32 vcc_lo, 0x43f00000, v2
	s_cbranch_vccz .LBB150_889
; %bb.887:
	v_cmp_lt_u32_e32 vcc_lo, 0x3c7fffff, v2
	s_cbranch_vccz .LBB150_890
; %bb.888:
	s_add_i32 s6, s6, 0x407ffff
	s_delay_alu instid0(SALU_CYCLE_1)
	s_lshr_b32 s6, s6, 20
	s_and_b32 s1, s1, exec_lo
	s_cselect_b32 s1, 0x838, s6
	s_and_b32 s0, s0, exec_lo
	s_cselect_b32 s1, 0x44, s1
	s_mov_b32 s0, 0
	s_branch .LBB150_891
.LBB150_889:
	s_mov_b32 s0, -1
                                        ; implicit-def: $vgpr3
	s_branch .LBB150_894
.LBB150_890:
	s_mov_b32 s0, -1
                                        ; implicit-def: $sgpr1
.LBB150_891:
	v_mov_b32_e32 v3, s1
	s_and_not1_b32 vcc_lo, exec_lo, s0
	s_cbranch_vccnz .LBB150_893
; %bb.892:
	v_add_f32_e32 v3, 0x46800000, v2
.LBB150_893:
	s_mov_b32 s0, 0
.LBB150_894:
	s_delay_alu instid0(SALU_CYCLE_1)
	s_and_not1_b32 vcc_lo, exec_lo, s0
	s_cbranch_vccnz .LBB150_896
; %bb.895:
	v_mov_b32_e32 v3, 0x7f
	v_cmp_lt_u32_e32 vcc_lo, 0x7f800000, v2
	s_delay_alu instid0(VALU_DEP_2)
	v_cndmask_b32_e32 v3, 0x7e, v3, vcc_lo
.LBB150_896:
	global_store_b8 v[0:1], v3, off
.LBB150_897:
	s_mov_b32 s0, 0
.LBB150_898:
	s_delay_alu instid0(SALU_CYCLE_1)
	s_and_not1_b32 vcc_lo, exec_lo, s0
	s_cbranch_vccnz .LBB150_910
; %bb.899:
	v_and_b32_e64 v2, 0xff, s19
	v_mov_b32_e32 v3, 0x7f800001
	s_and_b32 s0, s19, 0xff
	s_delay_alu instid0(SALU_CYCLE_1) | instskip(NEXT) | instid1(VALU_DEP_2)
	s_lshl_b32 s6, s0, 23
	v_cmp_eq_u16_e64 s1, 0xff, v2
	v_cmp_eq_u16_e64 s0, 0, v2
	s_delay_alu instid0(VALU_DEP_2) | instskip(NEXT) | instid1(VALU_DEP_1)
	v_cndmask_b32_e64 v3, |s6|, v3, s1
	v_cndmask_b32_e64 v2, v3, 0x400000, s0
	s_delay_alu instid0(VALU_DEP_1)
	v_cmp_gt_u32_e32 vcc_lo, 0x47800000, v2
	s_cbranch_vccz .LBB150_902
; %bb.900:
	v_cmp_lt_u32_e32 vcc_lo, 0x387fffff, v2
	s_cbranch_vccz .LBB150_903
; %bb.901:
	s_add_i32 s6, s6, 0x80fffff
	s_delay_alu instid0(SALU_CYCLE_1)
	s_lshr_b32 s6, s6, 21
	s_and_b32 s1, s1, exec_lo
	s_cselect_b32 s1, 0x43c, s6
	s_and_b32 s0, s0, exec_lo
	s_cselect_b32 s1, 0x42, s1
	s_mov_b32 s0, 0
	s_branch .LBB150_904
.LBB150_902:
	s_mov_b32 s0, -1
                                        ; implicit-def: $vgpr3
	s_branch .LBB150_907
.LBB150_903:
	s_mov_b32 s0, -1
                                        ; implicit-def: $sgpr1
.LBB150_904:
	v_mov_b32_e32 v3, s1
	s_and_not1_b32 vcc_lo, exec_lo, s0
	s_cbranch_vccnz .LBB150_906
; %bb.905:
	v_add_f32_e32 v3, 0x43000000, v2
.LBB150_906:
	s_mov_b32 s0, 0
.LBB150_907:
	s_delay_alu instid0(SALU_CYCLE_1)
	s_and_not1_b32 vcc_lo, exec_lo, s0
	s_cbranch_vccnz .LBB150_909
; %bb.908:
	v_mov_b32_e32 v3, 0x7f
	v_cmp_lt_u32_e32 vcc_lo, 0x7f800000, v2
	s_delay_alu instid0(VALU_DEP_2)
	v_cndmask_b32_e32 v3, 0x7c, v3, vcc_lo
.LBB150_909:
	global_store_b8 v[0:1], v3, off
.LBB150_910:
	s_mov_b32 s0, 0
.LBB150_911:
	s_delay_alu instid0(SALU_CYCLE_1)
	s_and_not1_b32 vcc_lo, exec_lo, s0
	s_mov_b32 s6, 0
	s_cbranch_vccnz .LBB150_918
; %bb.912:
	v_cmp_lt_i16_e32 vcc_lo, 14, v10
	s_mov_b32 s0, -1
	s_cbranch_vccz .LBB150_916
; %bb.913:
	v_cmp_eq_u16_e32 vcc_lo, 15, v10
	s_mov_b32 s5, -1
	s_cbranch_vccz .LBB150_915
; %bb.914:
	v_and_b32_e64 v2, 0xff, s19
	s_and_b32 s0, s19, 0xff
	s_mov_b32 s5, 0
	s_lshl_b32 s0, s0, 23
	s_delay_alu instid0(SALU_CYCLE_1) | instskip(SKIP_1) | instid1(VALU_DEP_2)
	v_mov_b32_e32 v3, s0
	v_cmp_ne_u16_e32 vcc_lo, 0xff, v2
	v_cndmask_b32_e32 v3, 0x7f800001, v3, vcc_lo
	v_cmp_ne_u16_e32 vcc_lo, 0, v2
	s_delay_alu instid0(VALU_DEP_2) | instskip(NEXT) | instid1(VALU_DEP_1)
	v_cndmask_b32_e32 v2, 0x400000, v3, vcc_lo
	v_add_nc_u32_e32 v3, 0x7fff, v2
	v_cmp_o_f32_e32 vcc_lo, v2, v2
	s_delay_alu instid0(VALU_DEP_2) | instskip(NEXT) | instid1(VALU_DEP_1)
	v_lshrrev_b32_e32 v3, 16, v3
	v_cndmask_b32_e32 v2, 0x7fc0, v3, vcc_lo
	global_store_b16 v[0:1], v2, off
.LBB150_915:
	s_mov_b32 s0, 0
.LBB150_916:
	s_delay_alu instid0(SALU_CYCLE_1)
	s_and_b32 vcc_lo, exec_lo, s0
	s_cbranch_vccz .LBB150_918
; %bb.917:
	v_cmp_ne_u16_e64 s5, 11, v10
	s_mov_b32 s6, -1
.LBB150_918:
	s_delay_alu instid0(VALU_DEP_1)
	s_and_b32 vcc_lo, exec_lo, s5
	s_cbranch_vccnz .LBB150_920
.LBB150_919:
	s_mov_b32 s0, 0
	s_branch .LBB150_678
.LBB150_920:
	s_cbranch_execnz .LBB150_922
; %bb.921:
	s_mov_b32 s6, 0
	s_or_b32 s4, s4, exec_lo
	s_branch .LBB150_919
.LBB150_922:
	s_trap 2
	s_sendmsg_rtn_b32 s0, sendmsg(MSG_RTN_GET_DOORBELL)
	s_mov_b32 ttmp2, m0
	s_waitcnt lgkmcnt(0)
	s_and_b32 s0, s0, 0x3ff
	s_delay_alu instid0(SALU_CYCLE_1) | instskip(NEXT) | instid1(SALU_CYCLE_1)
	s_bitset1_b32 s0, 10
	s_mov_b32 m0, s0
	s_sendmsg sendmsg(MSG_INTERRUPT)
	s_mov_b32 m0, ttmp2
.LBB150_923:                            ; =>This Inner Loop Header: Depth=1
	s_sethalt 5
	s_branch .LBB150_923
	.section	.rodata,"a",@progbits
	.p2align	6, 0x0
	.amdhsa_kernel _ZN2at6native32elementwise_kernel_manual_unrollILi128ELi4EZNS0_15gpu_kernel_implINS0_11FillFunctorIN3c1014Float8_e8m0fnuEEEEEvRNS_18TensorIteratorBaseERKT_EUlibE_EEviT1_
		.amdhsa_group_segment_fixed_size 0
		.amdhsa_private_segment_fixed_size 0
		.amdhsa_kernarg_size 24
		.amdhsa_user_sgpr_count 15
		.amdhsa_user_sgpr_dispatch_ptr 0
		.amdhsa_user_sgpr_queue_ptr 0
		.amdhsa_user_sgpr_kernarg_segment_ptr 1
		.amdhsa_user_sgpr_dispatch_id 0
		.amdhsa_user_sgpr_private_segment_size 0
		.amdhsa_wavefront_size32 1
		.amdhsa_uses_dynamic_stack 0
		.amdhsa_enable_private_segment 0
		.amdhsa_system_sgpr_workgroup_id_x 1
		.amdhsa_system_sgpr_workgroup_id_y 0
		.amdhsa_system_sgpr_workgroup_id_z 0
		.amdhsa_system_sgpr_workgroup_info 0
		.amdhsa_system_vgpr_workitem_id 0
		.amdhsa_next_free_vgpr 25
		.amdhsa_next_free_sgpr 31
		.amdhsa_reserve_vcc 1
		.amdhsa_float_round_mode_32 0
		.amdhsa_float_round_mode_16_64 0
		.amdhsa_float_denorm_mode_32 3
		.amdhsa_float_denorm_mode_16_64 3
		.amdhsa_dx10_clamp 1
		.amdhsa_ieee_mode 1
		.amdhsa_fp16_overflow 0
		.amdhsa_workgroup_processor_mode 1
		.amdhsa_memory_ordered 1
		.amdhsa_forward_progress 0
		.amdhsa_shared_vgpr_count 0
		.amdhsa_exception_fp_ieee_invalid_op 0
		.amdhsa_exception_fp_denorm_src 0
		.amdhsa_exception_fp_ieee_div_zero 0
		.amdhsa_exception_fp_ieee_overflow 0
		.amdhsa_exception_fp_ieee_underflow 0
		.amdhsa_exception_fp_ieee_inexact 0
		.amdhsa_exception_int_div_zero 0
	.end_amdhsa_kernel
	.section	.text._ZN2at6native32elementwise_kernel_manual_unrollILi128ELi4EZNS0_15gpu_kernel_implINS0_11FillFunctorIN3c1014Float8_e8m0fnuEEEEEvRNS_18TensorIteratorBaseERKT_EUlibE_EEviT1_,"axG",@progbits,_ZN2at6native32elementwise_kernel_manual_unrollILi128ELi4EZNS0_15gpu_kernel_implINS0_11FillFunctorIN3c1014Float8_e8m0fnuEEEEEvRNS_18TensorIteratorBaseERKT_EUlibE_EEviT1_,comdat
.Lfunc_end150:
	.size	_ZN2at6native32elementwise_kernel_manual_unrollILi128ELi4EZNS0_15gpu_kernel_implINS0_11FillFunctorIN3c1014Float8_e8m0fnuEEEEEvRNS_18TensorIteratorBaseERKT_EUlibE_EEviT1_, .Lfunc_end150-_ZN2at6native32elementwise_kernel_manual_unrollILi128ELi4EZNS0_15gpu_kernel_implINS0_11FillFunctorIN3c1014Float8_e8m0fnuEEEEEvRNS_18TensorIteratorBaseERKT_EUlibE_EEviT1_
                                        ; -- End function
	.section	.AMDGPU.csdata,"",@progbits
; Kernel info:
; codeLenInByte = 17720
; NumSgprs: 33
; NumVgprs: 25
; ScratchSize: 0
; MemoryBound: 0
; FloatMode: 240
; IeeeMode: 1
; LDSByteSize: 0 bytes/workgroup (compile time only)
; SGPRBlocks: 4
; VGPRBlocks: 3
; NumSGPRsForWavesPerEU: 33
; NumVGPRsForWavesPerEU: 25
; Occupancy: 16
; WaveLimiterHint : 0
; COMPUTE_PGM_RSRC2:SCRATCH_EN: 0
; COMPUTE_PGM_RSRC2:USER_SGPR: 15
; COMPUTE_PGM_RSRC2:TRAP_HANDLER: 0
; COMPUTE_PGM_RSRC2:TGID_X_EN: 1
; COMPUTE_PGM_RSRC2:TGID_Y_EN: 0
; COMPUTE_PGM_RSRC2:TGID_Z_EN: 0
; COMPUTE_PGM_RSRC2:TIDIG_COMP_CNT: 0
	.section	.text._ZN2at6native32elementwise_kernel_manual_unrollILi128ELi4EZNS0_15gpu_kernel_implINS0_11FillFunctorIN3c1014Float8_e8m0fnuEEEEEvRNS_18TensorIteratorBaseERKT_EUlibE0_EEviT1_,"axG",@progbits,_ZN2at6native32elementwise_kernel_manual_unrollILi128ELi4EZNS0_15gpu_kernel_implINS0_11FillFunctorIN3c1014Float8_e8m0fnuEEEEEvRNS_18TensorIteratorBaseERKT_EUlibE0_EEviT1_,comdat
	.protected	_ZN2at6native32elementwise_kernel_manual_unrollILi128ELi4EZNS0_15gpu_kernel_implINS0_11FillFunctorIN3c1014Float8_e8m0fnuEEEEEvRNS_18TensorIteratorBaseERKT_EUlibE0_EEviT1_ ; -- Begin function _ZN2at6native32elementwise_kernel_manual_unrollILi128ELi4EZNS0_15gpu_kernel_implINS0_11FillFunctorIN3c1014Float8_e8m0fnuEEEEEvRNS_18TensorIteratorBaseERKT_EUlibE0_EEviT1_
	.globl	_ZN2at6native32elementwise_kernel_manual_unrollILi128ELi4EZNS0_15gpu_kernel_implINS0_11FillFunctorIN3c1014Float8_e8m0fnuEEEEEvRNS_18TensorIteratorBaseERKT_EUlibE0_EEviT1_
	.p2align	8
	.type	_ZN2at6native32elementwise_kernel_manual_unrollILi128ELi4EZNS0_15gpu_kernel_implINS0_11FillFunctorIN3c1014Float8_e8m0fnuEEEEEvRNS_18TensorIteratorBaseERKT_EUlibE0_EEviT1_,@function
_ZN2at6native32elementwise_kernel_manual_unrollILi128ELi4EZNS0_15gpu_kernel_implINS0_11FillFunctorIN3c1014Float8_e8m0fnuEEEEEvRNS_18TensorIteratorBaseERKT_EUlibE0_EEviT1_: ; @_ZN2at6native32elementwise_kernel_manual_unrollILi128ELi4EZNS0_15gpu_kernel_implINS0_11FillFunctorIN3c1014Float8_e8m0fnuEEEEEvRNS_18TensorIteratorBaseERKT_EUlibE0_EEviT1_
; %bb.0:
	s_clause 0x1
	s_load_b32 s28, s[0:1], 0x8
	s_load_b32 s41, s[0:1], 0x0
	v_lshl_or_b32 v14, s15, 9, v0
	s_or_b32 s0, s0, 8
	s_mov_b32 s26, -1
	s_mov_b32 s30, 0
	s_mov_b32 s6, 0
	v_or_b32_e32 v4, 0x180, v14
	s_mov_b32 s2, exec_lo
	s_waitcnt lgkmcnt(0)
	s_add_i32 s29, s28, -1
	s_delay_alu instid0(SALU_CYCLE_1)
	s_cmp_gt_u32 s29, 1
	s_cselect_b32 s31, -1, 0
	v_cmpx_le_i32_e64 s41, v4
	s_xor_b32 s33, exec_lo, s2
	s_cbranch_execz .LBB151_159
; %bb.1:
	s_load_b32 s39, s[0:1], 0x110
	s_cmp_lg_u32 s28, 0
	v_mov_b32_e32 v3, 0x7f800001
	s_cselect_b32 s43, -1, 0
	s_add_u32 s24, s0, 0xc4
	s_addc_u32 s25, s1, 0
	s_min_u32 s42, s29, 15
	s_cmp_gt_u32 s28, 1
	s_clause 0x1
	s_load_b64 s[20:21], s[0:1], 0xc4
	s_load_b64 s[14:15], s[0:1], 0x108
	s_cselect_b32 s40, -1, 0
	s_clause 0x1
	s_load_b128 s[16:19], s[0:1], 0x4
	s_load_b64 s[22:23], s[0:1], 0x14
	s_mov_b32 s46, 0
	s_mov_b32 s44, 0
	s_mov_b32 s45, exec_lo
	s_waitcnt lgkmcnt(0)
	s_and_b32 s2, s39, 0xff
	v_and_b32_e64 v4, 0xff, s39
	s_lshl_b32 s27, s2, 23
	v_lshrrev_b16 v10, 8, s39
	v_trunc_f32_e32 v2, s27
	s_add_i32 s2, s27, 0x487ffff
	v_cmp_eq_u16_e32 vcc_lo, 0xff, v4
	v_cmp_eq_u16_e64 s12, 0, v4
	s_lshr_b32 s2, s2, 20
	v_mul_f32_e32 v0, 0x2f800000, v2
	v_cvt_u32_f32_e32 v5, s27
	v_cndmask_b32_e64 v8, |s27|, v3, vcc_lo
	s_and_b32 s3, vcc_lo, exec_lo
	s_cselect_b32 s2, 64, s2
	v_floor_f32_e32 v6, v0
	s_and_b32 s3, s12, exec_lo
	v_cndmask_b32_e64 v8, v8, 0x400000, s12
	v_cvt_f64_f32_e32 v[0:1], s27
	s_cselect_b32 s38, 0x4c, s2
	v_fmamk_f32 v7, v6, 0xcf800000, v2
	s_add_i32 s2, s27, 0x88fffff
	v_cvt_u32_f32_e32 v6, v6
	s_lshr_b32 s3, s2, 21
	s_and_b32 s2, vcc_lo, exec_lo
	v_cvt_u32_f32_e32 v4, v7
	v_add_f32_e32 v23, 0x46000000, v8
	s_cselect_b32 s4, 64, s3
	s_and_b32 s3, s12, exec_lo
	s_cselect_b32 s36, 0x46, s4
	s_add_i32 s4, s27, 0x407ffff
	v_cndmask_b32_e64 v7, v6, 0, s12
	v_cndmask_b32_e64 v6, v4, 0, s12
	v_add_f32_e32 v19, 0x42800000, v8
	v_and_b32_e32 v4, 0xff, v23
	s_lshr_b32 s4, s4, 20
	v_cndmask_b32_e32 v3, s27, v3, vcc_lo
	s_and_b32 s13, vcc_lo, exec_lo
	s_cselect_b32 s4, 56, s4
	s_and_b32 s13, s12, exec_lo
	s_cselect_b32 s35, 0x44, s4
	s_add_i32 s4, s27, 0x80fffff
	v_cndmask_b32_e64 v24, v5, 0, s12
	v_and_b32_e32 v5, 0xff, v19
	v_cmp_ne_u32_e64 s11, 0, v4
	v_cndmask_b32_e64 v15, v3, 0x400000, s12
	v_mul_f32_e64 v4, 0x2f800000, |v2|
	s_lshr_b32 s13, s4, 21
	s_and_b32 s34, vcc_lo, exec_lo
	s_cselect_b32 s13, 60, s13
	s_and_b32 s34, s12, exec_lo
	v_cmp_ne_u32_e64 s8, 0, v5
	v_mov_b32_e32 v3, 0x7f
	s_cselect_b32 s37, 0x42, s13
	v_add_nc_u32_e32 v5, 0x7fff, v15
	v_cmp_lt_u32_e64 s13, 0x7f800000, v8
	v_floor_f32_e32 v4, v4
	v_cmp_gt_u32_e64 s10, 0x43800000, v8
	v_cmp_lt_u32_e64 s9, 0x3bffffff, v8
	v_lshrrev_b32_e32 v5, 16, v5
	v_cndmask_b32_e64 v22, 0x7e, v3, s13
	v_cndmask_b32_e64 v21, 0x7c, v3, s13
	v_fma_f32 v3, 0xcf800000, v4, |v2|
	v_cmp_o_f32_e64 s13, v15, v15
	v_ashrrev_i32_e32 v2, 31, v2
	v_cvt_u32_f32_e32 v4, v4
	v_cmp_lt_u32_e64 s2, 0x477fffff, v8
	v_cvt_u32_f32_e32 v3, v3
	v_cndmask_b32_e64 v17, 0x7fc0, v5, s13
	v_cvt_f16_f32_e32 v5, s27
	v_cmp_gt_u32_e64 s7, 0x47800000, v8
	v_cmp_lt_u32_e64 s6, 0x37ffffff, v8
	v_xor_b32_e32 v3, v3, v2
	v_cmp_lt_u32_e64 s3, 0x43efffff, v8
	v_and_b32_e32 v5, 0xffff, v5
	v_cmp_gt_u32_e64 s5, 0x3c800000, v8
	v_add_f32_e32 v18, 0x46800000, v8
	v_cmp_gt_u32_e64 s4, 0x38800000, v8
	v_add_f32_e32 v20, 0x43000000, v8
	v_cndmask_b32_e64 v1, v1, 0x7ff80000, vcc_lo
	v_cndmask_b32_e64 v0, v0, 0x20000000, vcc_lo
	s_and_b32 s13, vcc_lo, exec_lo
	v_cndmask_b32_e64 v5, v5, 0x7e00, vcc_lo
	v_xor_b32_e32 v4, v4, v2
	v_cvt_i32_f32_e32 v8, s27
	v_sub_co_u32 v3, vcc_lo, v3, v2
	v_cndmask_b32_e64 v1, v1, 0x38000000, s12
	s_delay_alu instid0(VALU_DEP_4) | instskip(NEXT) | instid1(VALU_DEP_4)
	v_sub_co_ci_u32_e32 v2, vcc_lo, v4, v2, vcc_lo
	v_and_b32_e32 v9, 0xff, v8
	s_delay_alu instid0(VALU_DEP_4)
	v_and_b32_e32 v11, 0xff, v3
	v_cndmask_b32_e64 v0, v0, 0, s12
	v_cndmask_b32_e64 v16, v5, 0, s12
	v_cndmask_b32_e64 v5, v2, 0, s12
	v_cndmask_b32_e64 v4, v3, 0, s12
	v_cndmask_b32_e64 v13, v8, 0, s12
	v_cndmask_b32_e64 v12, v9, 0, s12
	v_cndmask_b32_e64 v11, v11, 0, s12
	s_cselect_b32 s13, 0x7f800001, s27
	s_and_b32 s12, s12, exec_lo
	s_cselect_b32 s34, 0x400000, s13
	v_cmpx_gt_i32_e64 s41, v14
	s_cbranch_execz .LBB151_110
; %bb.2:
	s_and_not1_b32 vcc_lo, exec_lo, s31
	s_cbranch_vccnz .LBB151_7
; %bb.3:
	v_mov_b32_e32 v2, 0
	s_and_not1_b32 vcc_lo, exec_lo, s43
	s_cbranch_vccnz .LBB151_12
; %bb.4:
	s_add_i32 s47, s42, 1
	s_cmp_eq_u32 s29, 2
	s_cbranch_scc1 .LBB151_8
; %bb.5:
	v_dual_mov_b32 v2, 0 :: v_dual_mov_b32 v3, v14
	s_and_b32 s44, s47, 28
	s_mov_b32 s48, 0
	s_mov_b64 s[12:13], s[0:1]
	s_mov_b64 s[26:27], s[24:25]
.LBB151_6:                              ; =>This Inner Loop Header: Depth=1
	s_clause 0x1
	s_load_b256 s[52:59], s[12:13], 0x4
	s_load_b128 s[60:63], s[12:13], 0x24
	s_load_b128 s[64:67], s[26:27], 0x0
	s_add_u32 s12, s12, 48
	s_addc_u32 s13, s13, 0
	s_add_i32 s48, s48, 4
	s_add_u32 s26, s26, 16
	s_addc_u32 s27, s27, 0
	s_cmp_lg_u32 s44, s48
	s_waitcnt lgkmcnt(0)
	v_mul_hi_u32 v8, s53, v3
	s_delay_alu instid0(VALU_DEP_1) | instskip(NEXT) | instid1(VALU_DEP_1)
	v_add_nc_u32_e32 v8, v3, v8
	v_lshrrev_b32_e32 v8, s54, v8
	s_delay_alu instid0(VALU_DEP_1) | instskip(SKIP_1) | instid1(VALU_DEP_2)
	v_mul_hi_u32 v9, s56, v8
	v_mul_lo_u32 v27, v8, s52
	v_add_nc_u32_e32 v9, v8, v9
	s_delay_alu instid0(VALU_DEP_2) | instskip(NEXT) | instid1(VALU_DEP_2)
	v_sub_nc_u32_e32 v27, v3, v27
	v_lshrrev_b32_e32 v9, s57, v9
	s_delay_alu instid0(VALU_DEP_2) | instskip(NEXT) | instid1(VALU_DEP_2)
	v_mul_lo_u32 v27, v27, s64
	v_mul_hi_u32 v25, s59, v9
	v_mul_lo_u32 v28, v9, s55
	s_delay_alu instid0(VALU_DEP_2) | instskip(NEXT) | instid1(VALU_DEP_2)
	v_add_nc_u32_e32 v25, v9, v25
	v_sub_nc_u32_e32 v8, v8, v28
	s_delay_alu instid0(VALU_DEP_2) | instskip(NEXT) | instid1(VALU_DEP_2)
	v_lshrrev_b32_e32 v25, s60, v25
	v_mul_lo_u32 v8, v8, s65
	s_delay_alu instid0(VALU_DEP_2) | instskip(NEXT) | instid1(VALU_DEP_2)
	v_mul_hi_u32 v26, s62, v25
	v_add3_u32 v2, v27, v2, v8
	s_delay_alu instid0(VALU_DEP_2) | instskip(NEXT) | instid1(VALU_DEP_1)
	v_add_nc_u32_e32 v26, v25, v26
	v_lshrrev_b32_e32 v3, s63, v26
	v_mul_lo_u32 v26, v25, s58
	s_delay_alu instid0(VALU_DEP_2) | instskip(NEXT) | instid1(VALU_DEP_2)
	v_mul_lo_u32 v29, v3, s61
	v_sub_nc_u32_e32 v9, v9, v26
	s_delay_alu instid0(VALU_DEP_2) | instskip(NEXT) | instid1(VALU_DEP_2)
	v_sub_nc_u32_e32 v25, v25, v29
	v_mul_lo_u32 v9, v9, s66
	s_delay_alu instid0(VALU_DEP_2) | instskip(NEXT) | instid1(VALU_DEP_1)
	v_mul_lo_u32 v25, v25, s67
	v_add3_u32 v2, v9, v2, v25
	s_cbranch_scc1 .LBB151_6
	s_branch .LBB151_9
.LBB151_7:
                                        ; implicit-def: $vgpr2
	s_branch .LBB151_13
.LBB151_8:
	v_mov_b32_e32 v3, v14
.LBB151_9:
	s_and_b32 s47, s47, 3
	s_delay_alu instid0(SALU_CYCLE_1)
	s_cmp_eq_u32 s47, 0
	s_cbranch_scc1 .LBB151_12
; %bb.10:
	s_lshl_b32 s12, s44, 2
	s_mul_i32 s26, s44, 12
	s_add_u32 s12, s12, s0
	s_addc_u32 s13, s1, 0
	s_add_u32 s12, s12, 0xc4
	s_addc_u32 s13, s13, 0
	;; [unrolled: 2-line block ×3, first 2 shown]
	.p2align	6
.LBB151_11:                             ; =>This Inner Loop Header: Depth=1
	s_clause 0x1
	s_load_b64 s[48:49], s[26:27], 0x4
	s_load_b32 s44, s[26:27], 0xc
	s_add_u32 s26, s26, 12
	s_addc_u32 s27, s27, 0
	s_waitcnt lgkmcnt(0)
	v_mul_hi_u32 v8, s49, v3
	s_load_b32 s49, s[12:13], 0x0
	s_add_u32 s12, s12, 4
	s_addc_u32 s13, s13, 0
	s_add_i32 s47, s47, -1
	s_delay_alu instid0(SALU_CYCLE_1) | instskip(NEXT) | instid1(VALU_DEP_1)
	s_cmp_lg_u32 s47, 0
	v_add_nc_u32_e32 v8, v3, v8
	s_delay_alu instid0(VALU_DEP_1) | instskip(NEXT) | instid1(VALU_DEP_1)
	v_lshrrev_b32_e32 v25, s44, v8
	v_mul_lo_u32 v8, v25, s48
	s_delay_alu instid0(VALU_DEP_1) | instskip(SKIP_1) | instid1(VALU_DEP_1)
	v_sub_nc_u32_e32 v3, v3, v8
	s_waitcnt lgkmcnt(0)
	v_mad_u64_u32 v[8:9], null, v3, s49, v[2:3]
	s_delay_alu instid0(VALU_DEP_1)
	v_dual_mov_b32 v3, v25 :: v_dual_mov_b32 v2, v8
	s_cbranch_scc1 .LBB151_11
.LBB151_12:
	s_cbranch_execnz .LBB151_15
.LBB151_13:
	v_mul_hi_u32 v2, s17, v14
	s_and_not1_b32 vcc_lo, exec_lo, s40
	s_delay_alu instid0(VALU_DEP_1) | instskip(NEXT) | instid1(VALU_DEP_1)
	v_add_nc_u32_e32 v2, v14, v2
	v_lshrrev_b32_e32 v3, s18, v2
	s_delay_alu instid0(VALU_DEP_1) | instskip(NEXT) | instid1(VALU_DEP_1)
	v_mul_lo_u32 v2, v3, s16
	v_sub_nc_u32_e32 v2, v14, v2
	s_delay_alu instid0(VALU_DEP_1)
	v_mul_lo_u32 v2, v2, s20
	s_cbranch_vccnz .LBB151_15
; %bb.14:
	v_mul_hi_u32 v8, s22, v3
	s_delay_alu instid0(VALU_DEP_1) | instskip(NEXT) | instid1(VALU_DEP_1)
	v_add_nc_u32_e32 v8, v3, v8
	v_lshrrev_b32_e32 v8, s23, v8
	s_delay_alu instid0(VALU_DEP_1) | instskip(NEXT) | instid1(VALU_DEP_1)
	v_mul_lo_u32 v8, v8, s19
	v_sub_nc_u32_e32 v3, v3, v8
	s_delay_alu instid0(VALU_DEP_1) | instskip(NEXT) | instid1(VALU_DEP_1)
	v_mad_u64_u32 v[8:9], null, v3, s21, v[2:3]
	v_mov_b32_e32 v2, v8
.LBB151_15:
	v_cmp_gt_i16_e32 vcc_lo, 11, v10
	s_delay_alu instid0(VALU_DEP_2) | instskip(NEXT) | instid1(VALU_DEP_1)
	v_add_co_u32 v8, s13, s14, v2
	v_add_co_ci_u32_e64 v9, null, s15, 0, s13
	s_mov_b32 s12, 0
	s_mov_b32 s26, -1
	s_mov_b32 s13, 0
	s_cbranch_vccnz .LBB151_69
; %bb.16:
	v_cmp_lt_i16_e32 vcc_lo, 25, v10
	s_cbranch_vccz .LBB151_44
; %bb.17:
	v_cmp_lt_i16_e32 vcc_lo, 28, v10
	s_cbranch_vccz .LBB151_30
	;; [unrolled: 3-line block ×4, first 2 shown]
; %bb.20:
	v_cmp_eq_u16_e32 vcc_lo, 46, v10
	s_mov_b32 s26, 0
	s_mov_b32 s12, -1
	s_cbranch_vccz .LBB151_22
; %bb.21:
	s_mov_b32 s13, -1
	s_mov_b32 s12, 0
	global_store_b32 v[8:9], v17, off
.LBB151_22:
	s_and_b32 vcc_lo, exec_lo, s26
	s_cbranch_vccz .LBB151_25
; %bb.23:
	v_cmp_eq_u16_e32 vcc_lo, 44, v10
	s_mov_b32 s12, -1
	s_cbranch_vccz .LBB151_25
; %bb.24:
	v_mov_b32_e32 v2, s39
	s_mov_b32 s13, -1
	s_mov_b32 s12, 0
	global_store_b8 v[8:9], v2, off
.LBB151_25:
	s_mov_b32 s26, 0
.LBB151_26:
	s_delay_alu instid0(SALU_CYCLE_1)
	s_and_b32 vcc_lo, exec_lo, s26
	s_cbranch_vccz .LBB151_29
; %bb.27:
	v_cmp_eq_u16_e32 vcc_lo, 29, v10
	s_mov_b32 s12, -1
	s_cbranch_vccz .LBB151_29
; %bb.28:
	s_mov_b32 s13, -1
	s_mov_b32 s12, 0
	global_store_b64 v[8:9], v[6:7], off
.LBB151_29:
	s_mov_b32 s26, 0
.LBB151_30:
	s_delay_alu instid0(SALU_CYCLE_1)
	s_and_b32 vcc_lo, exec_lo, s26
	s_cbranch_vccz .LBB151_43
; %bb.31:
	v_cmp_gt_i16_e32 vcc_lo, 27, v10
	s_mov_b32 s13, -1
	s_cbranch_vccnz .LBB151_37
; %bb.32:
	v_cmp_lt_i16_e32 vcc_lo, 27, v10
	s_cbranch_vccz .LBB151_34
; %bb.33:
	s_mov_b32 s13, 0
	global_store_b32 v[8:9], v24, off
.LBB151_34:
	s_and_not1_b32 vcc_lo, exec_lo, s13
	s_cbranch_vccnz .LBB151_36
; %bb.35:
	global_store_b16 v[8:9], v24, off
.LBB151_36:
	s_mov_b32 s13, 0
.LBB151_37:
	s_delay_alu instid0(SALU_CYCLE_1)
	s_and_not1_b32 vcc_lo, exec_lo, s13
	s_cbranch_vccnz .LBB151_42
; %bb.38:
	v_mov_b32_e32 v2, 0x80
	s_and_not1_b32 vcc_lo, exec_lo, s10
	s_cbranch_vccnz .LBB151_41
; %bb.39:
	v_mov_b32_e32 v2, 0
	s_or_b32 s13, s9, s11
	s_delay_alu instid0(SALU_CYCLE_1)
	s_and_not1_b32 vcc_lo, exec_lo, s13
	s_cbranch_vccnz .LBB151_41
; %bb.40:
	v_cndmask_b32_e64 v2, v23, s38, s9
.LBB151_41:
	global_store_b8 v[8:9], v2, off
.LBB151_42:
	s_mov_b32 s13, -1
.LBB151_43:
	s_mov_b32 s26, 0
.LBB151_44:
	s_delay_alu instid0(SALU_CYCLE_1)
	s_and_b32 vcc_lo, exec_lo, s26
	s_cbranch_vccz .LBB151_66
; %bb.45:
	v_cmp_lt_i16_e32 vcc_lo, 22, v10
	s_mov_b32 s26, -1
	s_cbranch_vccz .LBB151_58
; %bb.46:
	v_cmp_gt_i16_e32 vcc_lo, 24, v10
	s_mov_b32 s13, -1
	s_cbranch_vccnz .LBB151_55
; %bb.47:
	v_cmp_lt_i16_e32 vcc_lo, 24, v10
	s_cbranch_vccz .LBB151_52
; %bb.48:
	v_mov_b32_e32 v2, 0x80
	s_and_not1_b32 vcc_lo, exec_lo, s7
	s_cbranch_vccnz .LBB151_51
; %bb.49:
	v_mov_b32_e32 v2, 0
	s_or_b32 s13, s6, s8
	s_delay_alu instid0(SALU_CYCLE_1)
	s_and_not1_b32 vcc_lo, exec_lo, s13
	s_cbranch_vccnz .LBB151_51
; %bb.50:
	v_cndmask_b32_e64 v2, v19, s36, s6
.LBB151_51:
	s_mov_b32 s13, 0
	global_store_b8 v[8:9], v2, off
.LBB151_52:
	s_and_b32 vcc_lo, exec_lo, s13
	s_cbranch_vccz .LBB151_54
; %bb.53:
	v_cndmask_b32_e64 v2, s35, v18, s5
	s_delay_alu instid0(VALU_DEP_1)
	v_cndmask_b32_e64 v2, v2, v22, s3
	global_store_b8 v[8:9], v2, off
.LBB151_54:
	s_mov_b32 s13, 0
.LBB151_55:
	s_delay_alu instid0(SALU_CYCLE_1)
	s_and_not1_b32 vcc_lo, exec_lo, s13
	s_cbranch_vccnz .LBB151_57
; %bb.56:
	v_cndmask_b32_e64 v2, s37, v20, s4
	s_delay_alu instid0(VALU_DEP_1)
	v_cndmask_b32_e64 v2, v2, v21, s2
	global_store_b8 v[8:9], v2, off
.LBB151_57:
	s_mov_b32 s26, 0
	s_mov_b32 s13, -1
.LBB151_58:
	s_and_not1_b32 vcc_lo, exec_lo, s26
	s_cbranch_vccnz .LBB151_66
; %bb.59:
	v_cmp_lt_i16_e32 vcc_lo, 14, v10
	s_mov_b32 s26, -1
	s_cbranch_vccz .LBB151_63
; %bb.60:
	v_cmp_eq_u16_e32 vcc_lo, 15, v10
	s_mov_b32 s12, -1
	s_cbranch_vccz .LBB151_62
; %bb.61:
	s_mov_b32 s13, -1
	s_mov_b32 s12, 0
	global_store_b16 v[8:9], v17, off
.LBB151_62:
	s_mov_b32 s26, 0
.LBB151_63:
	s_delay_alu instid0(SALU_CYCLE_1)
	s_and_b32 vcc_lo, exec_lo, s26
	s_cbranch_vccz .LBB151_66
; %bb.64:
	v_cmp_eq_u16_e32 vcc_lo, 11, v10
	s_mov_b32 s12, -1
	s_cbranch_vccz .LBB151_66
; %bb.65:
	v_mov_b32_e32 v2, 1
	s_mov_b32 s13, -1
	s_mov_b32 s12, 0
	global_store_b8 v[8:9], v2, off
.LBB151_66:
.LBB151_67:
	s_and_not1_b32 vcc_lo, exec_lo, s13
	s_cbranch_vccnz .LBB151_108
.LBB151_68:
	v_add_nc_u32_e32 v14, 0x80, v14
	s_mov_b32 s13, -1
	s_branch .LBB151_109
.LBB151_69:
	s_and_b32 vcc_lo, exec_lo, s26
	s_cbranch_vccz .LBB151_67
; %bb.70:
	v_cmp_gt_i16_e32 vcc_lo, 5, v10
	s_mov_b32 s13, -1
	s_cbranch_vccnz .LBB151_91
; %bb.71:
	v_cmp_gt_i16_e32 vcc_lo, 8, v10
	s_cbranch_vccnz .LBB151_81
; %bb.72:
	v_cmp_gt_i16_e32 vcc_lo, 9, v10
	s_cbranch_vccnz .LBB151_78
; %bb.73:
	v_cmp_lt_i16_e32 vcc_lo, 9, v10
	s_cbranch_vccz .LBB151_75
; %bb.74:
	v_mov_b32_e32 v2, 0
	s_mov_b32 s13, 0
	s_delay_alu instid0(VALU_DEP_1)
	v_mov_b32_e32 v3, v2
	global_store_b128 v[8:9], v[0:3], off
.LBB151_75:
	s_and_not1_b32 vcc_lo, exec_lo, s13
	s_cbranch_vccnz .LBB151_77
; %bb.76:
	v_dual_mov_b32 v2, s34 :: v_dual_mov_b32 v3, 0
	global_store_b64 v[8:9], v[2:3], off
.LBB151_77:
	s_mov_b32 s13, 0
.LBB151_78:
	s_delay_alu instid0(SALU_CYCLE_1)
	s_and_not1_b32 vcc_lo, exec_lo, s13
	s_cbranch_vccnz .LBB151_80
; %bb.79:
	global_store_b32 v[8:9], v16, off
.LBB151_80:
	s_mov_b32 s13, 0
.LBB151_81:
	s_delay_alu instid0(SALU_CYCLE_1)
	s_and_not1_b32 vcc_lo, exec_lo, s13
	s_cbranch_vccnz .LBB151_90
; %bb.82:
	v_cmp_gt_i16_e32 vcc_lo, 6, v10
	s_mov_b32 s13, -1
	s_cbranch_vccnz .LBB151_88
; %bb.83:
	v_cmp_lt_i16_e32 vcc_lo, 6, v10
	s_cbranch_vccz .LBB151_85
; %bb.84:
	s_mov_b32 s13, 0
	global_store_b64 v[8:9], v[0:1], off
.LBB151_85:
	s_and_not1_b32 vcc_lo, exec_lo, s13
	s_cbranch_vccnz .LBB151_87
; %bb.86:
	global_store_b32 v[8:9], v15, off
.LBB151_87:
	s_mov_b32 s13, 0
.LBB151_88:
	s_delay_alu instid0(SALU_CYCLE_1)
	s_and_not1_b32 vcc_lo, exec_lo, s13
	s_cbranch_vccnz .LBB151_90
; %bb.89:
	global_store_b16 v[8:9], v16, off
.LBB151_90:
	s_mov_b32 s13, 0
.LBB151_91:
	s_delay_alu instid0(SALU_CYCLE_1)
	s_and_not1_b32 vcc_lo, exec_lo, s13
	s_cbranch_vccnz .LBB151_107
; %bb.92:
	v_cmp_gt_i16_e32 vcc_lo, 2, v10
	s_mov_b32 s13, -1
	s_cbranch_vccnz .LBB151_102
; %bb.93:
	v_cmp_gt_i16_e32 vcc_lo, 3, v10
	s_cbranch_vccnz .LBB151_99
; %bb.94:
	v_cmp_lt_i16_e32 vcc_lo, 3, v10
	s_cbranch_vccz .LBB151_96
; %bb.95:
	s_mov_b32 s13, 0
	global_store_b64 v[8:9], v[4:5], off
.LBB151_96:
	s_and_not1_b32 vcc_lo, exec_lo, s13
	s_cbranch_vccnz .LBB151_98
; %bb.97:
	global_store_b32 v[8:9], v13, off
.LBB151_98:
	s_mov_b32 s13, 0
.LBB151_99:
	s_delay_alu instid0(SALU_CYCLE_1)
	s_and_not1_b32 vcc_lo, exec_lo, s13
	s_cbranch_vccnz .LBB151_101
; %bb.100:
	global_store_b16 v[8:9], v13, off
.LBB151_101:
	s_mov_b32 s13, 0
.LBB151_102:
	s_delay_alu instid0(SALU_CYCLE_1)
	s_and_not1_b32 vcc_lo, exec_lo, s13
	s_cbranch_vccnz .LBB151_107
; %bb.103:
	v_cmp_lt_i16_e32 vcc_lo, 0, v10
	s_mov_b32 s13, -1
	s_cbranch_vccz .LBB151_105
; %bb.104:
	s_mov_b32 s13, 0
	global_store_b8 v[8:9], v12, off
.LBB151_105:
	s_and_not1_b32 vcc_lo, exec_lo, s13
	s_cbranch_vccnz .LBB151_107
; %bb.106:
	global_store_b8 v[8:9], v11, off
.LBB151_107:
	s_branch .LBB151_68
.LBB151_108:
	s_mov_b32 s13, 0
                                        ; implicit-def: $vgpr14
.LBB151_109:
	s_and_b32 s44, s12, exec_lo
	s_or_not1_b32 s26, s13, exec_lo
.LBB151_110:
	s_or_b32 exec_lo, exec_lo, s45
	s_mov_b32 s12, 0
                                        ; implicit-def: $vgpr8_vgpr9
	s_and_saveexec_b32 s45, s26
	s_cbranch_execz .LBB151_117
; %bb.111:
	s_mov_b32 s12, -1
	s_mov_b32 s46, s44
	s_mov_b32 s47, exec_lo
	v_cmpx_gt_i32_e64 s41, v14
	s_cbranch_execz .LBB151_360
; %bb.112:
	s_and_not1_b32 vcc_lo, exec_lo, s31
	s_cbranch_vccnz .LBB151_238
; %bb.113:
	v_mov_b32_e32 v2, 0
	s_and_not1_b32 vcc_lo, exec_lo, s43
	s_cbranch_vccnz .LBB151_243
; %bb.114:
	s_add_i32 s48, s42, 1
	s_cmp_eq_u32 s29, 2
	s_mov_b32 s46, 0
	s_cbranch_scc1 .LBB151_239
; %bb.115:
	v_dual_mov_b32 v2, 0 :: v_dual_mov_b32 v3, v14
	s_and_b32 s46, s48, 28
	s_mov_b32 s49, 0
	s_mov_b64 s[12:13], s[0:1]
	s_mov_b64 s[26:27], s[24:25]
.LBB151_116:                            ; =>This Inner Loop Header: Depth=1
	s_clause 0x1
	s_load_b256 s[52:59], s[12:13], 0x4
	s_load_b128 s[60:63], s[12:13], 0x24
	s_load_b128 s[64:67], s[26:27], 0x0
	s_add_u32 s12, s12, 48
	s_addc_u32 s13, s13, 0
	s_add_i32 s49, s49, 4
	s_add_u32 s26, s26, 16
	s_addc_u32 s27, s27, 0
	s_cmp_eq_u32 s46, s49
	s_waitcnt lgkmcnt(0)
	v_mul_hi_u32 v8, s53, v3
	s_delay_alu instid0(VALU_DEP_1) | instskip(NEXT) | instid1(VALU_DEP_1)
	v_add_nc_u32_e32 v8, v3, v8
	v_lshrrev_b32_e32 v8, s54, v8
	s_delay_alu instid0(VALU_DEP_1) | instskip(SKIP_1) | instid1(VALU_DEP_2)
	v_mul_hi_u32 v9, s56, v8
	v_mul_lo_u32 v27, v8, s52
	v_add_nc_u32_e32 v9, v8, v9
	s_delay_alu instid0(VALU_DEP_2) | instskip(NEXT) | instid1(VALU_DEP_2)
	v_sub_nc_u32_e32 v27, v3, v27
	v_lshrrev_b32_e32 v9, s57, v9
	s_delay_alu instid0(VALU_DEP_2) | instskip(NEXT) | instid1(VALU_DEP_2)
	v_mul_lo_u32 v27, v27, s64
	v_mul_hi_u32 v25, s59, v9
	v_mul_lo_u32 v28, v9, s55
	s_delay_alu instid0(VALU_DEP_2) | instskip(NEXT) | instid1(VALU_DEP_2)
	v_add_nc_u32_e32 v25, v9, v25
	v_sub_nc_u32_e32 v8, v8, v28
	s_delay_alu instid0(VALU_DEP_2) | instskip(NEXT) | instid1(VALU_DEP_2)
	v_lshrrev_b32_e32 v25, s60, v25
	v_mul_lo_u32 v8, v8, s65
	s_delay_alu instid0(VALU_DEP_2) | instskip(NEXT) | instid1(VALU_DEP_2)
	v_mul_hi_u32 v26, s62, v25
	v_add3_u32 v2, v27, v2, v8
	s_delay_alu instid0(VALU_DEP_2) | instskip(NEXT) | instid1(VALU_DEP_1)
	v_add_nc_u32_e32 v26, v25, v26
	v_lshrrev_b32_e32 v3, s63, v26
	v_mul_lo_u32 v26, v25, s58
	s_delay_alu instid0(VALU_DEP_2) | instskip(NEXT) | instid1(VALU_DEP_2)
	v_mul_lo_u32 v29, v3, s61
	v_sub_nc_u32_e32 v9, v9, v26
	s_delay_alu instid0(VALU_DEP_2) | instskip(NEXT) | instid1(VALU_DEP_2)
	v_sub_nc_u32_e32 v25, v25, v29
	v_mul_lo_u32 v9, v9, s66
	s_delay_alu instid0(VALU_DEP_2) | instskip(NEXT) | instid1(VALU_DEP_1)
	v_mul_lo_u32 v25, v25, s67
	v_add3_u32 v2, v9, v2, v25
	s_cbranch_scc0 .LBB151_116
	s_branch .LBB151_240
.LBB151_117:
	s_or_b32 exec_lo, exec_lo, s45
	s_mov_b32 s2, 0
	s_and_saveexec_b32 s3, s44
	s_cbranch_execnz .LBB151_673
.LBB151_118:
	s_or_b32 exec_lo, exec_lo, s3
	s_and_saveexec_b32 s3, s46
	s_delay_alu instid0(SALU_CYCLE_1)
	s_xor_b32 s3, exec_lo, s3
	s_cbranch_execz .LBB151_120
.LBB151_119:
	v_mov_b32_e32 v2, 1
	global_store_b8 v[8:9], v2, off
.LBB151_120:
	s_or_b32 exec_lo, exec_lo, s3
	s_and_saveexec_b32 s3, s12
	s_delay_alu instid0(SALU_CYCLE_1)
	s_xor_b32 s3, exec_lo, s3
	s_cbranch_execz .LBB151_158
; %bb.121:
	v_cmp_gt_i16_e32 vcc_lo, 5, v10
	s_mov_b32 s4, -1
	s_cbranch_vccnz .LBB151_142
; %bb.122:
	v_cmp_gt_i16_e32 vcc_lo, 8, v10
	s_cbranch_vccnz .LBB151_132
; %bb.123:
	v_cmp_gt_i16_e32 vcc_lo, 9, v10
	s_cbranch_vccnz .LBB151_129
; %bb.124:
	v_cmp_lt_i16_e32 vcc_lo, 9, v10
	s_cbranch_vccz .LBB151_126
; %bb.125:
	v_mov_b32_e32 v2, 0
	s_mov_b32 s4, 0
	s_delay_alu instid0(VALU_DEP_1)
	v_mov_b32_e32 v3, v2
	global_store_b128 v[8:9], v[0:3], off
.LBB151_126:
	s_and_not1_b32 vcc_lo, exec_lo, s4
	s_cbranch_vccnz .LBB151_128
; %bb.127:
	v_dual_mov_b32 v2, s34 :: v_dual_mov_b32 v3, 0
	global_store_b64 v[8:9], v[2:3], off
.LBB151_128:
	s_mov_b32 s4, 0
.LBB151_129:
	s_delay_alu instid0(SALU_CYCLE_1)
	s_and_not1_b32 vcc_lo, exec_lo, s4
	s_cbranch_vccnz .LBB151_131
; %bb.130:
	global_store_b32 v[8:9], v16, off
.LBB151_131:
	s_mov_b32 s4, 0
.LBB151_132:
	s_delay_alu instid0(SALU_CYCLE_1)
	s_and_not1_b32 vcc_lo, exec_lo, s4
	s_cbranch_vccnz .LBB151_141
; %bb.133:
	v_cmp_gt_i16_e32 vcc_lo, 6, v10
	s_mov_b32 s4, -1
	s_cbranch_vccnz .LBB151_139
; %bb.134:
	v_cmp_lt_i16_e32 vcc_lo, 6, v10
	s_cbranch_vccz .LBB151_136
; %bb.135:
	s_mov_b32 s4, 0
	global_store_b64 v[8:9], v[0:1], off
.LBB151_136:
	s_and_not1_b32 vcc_lo, exec_lo, s4
	s_cbranch_vccnz .LBB151_138
; %bb.137:
	global_store_b32 v[8:9], v15, off
.LBB151_138:
	s_mov_b32 s4, 0
.LBB151_139:
	s_delay_alu instid0(SALU_CYCLE_1)
	s_and_not1_b32 vcc_lo, exec_lo, s4
	s_cbranch_vccnz .LBB151_141
; %bb.140:
	global_store_b16 v[8:9], v16, off
.LBB151_141:
	s_mov_b32 s4, 0
.LBB151_142:
	s_delay_alu instid0(SALU_CYCLE_1)
	s_and_not1_b32 vcc_lo, exec_lo, s4
	s_cbranch_vccnz .LBB151_158
; %bb.143:
	v_cmp_gt_i16_e32 vcc_lo, 2, v10
	s_mov_b32 s4, -1
	s_cbranch_vccnz .LBB151_153
; %bb.144:
	v_cmp_gt_i16_e32 vcc_lo, 3, v10
	s_cbranch_vccnz .LBB151_150
; %bb.145:
	v_cmp_lt_i16_e32 vcc_lo, 3, v10
	s_cbranch_vccz .LBB151_147
; %bb.146:
	s_mov_b32 s4, 0
	global_store_b64 v[8:9], v[4:5], off
.LBB151_147:
	s_and_not1_b32 vcc_lo, exec_lo, s4
	s_cbranch_vccnz .LBB151_149
; %bb.148:
	global_store_b32 v[8:9], v13, off
.LBB151_149:
	s_mov_b32 s4, 0
.LBB151_150:
	s_delay_alu instid0(SALU_CYCLE_1)
	s_and_not1_b32 vcc_lo, exec_lo, s4
	s_cbranch_vccnz .LBB151_152
; %bb.151:
	global_store_b16 v[8:9], v13, off
.LBB151_152:
	s_mov_b32 s4, 0
.LBB151_153:
	s_delay_alu instid0(SALU_CYCLE_1)
	s_and_not1_b32 vcc_lo, exec_lo, s4
	s_cbranch_vccnz .LBB151_158
; %bb.154:
	v_cmp_lt_i16_e32 vcc_lo, 0, v10
	s_mov_b32 s4, -1
	s_cbranch_vccz .LBB151_156
; %bb.155:
	s_mov_b32 s4, 0
	global_store_b8 v[8:9], v12, off
.LBB151_156:
	s_and_not1_b32 vcc_lo, exec_lo, s4
	s_cbranch_vccnz .LBB151_158
; %bb.157:
	global_store_b8 v[8:9], v11, off
.LBB151_158:
	s_or_b32 exec_lo, exec_lo, s3
	s_delay_alu instid0(SALU_CYCLE_1)
	s_and_b32 s6, s2, exec_lo
                                        ; implicit-def: $vgpr4
                                        ; implicit-def: $vgpr14
.LBB151_159:
	s_or_saveexec_b32 s7, s33
	s_mov_b32 s2, 0
                                        ; implicit-def: $vgpr5
                                        ; implicit-def: $vgpr0_vgpr1
                                        ; implicit-def: $sgpr4
	s_xor_b32 exec_lo, exec_lo, s7
	s_cbranch_execz .LBB151_917
; %bb.160:
	v_cndmask_b32_e64 v0, 0, 1, s31
	s_and_not1_b32 vcc_lo, exec_lo, s31
	s_cbranch_vccnz .LBB151_166
; %bb.161:
	v_mov_b32_e32 v3, 0
	s_cmp_eq_u32 s28, 0
	s_mov_b32 s8, 0
	s_cbranch_scc1 .LBB151_170
; %bb.162:
	s_min_u32 s9, s29, 15
	v_mov_b32_e32 v3, 0
	s_add_i32 s9, s9, 1
	s_cmp_eq_u32 s29, 2
	s_mov_b32 s10, 0
	s_cbranch_scc1 .LBB151_167
; %bb.163:
	v_mov_b32_e32 v3, 0
	v_mov_b32_e32 v1, v14
	s_add_u32 s2, s0, 0xc4
	s_addc_u32 s3, s1, 0
	s_and_b32 s10, s9, 28
	s_mov_b32 s11, 0
	s_mov_b64 s[4:5], s[0:1]
.LBB151_164:                            ; =>This Inner Loop Header: Depth=1
	s_clause 0x1
	s_load_b256 s[12:19], s[4:5], 0x4
	s_load_b128 s[20:23], s[4:5], 0x24
	s_load_b128 s[24:27], s[2:3], 0x0
	s_add_u32 s4, s4, 48
	s_addc_u32 s5, s5, 0
	s_add_i32 s11, s11, 4
	s_add_u32 s2, s2, 16
	s_addc_u32 s3, s3, 0
	s_cmp_lg_u32 s10, s11
	s_waitcnt lgkmcnt(0)
	v_mul_hi_u32 v2, s13, v1
	s_delay_alu instid0(VALU_DEP_1) | instskip(NEXT) | instid1(VALU_DEP_1)
	v_add_nc_u32_e32 v2, v1, v2
	v_lshrrev_b32_e32 v2, s14, v2
	s_delay_alu instid0(VALU_DEP_1) | instskip(SKIP_1) | instid1(VALU_DEP_2)
	v_mul_hi_u32 v5, s16, v2
	v_mul_lo_u32 v8, v2, s12
	v_add_nc_u32_e32 v5, v2, v5
	s_delay_alu instid0(VALU_DEP_2) | instskip(NEXT) | instid1(VALU_DEP_2)
	v_sub_nc_u32_e32 v8, v1, v8
	v_lshrrev_b32_e32 v5, s17, v5
	s_delay_alu instid0(VALU_DEP_2) | instskip(NEXT) | instid1(VALU_DEP_2)
	v_mul_lo_u32 v8, v8, s24
	v_mul_hi_u32 v6, s19, v5
	v_mul_lo_u32 v9, v5, s15
	s_delay_alu instid0(VALU_DEP_2) | instskip(NEXT) | instid1(VALU_DEP_2)
	v_add_nc_u32_e32 v6, v5, v6
	v_sub_nc_u32_e32 v2, v2, v9
	s_delay_alu instid0(VALU_DEP_2) | instskip(NEXT) | instid1(VALU_DEP_2)
	v_lshrrev_b32_e32 v6, s20, v6
	v_mul_lo_u32 v2, v2, s25
	s_delay_alu instid0(VALU_DEP_2) | instskip(NEXT) | instid1(VALU_DEP_2)
	v_mul_hi_u32 v7, s22, v6
	v_add3_u32 v2, v8, v3, v2
	s_delay_alu instid0(VALU_DEP_2) | instskip(NEXT) | instid1(VALU_DEP_1)
	v_add_nc_u32_e32 v7, v6, v7
	v_lshrrev_b32_e32 v1, s23, v7
	v_mul_lo_u32 v7, v6, s18
	s_delay_alu instid0(VALU_DEP_2) | instskip(NEXT) | instid1(VALU_DEP_2)
	v_mul_lo_u32 v10, v1, s21
	v_sub_nc_u32_e32 v5, v5, v7
	s_delay_alu instid0(VALU_DEP_2) | instskip(NEXT) | instid1(VALU_DEP_2)
	v_sub_nc_u32_e32 v6, v6, v10
	v_mul_lo_u32 v5, v5, s26
	s_delay_alu instid0(VALU_DEP_2) | instskip(NEXT) | instid1(VALU_DEP_1)
	v_mul_lo_u32 v6, v6, s27
	v_add3_u32 v3, v5, v2, v6
	s_cbranch_scc1 .LBB151_164
; %bb.165:
	s_and_b32 s9, s9, 3
	s_delay_alu instid0(SALU_CYCLE_1)
	s_cmp_eq_u32 s9, 0
	s_cbranch_scc0 .LBB151_168
	s_branch .LBB151_170
.LBB151_166:
	s_mov_b32 s8, -1
                                        ; implicit-def: $vgpr3
	s_branch .LBB151_170
.LBB151_167:
	v_mov_b32_e32 v1, v14
	s_and_b32 s9, s9, 3
	s_delay_alu instid0(SALU_CYCLE_1)
	s_cmp_eq_u32 s9, 0
	s_cbranch_scc1 .LBB151_170
.LBB151_168:
	s_lshl_b32 s2, s10, 2
	s_mul_i32 s4, s10, 12
	s_add_u32 s2, s2, s0
	s_addc_u32 s3, 0, s1
	s_add_u32 s2, s2, 0xc4
	s_addc_u32 s3, s3, 0
	;; [unrolled: 2-line block ×3, first 2 shown]
	.p2align	6
.LBB151_169:                            ; =>This Inner Loop Header: Depth=1
	s_clause 0x1
	s_load_b64 s[10:11], s[4:5], 0x4
	s_load_b32 s12, s[4:5], 0xc
	s_add_u32 s4, s4, 12
	s_addc_u32 s5, s5, 0
	s_waitcnt lgkmcnt(0)
	v_mul_hi_u32 v2, s11, v1
	s_load_b32 s11, s[2:3], 0x0
	s_add_u32 s2, s2, 4
	s_addc_u32 s3, s3, 0
	s_add_i32 s9, s9, -1
	s_delay_alu instid0(SALU_CYCLE_1) | instskip(NEXT) | instid1(VALU_DEP_1)
	s_cmp_lg_u32 s9, 0
	v_add_nc_u32_e32 v2, v1, v2
	s_delay_alu instid0(VALU_DEP_1) | instskip(NEXT) | instid1(VALU_DEP_1)
	v_lshrrev_b32_e32 v2, s12, v2
	v_mul_lo_u32 v5, v2, s10
	s_delay_alu instid0(VALU_DEP_1) | instskip(SKIP_1) | instid1(VALU_DEP_1)
	v_sub_nc_u32_e32 v1, v1, v5
	s_waitcnt lgkmcnt(0)
	v_mad_u64_u32 v[5:6], null, v1, s11, v[3:4]
	v_mov_b32_e32 v1, v2
	s_delay_alu instid0(VALU_DEP_2)
	v_mov_b32_e32 v3, v5
	s_cbranch_scc1 .LBB151_169
.LBB151_170:
	s_and_not1_b32 vcc_lo, exec_lo, s8
	s_cbranch_vccnz .LBB151_173
; %bb.171:
	s_clause 0x1
	s_load_b128 s[8:11], s[0:1], 0x4
	s_load_b32 s2, s[0:1], 0xc4
	s_cmp_lt_u32 s28, 2
	s_waitcnt lgkmcnt(0)
	v_mul_hi_u32 v1, s9, v14
	s_delay_alu instid0(VALU_DEP_1) | instskip(NEXT) | instid1(VALU_DEP_1)
	v_add_nc_u32_e32 v1, v14, v1
	v_lshrrev_b32_e32 v1, s10, v1
	s_delay_alu instid0(VALU_DEP_1) | instskip(NEXT) | instid1(VALU_DEP_1)
	v_mul_lo_u32 v2, v1, s8
	v_sub_nc_u32_e32 v2, v14, v2
	s_delay_alu instid0(VALU_DEP_1)
	v_mul_lo_u32 v3, v2, s2
	s_cbranch_scc1 .LBB151_173
; %bb.172:
	s_clause 0x1
	s_load_b128 s[8:11], s[0:1], 0x10
	s_load_b32 s2, s[0:1], 0xc8
	s_waitcnt lgkmcnt(0)
	v_mul_hi_u32 v2, s9, v1
	s_delay_alu instid0(VALU_DEP_1) | instskip(NEXT) | instid1(VALU_DEP_1)
	v_add_nc_u32_e32 v2, v1, v2
	v_lshrrev_b32_e32 v2, s10, v2
	s_delay_alu instid0(VALU_DEP_1) | instskip(NEXT) | instid1(VALU_DEP_1)
	v_mul_lo_u32 v2, v2, s8
	v_sub_nc_u32_e32 v5, v1, v2
	s_delay_alu instid0(VALU_DEP_1) | instskip(NEXT) | instid1(VALU_DEP_1)
	v_mad_u64_u32 v[1:2], null, v5, s2, v[3:4]
	v_mov_b32_e32 v3, v1
.LBB151_173:
	v_cmp_ne_u32_e32 vcc_lo, 1, v0
	v_add_nc_u32_e32 v1, 0x80, v14
	s_cbranch_vccnz .LBB151_179
; %bb.174:
	v_mov_b32_e32 v2, 0
	s_cmp_eq_u32 s28, 0
	s_mov_b32 s8, 0
	s_cbranch_scc1 .LBB151_183
; %bb.175:
	s_min_u32 s9, s29, 15
	v_mov_b32_e32 v2, 0
	s_add_i32 s9, s9, 1
	s_cmp_eq_u32 s29, 2
	s_mov_b32 s10, 0
	s_cbranch_scc1 .LBB151_180
; %bb.176:
	v_dual_mov_b32 v2, 0 :: v_dual_mov_b32 v5, v1
	s_add_u32 s2, s0, 0xc4
	s_addc_u32 s3, s1, 0
	s_and_b32 s10, s9, 28
	s_mov_b32 s11, 0
	s_mov_b64 s[4:5], s[0:1]
.LBB151_177:                            ; =>This Inner Loop Header: Depth=1
	s_clause 0x1
	s_load_b256 s[12:19], s[4:5], 0x4
	s_load_b128 s[20:23], s[4:5], 0x24
	s_load_b128 s[24:27], s[2:3], 0x0
	s_add_u32 s4, s4, 48
	s_addc_u32 s5, s5, 0
	s_add_i32 s11, s11, 4
	s_add_u32 s2, s2, 16
	s_addc_u32 s3, s3, 0
	s_cmp_lg_u32 s10, s11
	s_waitcnt lgkmcnt(0)
	v_mul_hi_u32 v6, s13, v5
	s_delay_alu instid0(VALU_DEP_1) | instskip(NEXT) | instid1(VALU_DEP_1)
	v_add_nc_u32_e32 v6, v5, v6
	v_lshrrev_b32_e32 v6, s14, v6
	s_delay_alu instid0(VALU_DEP_1) | instskip(SKIP_1) | instid1(VALU_DEP_2)
	v_mul_hi_u32 v7, s16, v6
	v_mul_lo_u32 v10, v6, s12
	v_add_nc_u32_e32 v7, v6, v7
	s_delay_alu instid0(VALU_DEP_2) | instskip(NEXT) | instid1(VALU_DEP_2)
	v_sub_nc_u32_e32 v10, v5, v10
	v_lshrrev_b32_e32 v7, s17, v7
	s_delay_alu instid0(VALU_DEP_2) | instskip(NEXT) | instid1(VALU_DEP_2)
	v_mul_lo_u32 v10, v10, s24
	v_mul_hi_u32 v8, s19, v7
	v_mul_lo_u32 v11, v7, s15
	s_delay_alu instid0(VALU_DEP_2) | instskip(NEXT) | instid1(VALU_DEP_2)
	v_add_nc_u32_e32 v8, v7, v8
	v_sub_nc_u32_e32 v6, v6, v11
	s_delay_alu instid0(VALU_DEP_2) | instskip(NEXT) | instid1(VALU_DEP_2)
	v_lshrrev_b32_e32 v8, s20, v8
	v_mul_lo_u32 v6, v6, s25
	s_delay_alu instid0(VALU_DEP_2) | instskip(NEXT) | instid1(VALU_DEP_2)
	v_mul_hi_u32 v9, s22, v8
	v_add3_u32 v2, v10, v2, v6
	s_delay_alu instid0(VALU_DEP_2) | instskip(NEXT) | instid1(VALU_DEP_1)
	v_add_nc_u32_e32 v9, v8, v9
	v_lshrrev_b32_e32 v5, s23, v9
	v_mul_lo_u32 v9, v8, s18
	s_delay_alu instid0(VALU_DEP_2) | instskip(NEXT) | instid1(VALU_DEP_2)
	v_mul_lo_u32 v12, v5, s21
	v_sub_nc_u32_e32 v7, v7, v9
	s_delay_alu instid0(VALU_DEP_2) | instskip(NEXT) | instid1(VALU_DEP_2)
	v_sub_nc_u32_e32 v8, v8, v12
	v_mul_lo_u32 v7, v7, s26
	s_delay_alu instid0(VALU_DEP_2) | instskip(NEXT) | instid1(VALU_DEP_1)
	v_mul_lo_u32 v8, v8, s27
	v_add3_u32 v2, v7, v2, v8
	s_cbranch_scc1 .LBB151_177
; %bb.178:
	s_and_b32 s9, s9, 3
	s_delay_alu instid0(SALU_CYCLE_1)
	s_cmp_eq_u32 s9, 0
	s_cbranch_scc0 .LBB151_181
	s_branch .LBB151_183
.LBB151_179:
	s_mov_b32 s8, -1
                                        ; implicit-def: $vgpr2
	s_branch .LBB151_183
.LBB151_180:
	v_mov_b32_e32 v5, v1
	s_and_b32 s9, s9, 3
	s_delay_alu instid0(SALU_CYCLE_1)
	s_cmp_eq_u32 s9, 0
	s_cbranch_scc1 .LBB151_183
.LBB151_181:
	s_lshl_b32 s2, s10, 2
	s_mul_i32 s4, s10, 12
	s_add_u32 s2, s2, s0
	s_addc_u32 s3, 0, s1
	s_add_u32 s2, s2, 0xc4
	s_addc_u32 s3, s3, 0
	;; [unrolled: 2-line block ×3, first 2 shown]
	.p2align	6
.LBB151_182:                            ; =>This Inner Loop Header: Depth=1
	s_clause 0x1
	s_load_b64 s[10:11], s[4:5], 0x4
	s_load_b32 s12, s[4:5], 0xc
	s_add_u32 s4, s4, 12
	s_addc_u32 s5, s5, 0
	s_waitcnt lgkmcnt(0)
	v_mul_hi_u32 v6, s11, v5
	s_load_b32 s11, s[2:3], 0x0
	s_add_u32 s2, s2, 4
	s_addc_u32 s3, s3, 0
	s_add_i32 s9, s9, -1
	s_delay_alu instid0(SALU_CYCLE_1) | instskip(NEXT) | instid1(VALU_DEP_1)
	s_cmp_lg_u32 s9, 0
	v_add_nc_u32_e32 v6, v5, v6
	s_delay_alu instid0(VALU_DEP_1) | instskip(NEXT) | instid1(VALU_DEP_1)
	v_lshrrev_b32_e32 v8, s12, v6
	v_mul_lo_u32 v6, v8, s10
	s_delay_alu instid0(VALU_DEP_1) | instskip(SKIP_1) | instid1(VALU_DEP_1)
	v_sub_nc_u32_e32 v5, v5, v6
	s_waitcnt lgkmcnt(0)
	v_mad_u64_u32 v[6:7], null, v5, s11, v[2:3]
	s_delay_alu instid0(VALU_DEP_1)
	v_dual_mov_b32 v5, v8 :: v_dual_mov_b32 v2, v6
	s_cbranch_scc1 .LBB151_182
.LBB151_183:
	s_and_not1_b32 vcc_lo, exec_lo, s8
	s_cbranch_vccnz .LBB151_186
; %bb.184:
	s_clause 0x1
	s_load_b128 s[8:11], s[0:1], 0x4
	s_load_b32 s2, s[0:1], 0xc4
	s_cmp_lt_u32 s28, 2
	s_waitcnt lgkmcnt(0)
	v_mul_hi_u32 v2, s9, v1
	s_delay_alu instid0(VALU_DEP_1) | instskip(NEXT) | instid1(VALU_DEP_1)
	v_add_nc_u32_e32 v2, v1, v2
	v_lshrrev_b32_e32 v5, s10, v2
	s_delay_alu instid0(VALU_DEP_1) | instskip(NEXT) | instid1(VALU_DEP_1)
	v_mul_lo_u32 v2, v5, s8
	v_sub_nc_u32_e32 v1, v1, v2
	s_delay_alu instid0(VALU_DEP_1)
	v_mul_lo_u32 v2, v1, s2
	s_cbranch_scc1 .LBB151_186
; %bb.185:
	s_clause 0x1
	s_load_b128 s[8:11], s[0:1], 0x10
	s_load_b32 s2, s[0:1], 0xc8
	s_waitcnt lgkmcnt(0)
	v_mul_hi_u32 v1, s9, v5
	s_delay_alu instid0(VALU_DEP_1) | instskip(NEXT) | instid1(VALU_DEP_1)
	v_add_nc_u32_e32 v1, v5, v1
	v_lshrrev_b32_e32 v1, s10, v1
	s_delay_alu instid0(VALU_DEP_1) | instskip(NEXT) | instid1(VALU_DEP_1)
	v_mul_lo_u32 v1, v1, s8
	v_sub_nc_u32_e32 v1, v5, v1
	s_delay_alu instid0(VALU_DEP_1) | instskip(NEXT) | instid1(VALU_DEP_1)
	v_mad_u64_u32 v[5:6], null, v1, s2, v[2:3]
	v_mov_b32_e32 v2, v5
.LBB151_186:
	v_cmp_ne_u32_e32 vcc_lo, 1, v0
	v_add_nc_u32_e32 v5, 0x100, v14
	s_cbranch_vccnz .LBB151_192
; %bb.187:
	v_mov_b32_e32 v1, 0
	s_cmp_eq_u32 s28, 0
	s_mov_b32 s8, 0
	s_cbranch_scc1 .LBB151_196
; %bb.188:
	s_min_u32 s9, s29, 15
	v_mov_b32_e32 v1, 0
	s_add_i32 s9, s9, 1
	s_cmp_eq_u32 s29, 2
	s_mov_b32 s10, 0
	s_cbranch_scc1 .LBB151_193
; %bb.189:
	v_dual_mov_b32 v1, 0 :: v_dual_mov_b32 v6, v5
	s_add_u32 s2, s0, 0xc4
	s_addc_u32 s3, s1, 0
	s_and_b32 s10, s9, 28
	s_mov_b32 s11, 0
	s_mov_b64 s[4:5], s[0:1]
.LBB151_190:                            ; =>This Inner Loop Header: Depth=1
	s_clause 0x1
	s_load_b256 s[12:19], s[4:5], 0x4
	s_load_b128 s[20:23], s[4:5], 0x24
	s_load_b128 s[24:27], s[2:3], 0x0
	s_add_u32 s4, s4, 48
	s_addc_u32 s5, s5, 0
	s_add_i32 s11, s11, 4
	s_add_u32 s2, s2, 16
	s_addc_u32 s3, s3, 0
	s_cmp_lg_u32 s10, s11
	s_waitcnt lgkmcnt(0)
	v_mul_hi_u32 v7, s13, v6
	s_delay_alu instid0(VALU_DEP_1) | instskip(NEXT) | instid1(VALU_DEP_1)
	v_add_nc_u32_e32 v7, v6, v7
	v_lshrrev_b32_e32 v7, s14, v7
	s_delay_alu instid0(VALU_DEP_1) | instskip(SKIP_1) | instid1(VALU_DEP_2)
	v_mul_hi_u32 v8, s16, v7
	v_mul_lo_u32 v11, v7, s12
	v_add_nc_u32_e32 v8, v7, v8
	s_delay_alu instid0(VALU_DEP_2) | instskip(NEXT) | instid1(VALU_DEP_2)
	v_sub_nc_u32_e32 v11, v6, v11
	v_lshrrev_b32_e32 v8, s17, v8
	s_delay_alu instid0(VALU_DEP_2) | instskip(NEXT) | instid1(VALU_DEP_2)
	v_mul_lo_u32 v11, v11, s24
	v_mul_hi_u32 v9, s19, v8
	v_mul_lo_u32 v12, v8, s15
	s_delay_alu instid0(VALU_DEP_2) | instskip(NEXT) | instid1(VALU_DEP_2)
	v_add_nc_u32_e32 v9, v8, v9
	v_sub_nc_u32_e32 v7, v7, v12
	s_delay_alu instid0(VALU_DEP_2) | instskip(NEXT) | instid1(VALU_DEP_2)
	v_lshrrev_b32_e32 v9, s20, v9
	v_mul_lo_u32 v7, v7, s25
	s_delay_alu instid0(VALU_DEP_2) | instskip(NEXT) | instid1(VALU_DEP_2)
	v_mul_hi_u32 v10, s22, v9
	v_add3_u32 v1, v11, v1, v7
	s_delay_alu instid0(VALU_DEP_2) | instskip(NEXT) | instid1(VALU_DEP_1)
	v_add_nc_u32_e32 v10, v9, v10
	v_lshrrev_b32_e32 v6, s23, v10
	v_mul_lo_u32 v10, v9, s18
	s_delay_alu instid0(VALU_DEP_2) | instskip(NEXT) | instid1(VALU_DEP_2)
	v_mul_lo_u32 v13, v6, s21
	v_sub_nc_u32_e32 v8, v8, v10
	s_delay_alu instid0(VALU_DEP_2) | instskip(NEXT) | instid1(VALU_DEP_2)
	v_sub_nc_u32_e32 v9, v9, v13
	v_mul_lo_u32 v8, v8, s26
	s_delay_alu instid0(VALU_DEP_2) | instskip(NEXT) | instid1(VALU_DEP_1)
	v_mul_lo_u32 v9, v9, s27
	v_add3_u32 v1, v8, v1, v9
	s_cbranch_scc1 .LBB151_190
; %bb.191:
	s_and_b32 s9, s9, 3
	s_delay_alu instid0(SALU_CYCLE_1)
	s_cmp_eq_u32 s9, 0
	s_cbranch_scc0 .LBB151_194
	s_branch .LBB151_196
.LBB151_192:
	s_mov_b32 s8, -1
                                        ; implicit-def: $vgpr1
	s_branch .LBB151_196
.LBB151_193:
	v_mov_b32_e32 v6, v5
	s_and_b32 s9, s9, 3
	s_delay_alu instid0(SALU_CYCLE_1)
	s_cmp_eq_u32 s9, 0
	s_cbranch_scc1 .LBB151_196
.LBB151_194:
	s_lshl_b32 s2, s10, 2
	s_mul_i32 s4, s10, 12
	s_add_u32 s2, s2, s0
	s_addc_u32 s3, 0, s1
	s_add_u32 s2, s2, 0xc4
	s_addc_u32 s3, s3, 0
	;; [unrolled: 2-line block ×3, first 2 shown]
	.p2align	6
.LBB151_195:                            ; =>This Inner Loop Header: Depth=1
	s_clause 0x1
	s_load_b64 s[10:11], s[4:5], 0x4
	s_load_b32 s12, s[4:5], 0xc
	s_add_u32 s4, s4, 12
	s_addc_u32 s5, s5, 0
	s_waitcnt lgkmcnt(0)
	v_mul_hi_u32 v7, s11, v6
	s_load_b32 s11, s[2:3], 0x0
	s_add_u32 s2, s2, 4
	s_addc_u32 s3, s3, 0
	s_add_i32 s9, s9, -1
	s_delay_alu instid0(SALU_CYCLE_1) | instskip(NEXT) | instid1(VALU_DEP_1)
	s_cmp_lg_u32 s9, 0
	v_add_nc_u32_e32 v7, v6, v7
	s_delay_alu instid0(VALU_DEP_1) | instskip(NEXT) | instid1(VALU_DEP_1)
	v_lshrrev_b32_e32 v9, s12, v7
	v_mul_lo_u32 v7, v9, s10
	s_delay_alu instid0(VALU_DEP_1) | instskip(SKIP_1) | instid1(VALU_DEP_1)
	v_sub_nc_u32_e32 v6, v6, v7
	s_waitcnt lgkmcnt(0)
	v_mad_u64_u32 v[7:8], null, v6, s11, v[1:2]
	s_delay_alu instid0(VALU_DEP_1)
	v_dual_mov_b32 v6, v9 :: v_dual_mov_b32 v1, v7
	s_cbranch_scc1 .LBB151_195
.LBB151_196:
	s_and_not1_b32 vcc_lo, exec_lo, s8
	s_cbranch_vccnz .LBB151_199
; %bb.197:
	s_clause 0x1
	s_load_b128 s[8:11], s[0:1], 0x4
	s_load_b32 s2, s[0:1], 0xc4
	s_cmp_lt_u32 s28, 2
	s_waitcnt lgkmcnt(0)
	v_mul_hi_u32 v1, s9, v5
	s_delay_alu instid0(VALU_DEP_1) | instskip(NEXT) | instid1(VALU_DEP_1)
	v_add_nc_u32_e32 v1, v5, v1
	v_lshrrev_b32_e32 v6, s10, v1
	s_delay_alu instid0(VALU_DEP_1) | instskip(NEXT) | instid1(VALU_DEP_1)
	v_mul_lo_u32 v1, v6, s8
	v_sub_nc_u32_e32 v1, v5, v1
	s_delay_alu instid0(VALU_DEP_1)
	v_mul_lo_u32 v1, v1, s2
	s_cbranch_scc1 .LBB151_199
; %bb.198:
	s_clause 0x1
	s_load_b128 s[8:11], s[0:1], 0x10
	s_load_b32 s2, s[0:1], 0xc8
	s_waitcnt lgkmcnt(0)
	v_mul_hi_u32 v5, s9, v6
	s_delay_alu instid0(VALU_DEP_1) | instskip(NEXT) | instid1(VALU_DEP_1)
	v_add_nc_u32_e32 v5, v6, v5
	v_lshrrev_b32_e32 v5, s10, v5
	s_delay_alu instid0(VALU_DEP_1) | instskip(NEXT) | instid1(VALU_DEP_1)
	v_mul_lo_u32 v5, v5, s8
	v_sub_nc_u32_e32 v7, v6, v5
	s_delay_alu instid0(VALU_DEP_1) | instskip(NEXT) | instid1(VALU_DEP_1)
	v_mad_u64_u32 v[5:6], null, v7, s2, v[1:2]
	v_mov_b32_e32 v1, v5
.LBB151_199:
	v_cmp_ne_u32_e32 vcc_lo, 1, v0
	s_cbranch_vccnz .LBB151_205
; %bb.200:
	v_mov_b32_e32 v0, 0
	s_cmp_eq_u32 s28, 0
	s_mov_b32 s8, 0
	s_cbranch_scc1 .LBB151_209
; %bb.201:
	s_min_u32 s9, s29, 15
	v_mov_b32_e32 v0, 0
	s_add_i32 s9, s9, 1
	s_cmp_eq_u32 s29, 2
	s_mov_b32 s10, 0
	s_cbranch_scc1 .LBB151_206
; %bb.202:
	v_dual_mov_b32 v0, 0 :: v_dual_mov_b32 v5, v4
	s_add_u32 s2, s0, 0xc4
	s_addc_u32 s3, s1, 0
	s_and_b32 s10, s9, 28
	s_mov_b32 s11, 0
	s_mov_b64 s[4:5], s[0:1]
.LBB151_203:                            ; =>This Inner Loop Header: Depth=1
	s_clause 0x1
	s_load_b256 s[12:19], s[4:5], 0x4
	s_load_b128 s[20:23], s[4:5], 0x24
	s_load_b128 s[24:27], s[2:3], 0x0
	s_add_u32 s4, s4, 48
	s_addc_u32 s5, s5, 0
	s_add_i32 s11, s11, 4
	s_add_u32 s2, s2, 16
	s_addc_u32 s3, s3, 0
	s_cmp_lg_u32 s10, s11
	s_waitcnt lgkmcnt(0)
	v_mul_hi_u32 v6, s13, v5
	s_delay_alu instid0(VALU_DEP_1) | instskip(NEXT) | instid1(VALU_DEP_1)
	v_add_nc_u32_e32 v6, v5, v6
	v_lshrrev_b32_e32 v6, s14, v6
	s_delay_alu instid0(VALU_DEP_1) | instskip(SKIP_1) | instid1(VALU_DEP_2)
	v_mul_hi_u32 v7, s16, v6
	v_mul_lo_u32 v10, v6, s12
	v_add_nc_u32_e32 v7, v6, v7
	s_delay_alu instid0(VALU_DEP_2) | instskip(NEXT) | instid1(VALU_DEP_2)
	v_sub_nc_u32_e32 v10, v5, v10
	v_lshrrev_b32_e32 v7, s17, v7
	s_delay_alu instid0(VALU_DEP_2) | instskip(NEXT) | instid1(VALU_DEP_2)
	v_mul_lo_u32 v10, v10, s24
	v_mul_hi_u32 v8, s19, v7
	v_mul_lo_u32 v11, v7, s15
	s_delay_alu instid0(VALU_DEP_2) | instskip(NEXT) | instid1(VALU_DEP_2)
	v_add_nc_u32_e32 v8, v7, v8
	v_sub_nc_u32_e32 v6, v6, v11
	s_delay_alu instid0(VALU_DEP_2) | instskip(NEXT) | instid1(VALU_DEP_2)
	v_lshrrev_b32_e32 v8, s20, v8
	v_mul_lo_u32 v6, v6, s25
	s_delay_alu instid0(VALU_DEP_2) | instskip(NEXT) | instid1(VALU_DEP_2)
	v_mul_hi_u32 v9, s22, v8
	v_add3_u32 v0, v10, v0, v6
	s_delay_alu instid0(VALU_DEP_2) | instskip(NEXT) | instid1(VALU_DEP_1)
	v_add_nc_u32_e32 v9, v8, v9
	v_lshrrev_b32_e32 v5, s23, v9
	v_mul_lo_u32 v9, v8, s18
	s_delay_alu instid0(VALU_DEP_2) | instskip(NEXT) | instid1(VALU_DEP_2)
	v_mul_lo_u32 v12, v5, s21
	v_sub_nc_u32_e32 v7, v7, v9
	s_delay_alu instid0(VALU_DEP_2) | instskip(NEXT) | instid1(VALU_DEP_2)
	v_sub_nc_u32_e32 v8, v8, v12
	v_mul_lo_u32 v7, v7, s26
	s_delay_alu instid0(VALU_DEP_2) | instskip(NEXT) | instid1(VALU_DEP_1)
	v_mul_lo_u32 v8, v8, s27
	v_add3_u32 v0, v7, v0, v8
	s_cbranch_scc1 .LBB151_203
; %bb.204:
	s_and_b32 s9, s9, 3
	s_delay_alu instid0(SALU_CYCLE_1)
	s_cmp_eq_u32 s9, 0
	s_cbranch_scc0 .LBB151_207
	s_branch .LBB151_209
.LBB151_205:
	s_mov_b32 s8, -1
                                        ; implicit-def: $vgpr0
	s_branch .LBB151_209
.LBB151_206:
	v_mov_b32_e32 v5, v4
	s_and_b32 s9, s9, 3
	s_delay_alu instid0(SALU_CYCLE_1)
	s_cmp_eq_u32 s9, 0
	s_cbranch_scc1 .LBB151_209
.LBB151_207:
	s_lshl_b32 s2, s10, 2
	s_mul_i32 s4, s10, 12
	s_add_u32 s2, s2, s0
	s_addc_u32 s3, 0, s1
	s_add_u32 s2, s2, 0xc4
	s_addc_u32 s3, s3, 0
	;; [unrolled: 2-line block ×3, first 2 shown]
	.p2align	6
.LBB151_208:                            ; =>This Inner Loop Header: Depth=1
	s_clause 0x1
	s_load_b64 s[10:11], s[4:5], 0x4
	s_load_b32 s12, s[4:5], 0xc
	s_add_u32 s4, s4, 12
	s_addc_u32 s5, s5, 0
	s_waitcnt lgkmcnt(0)
	v_mul_hi_u32 v6, s11, v5
	s_load_b32 s11, s[2:3], 0x0
	s_add_u32 s2, s2, 4
	s_addc_u32 s3, s3, 0
	s_add_i32 s9, s9, -1
	s_delay_alu instid0(SALU_CYCLE_1) | instskip(NEXT) | instid1(VALU_DEP_1)
	s_cmp_lg_u32 s9, 0
	v_add_nc_u32_e32 v6, v5, v6
	s_delay_alu instid0(VALU_DEP_1) | instskip(NEXT) | instid1(VALU_DEP_1)
	v_lshrrev_b32_e32 v8, s12, v6
	v_mul_lo_u32 v6, v8, s10
	s_delay_alu instid0(VALU_DEP_1) | instskip(SKIP_1) | instid1(VALU_DEP_1)
	v_sub_nc_u32_e32 v5, v5, v6
	s_waitcnt lgkmcnt(0)
	v_mad_u64_u32 v[6:7], null, v5, s11, v[0:1]
	s_delay_alu instid0(VALU_DEP_1)
	v_dual_mov_b32 v5, v8 :: v_dual_mov_b32 v0, v6
	s_cbranch_scc1 .LBB151_208
.LBB151_209:
	s_and_not1_b32 vcc_lo, exec_lo, s8
	s_cbranch_vccnz .LBB151_212
; %bb.210:
	s_clause 0x1
	s_load_b128 s[8:11], s[0:1], 0x4
	s_load_b32 s2, s[0:1], 0xc4
	s_cmp_lt_u32 s28, 2
	s_waitcnt lgkmcnt(0)
	v_mul_hi_u32 v0, s9, v4
	s_delay_alu instid0(VALU_DEP_1) | instskip(NEXT) | instid1(VALU_DEP_1)
	v_add_nc_u32_e32 v0, v4, v0
	v_lshrrev_b32_e32 v5, s10, v0
	s_delay_alu instid0(VALU_DEP_1) | instskip(NEXT) | instid1(VALU_DEP_1)
	v_mul_lo_u32 v0, v5, s8
	v_sub_nc_u32_e32 v0, v4, v0
	s_delay_alu instid0(VALU_DEP_1)
	v_mul_lo_u32 v0, v0, s2
	s_cbranch_scc1 .LBB151_212
; %bb.211:
	s_clause 0x1
	s_load_b128 s[8:11], s[0:1], 0x10
	s_load_b32 s2, s[0:1], 0xc8
	s_waitcnt lgkmcnt(0)
	v_mul_hi_u32 v4, s9, v5
	s_delay_alu instid0(VALU_DEP_1) | instskip(NEXT) | instid1(VALU_DEP_1)
	v_add_nc_u32_e32 v4, v5, v4
	v_lshrrev_b32_e32 v4, s10, v4
	s_delay_alu instid0(VALU_DEP_1) | instskip(NEXT) | instid1(VALU_DEP_1)
	v_mul_lo_u32 v4, v4, s8
	v_sub_nc_u32_e32 v6, v5, v4
	s_delay_alu instid0(VALU_DEP_1) | instskip(NEXT) | instid1(VALU_DEP_1)
	v_mad_u64_u32 v[4:5], null, v6, s2, v[0:1]
	v_mov_b32_e32 v0, v4
.LBB151_212:
	s_clause 0x1
	s_load_b32 s4, s[0:1], 0x110
	s_load_b64 s[2:3], s[0:1], 0x108
	s_mov_b32 s0, 0
	s_mov_b32 s5, s6
	s_waitcnt lgkmcnt(0)
	v_lshrrev_b16 v5, 8, s4
	v_add_co_u32 v3, s1, s2, v3
	s_delay_alu instid0(VALU_DEP_1) | instskip(NEXT) | instid1(VALU_DEP_3)
	v_add_co_ci_u32_e64 v4, null, s3, 0, s1
	v_cmp_gt_i16_e32 vcc_lo, 11, v5
	s_mov_b32 s1, -1
	s_cbranch_vccnz .LBB151_469
; %bb.213:
	v_cmp_lt_i16_e32 vcc_lo, 25, v5
	s_mov_b32 s8, 0
	s_mov_b32 s5, 0
	s_cbranch_vccz .LBB151_304
; %bb.214:
	v_cmp_lt_i16_e32 vcc_lo, 28, v5
	s_cbranch_vccz .LBB151_227
; %bb.215:
	v_cmp_lt_i16_e32 vcc_lo, 43, v5
	;; [unrolled: 3-line block ×3, first 2 shown]
	s_cbranch_vccz .LBB151_219
; %bb.217:
	v_cmp_eq_u16_e32 vcc_lo, 46, v5
	s_mov_b32 s5, -1
	s_mov_b32 s1, 0
	s_cbranch_vccz .LBB151_219
; %bb.218:
	v_and_b32_e64 v6, 0xff, s4
	s_and_b32 s0, s4, 0xff
	s_mov_b32 s5, 0
	s_lshl_b32 s0, s0, 23
	s_delay_alu instid0(SALU_CYCLE_1) | instskip(SKIP_2) | instid1(VALU_DEP_2)
	v_mov_b32_e32 v7, s0
	v_cmp_ne_u16_e32 vcc_lo, 0xff, v6
	s_mov_b32 s0, -1
	v_cndmask_b32_e32 v7, 0x7f800001, v7, vcc_lo
	v_cmp_ne_u16_e32 vcc_lo, 0, v6
	s_delay_alu instid0(VALU_DEP_2) | instskip(NEXT) | instid1(VALU_DEP_1)
	v_cndmask_b32_e32 v6, 0x400000, v7, vcc_lo
	v_add_nc_u32_e32 v7, 0x7fff, v6
	v_cmp_o_f32_e32 vcc_lo, v6, v6
	s_delay_alu instid0(VALU_DEP_2) | instskip(NEXT) | instid1(VALU_DEP_1)
	v_lshrrev_b32_e32 v7, 16, v7
	v_cndmask_b32_e32 v6, 0x7fc0, v7, vcc_lo
	global_store_b32 v[3:4], v6, off
.LBB151_219:
	s_and_b32 vcc_lo, exec_lo, s1
	s_cbranch_vccz .LBB151_222
; %bb.220:
	v_cmp_eq_u16_e32 vcc_lo, 44, v5
	s_mov_b32 s5, -1
	s_cbranch_vccz .LBB151_222
; %bb.221:
	v_mov_b32_e32 v6, s4
	s_mov_b32 s5, 0
	s_mov_b32 s0, -1
	global_store_b8 v[3:4], v6, off
.LBB151_222:
	s_mov_b32 s1, 0
.LBB151_223:
	s_delay_alu instid0(SALU_CYCLE_1)
	s_and_b32 vcc_lo, exec_lo, s1
	s_cbranch_vccz .LBB151_226
; %bb.224:
	v_cmp_eq_u16_e32 vcc_lo, 29, v5
	s_mov_b32 s5, -1
	s_cbranch_vccz .LBB151_226
; %bb.225:
	s_and_b32 s0, s4, 0xff
	v_and_b32_e64 v8, 0xff, s4
	s_lshl_b32 s0, s0, 23
	s_mov_b32 s5, 0
	v_trunc_f32_e32 v6, s0
	s_mov_b32 s0, -1
	v_cmp_ne_u16_e32 vcc_lo, 0, v8
	s_delay_alu instid0(VALU_DEP_2) | instskip(NEXT) | instid1(VALU_DEP_1)
	v_mul_f32_e32 v7, 0x2f800000, v6
	v_floor_f32_e32 v7, v7
	s_delay_alu instid0(VALU_DEP_1) | instskip(SKIP_1) | instid1(VALU_DEP_1)
	v_fmamk_f32 v6, v7, 0xcf800000, v6
	v_cvt_u32_f32_e32 v7, v7
	v_cndmask_b32_e32 v7, 0, v7, vcc_lo
	s_delay_alu instid0(VALU_DEP_3) | instskip(NEXT) | instid1(VALU_DEP_1)
	v_cvt_u32_f32_e32 v6, v6
	v_cndmask_b32_e32 v6, 0, v6, vcc_lo
	global_store_b64 v[3:4], v[6:7], off
.LBB151_226:
	s_mov_b32 s1, 0
.LBB151_227:
	s_delay_alu instid0(SALU_CYCLE_1)
	s_and_b32 vcc_lo, exec_lo, s1
	s_cbranch_vccz .LBB151_303
; %bb.228:
	v_cmp_gt_i16_e32 vcc_lo, 27, v5
	s_mov_b32 s0, -1
	s_cbranch_vccnz .LBB151_234
; %bb.229:
	v_cmp_lt_i16_e32 vcc_lo, 27, v5
	s_cbranch_vccz .LBB151_231
; %bb.230:
	v_and_b32_e64 v6, 0xff, s4
	s_and_b32 s0, s4, 0xff
	s_delay_alu instid0(SALU_CYCLE_1) | instskip(NEXT) | instid1(SALU_CYCLE_1)
	s_lshl_b32 s0, s0, 23
	v_cvt_u32_f32_e32 v7, s0
	s_delay_alu instid0(VALU_DEP_2) | instskip(SKIP_1) | instid1(VALU_DEP_2)
	v_cmp_ne_u16_e32 vcc_lo, 0, v6
	s_mov_b32 s0, 0
	v_cndmask_b32_e32 v6, 0, v7, vcc_lo
	global_store_b32 v[3:4], v6, off
.LBB151_231:
	s_and_not1_b32 vcc_lo, exec_lo, s0
	s_cbranch_vccnz .LBB151_233
; %bb.232:
	v_and_b32_e64 v6, 0xff, s4
	s_and_b32 s0, s4, 0xff
	s_delay_alu instid0(SALU_CYCLE_1) | instskip(NEXT) | instid1(SALU_CYCLE_1)
	s_lshl_b32 s0, s0, 23
	v_cvt_u32_f32_e32 v7, s0
	s_delay_alu instid0(VALU_DEP_2) | instskip(NEXT) | instid1(VALU_DEP_2)
	v_cmp_ne_u16_e32 vcc_lo, 0, v6
	v_cndmask_b32_e32 v6, 0, v7, vcc_lo
	global_store_b16 v[3:4], v6, off
.LBB151_233:
	s_mov_b32 s0, 0
.LBB151_234:
	s_delay_alu instid0(SALU_CYCLE_1)
	s_and_not1_b32 vcc_lo, exec_lo, s0
	s_cbranch_vccnz .LBB151_302
; %bb.235:
	v_and_b32_e64 v6, 0xff, s4
	v_mov_b32_e32 v7, 0x7f800001
	s_and_b32 s0, s4, 0xff
	v_mov_b32_e32 v8, 0x80
	s_lshl_b32 s10, s0, 23
	v_cmp_eq_u16_e64 s1, 0xff, v6
	v_cmp_eq_u16_e64 s0, 0, v6
	s_mov_b32 s9, 0
	s_delay_alu instid0(VALU_DEP_2) | instskip(NEXT) | instid1(VALU_DEP_1)
	v_cndmask_b32_e64 v7, |s10|, v7, s1
	v_cndmask_b32_e64 v6, v7, 0x400000, s0
	s_delay_alu instid0(VALU_DEP_1)
	v_cmp_lt_u32_e32 vcc_lo, 0x437fffff, v6
	s_cbranch_vccnz .LBB151_301
; %bb.236:
	v_cmp_lt_u32_e32 vcc_lo, 0x3bffffff, v6
	s_cbranch_vccz .LBB151_296
; %bb.237:
	s_add_i32 s9, s10, 0x487ffff
	s_mov_b32 s10, 0
	s_lshr_b32 s9, s9, 20
	s_and_b32 s1, s1, exec_lo
	s_cselect_b32 s1, 0x840, s9
	s_and_b32 s0, s0, exec_lo
	s_cselect_b32 s0, 0x4c, s1
	s_mov_b32 s9, -1
	s_branch .LBB151_297
.LBB151_238:
                                        ; implicit-def: $vgpr2
	s_and_not1_b32 vcc_lo, exec_lo, s12
	s_cbranch_vccz .LBB151_244
	s_branch .LBB151_246
.LBB151_239:
	v_mov_b32_e32 v3, v14
.LBB151_240:
	s_and_b32 s48, s48, 3
	s_delay_alu instid0(SALU_CYCLE_1)
	s_cmp_eq_u32 s48, 0
	s_cbranch_scc1 .LBB151_243
; %bb.241:
	s_lshl_b32 s12, s46, 2
	s_mul_i32 s26, s46, 12
	s_add_u32 s12, s12, s0
	s_addc_u32 s13, s1, 0
	s_add_u32 s12, s12, 0xc4
	s_addc_u32 s13, s13, 0
	;; [unrolled: 2-line block ×3, first 2 shown]
	.p2align	6
.LBB151_242:                            ; =>This Inner Loop Header: Depth=1
	s_clause 0x1
	s_load_b64 s[50:51], s[26:27], 0x4
	s_load_b32 s46, s[26:27], 0xc
	s_load_b32 s49, s[12:13], 0x0
	s_add_u32 s26, s26, 12
	s_addc_u32 s27, s27, 0
	s_add_u32 s12, s12, 4
	s_addc_u32 s13, s13, 0
	s_add_i32 s48, s48, -1
	s_delay_alu instid0(SALU_CYCLE_1) | instskip(SKIP_2) | instid1(VALU_DEP_1)
	s_cmp_lg_u32 s48, 0
	s_waitcnt lgkmcnt(0)
	v_mul_hi_u32 v8, s51, v3
	v_add_nc_u32_e32 v8, v3, v8
	s_delay_alu instid0(VALU_DEP_1) | instskip(NEXT) | instid1(VALU_DEP_1)
	v_lshrrev_b32_e32 v25, s46, v8
	v_mul_lo_u32 v8, v25, s50
	s_delay_alu instid0(VALU_DEP_1) | instskip(NEXT) | instid1(VALU_DEP_1)
	v_sub_nc_u32_e32 v3, v3, v8
	v_mad_u64_u32 v[8:9], null, v3, s49, v[2:3]
	s_delay_alu instid0(VALU_DEP_1)
	v_dual_mov_b32 v3, v25 :: v_dual_mov_b32 v2, v8
	s_cbranch_scc1 .LBB151_242
.LBB151_243:
	s_cbranch_execnz .LBB151_246
.LBB151_244:
	v_mul_hi_u32 v2, s17, v14
	s_and_not1_b32 vcc_lo, exec_lo, s40
	s_delay_alu instid0(VALU_DEP_1) | instskip(NEXT) | instid1(VALU_DEP_1)
	v_add_nc_u32_e32 v2, v14, v2
	v_lshrrev_b32_e32 v3, s18, v2
	s_delay_alu instid0(VALU_DEP_1) | instskip(NEXT) | instid1(VALU_DEP_1)
	v_mul_lo_u32 v2, v3, s16
	v_sub_nc_u32_e32 v2, v14, v2
	s_delay_alu instid0(VALU_DEP_1)
	v_mul_lo_u32 v2, v2, s20
	s_cbranch_vccnz .LBB151_246
; %bb.245:
	v_mul_hi_u32 v8, s22, v3
	s_delay_alu instid0(VALU_DEP_1) | instskip(NEXT) | instid1(VALU_DEP_1)
	v_add_nc_u32_e32 v8, v3, v8
	v_lshrrev_b32_e32 v8, s23, v8
	s_delay_alu instid0(VALU_DEP_1) | instskip(NEXT) | instid1(VALU_DEP_1)
	v_mul_lo_u32 v8, v8, s19
	v_sub_nc_u32_e32 v3, v3, v8
	s_delay_alu instid0(VALU_DEP_1) | instskip(NEXT) | instid1(VALU_DEP_1)
	v_mad_u64_u32 v[8:9], null, v3, s21, v[2:3]
	v_mov_b32_e32 v2, v8
.LBB151_246:
	v_cmp_gt_i16_e32 vcc_lo, 11, v10
	s_delay_alu instid0(VALU_DEP_2) | instskip(NEXT) | instid1(VALU_DEP_1)
	v_add_co_u32 v8, s12, s14, v2
	v_add_co_ci_u32_e64 v9, null, s15, 0, s12
	s_mov_b32 s13, 0
	s_mov_b32 s26, -1
	s_mov_b32 s12, s44
	s_cbranch_vccnz .LBB151_253
; %bb.247:
	v_cmp_lt_i16_e32 vcc_lo, 25, v10
	s_cbranch_vccz .LBB151_293
; %bb.248:
	v_cmp_lt_i16_e32 vcc_lo, 28, v10
	s_cbranch_vccz .LBB151_294
	;; [unrolled: 3-line block ×4, first 2 shown]
; %bb.251:
	v_cmp_eq_u16_e32 vcc_lo, 46, v10
	s_mov_b32 s26, 0
	s_mov_b32 s12, -1
	s_cbranch_vccz .LBB151_312
; %bb.252:
	s_mov_b32 s13, -1
	s_mov_b32 s12, 0
	global_store_b32 v[8:9], v17, off
	s_branch .LBB151_312
.LBB151_253:
	s_and_b32 vcc_lo, exec_lo, s26
	s_cbranch_vccz .LBB151_357
; %bb.254:
	v_cmp_gt_i16_e32 vcc_lo, 5, v10
	s_mov_b32 s13, -1
	s_cbranch_vccnz .LBB151_275
; %bb.255:
	v_cmp_gt_i16_e32 vcc_lo, 8, v10
	s_cbranch_vccnz .LBB151_265
; %bb.256:
	v_cmp_gt_i16_e32 vcc_lo, 9, v10
	s_cbranch_vccnz .LBB151_262
; %bb.257:
	v_cmp_lt_i16_e32 vcc_lo, 9, v10
	s_cbranch_vccz .LBB151_259
; %bb.258:
	v_mov_b32_e32 v2, 0
	s_mov_b32 s13, 0
	s_delay_alu instid0(VALU_DEP_1)
	v_mov_b32_e32 v3, v2
	global_store_b128 v[8:9], v[0:3], off
.LBB151_259:
	s_and_not1_b32 vcc_lo, exec_lo, s13
	s_cbranch_vccnz .LBB151_261
; %bb.260:
	v_dual_mov_b32 v2, s34 :: v_dual_mov_b32 v3, 0
	global_store_b64 v[8:9], v[2:3], off
.LBB151_261:
	s_mov_b32 s13, 0
.LBB151_262:
	s_delay_alu instid0(SALU_CYCLE_1)
	s_and_not1_b32 vcc_lo, exec_lo, s13
	s_cbranch_vccnz .LBB151_264
; %bb.263:
	global_store_b32 v[8:9], v16, off
.LBB151_264:
	s_mov_b32 s13, 0
.LBB151_265:
	s_delay_alu instid0(SALU_CYCLE_1)
	s_and_not1_b32 vcc_lo, exec_lo, s13
	s_cbranch_vccnz .LBB151_274
; %bb.266:
	v_cmp_gt_i16_e32 vcc_lo, 6, v10
	s_mov_b32 s13, -1
	s_cbranch_vccnz .LBB151_272
; %bb.267:
	v_cmp_lt_i16_e32 vcc_lo, 6, v10
	s_cbranch_vccz .LBB151_269
; %bb.268:
	s_mov_b32 s13, 0
	global_store_b64 v[8:9], v[0:1], off
.LBB151_269:
	s_and_not1_b32 vcc_lo, exec_lo, s13
	s_cbranch_vccnz .LBB151_271
; %bb.270:
	global_store_b32 v[8:9], v15, off
.LBB151_271:
	s_mov_b32 s13, 0
.LBB151_272:
	s_delay_alu instid0(SALU_CYCLE_1)
	s_and_not1_b32 vcc_lo, exec_lo, s13
	s_cbranch_vccnz .LBB151_274
; %bb.273:
	global_store_b16 v[8:9], v16, off
.LBB151_274:
	s_mov_b32 s13, 0
.LBB151_275:
	s_delay_alu instid0(SALU_CYCLE_1)
	s_and_not1_b32 vcc_lo, exec_lo, s13
	s_cbranch_vccnz .LBB151_291
; %bb.276:
	v_cmp_gt_i16_e32 vcc_lo, 2, v10
	s_mov_b32 s13, -1
	s_cbranch_vccnz .LBB151_286
; %bb.277:
	v_cmp_gt_i16_e32 vcc_lo, 3, v10
	s_cbranch_vccnz .LBB151_283
; %bb.278:
	v_cmp_lt_i16_e32 vcc_lo, 3, v10
	s_cbranch_vccz .LBB151_280
; %bb.279:
	s_mov_b32 s13, 0
	global_store_b64 v[8:9], v[4:5], off
.LBB151_280:
	s_and_not1_b32 vcc_lo, exec_lo, s13
	s_cbranch_vccnz .LBB151_282
; %bb.281:
	global_store_b32 v[8:9], v13, off
.LBB151_282:
	s_mov_b32 s13, 0
.LBB151_283:
	s_delay_alu instid0(SALU_CYCLE_1)
	s_and_not1_b32 vcc_lo, exec_lo, s13
	s_cbranch_vccnz .LBB151_285
; %bb.284:
	global_store_b16 v[8:9], v13, off
.LBB151_285:
	s_mov_b32 s13, 0
.LBB151_286:
	s_delay_alu instid0(SALU_CYCLE_1)
	s_and_not1_b32 vcc_lo, exec_lo, s13
	s_cbranch_vccnz .LBB151_291
; %bb.287:
	v_cmp_lt_i16_e32 vcc_lo, 0, v10
	s_mov_b32 s13, -1
	s_cbranch_vccz .LBB151_289
; %bb.288:
	s_mov_b32 s13, 0
	global_store_b8 v[8:9], v12, off
.LBB151_289:
	s_and_not1_b32 vcc_lo, exec_lo, s13
	s_cbranch_vccnz .LBB151_291
; %bb.290:
	global_store_b8 v[8:9], v11, off
.LBB151_291:
	s_branch .LBB151_358
.LBB151_292:
	s_mov_b32 s13, 0
                                        ; implicit-def: $vgpr14
	s_branch .LBB151_359
.LBB151_293:
	s_mov_b32 s12, s44
	s_branch .LBB151_334
.LBB151_294:
	s_mov_b32 s12, s44
	s_branch .LBB151_320
.LBB151_295:
	s_mov_b32 s12, s44
	s_branch .LBB151_316
.LBB151_296:
	s_mov_b32 s10, -1
                                        ; implicit-def: $sgpr0
.LBB151_297:
	v_mov_b32_e32 v7, s0
	s_and_not1_b32 vcc_lo, exec_lo, s10
                                        ; implicit-def: $sgpr0
	s_cbranch_vccnz .LBB151_299
; %bb.298:
	v_add_f32_e32 v6, 0x46000000, v6
	s_mov_b32 s0, 0
	s_delay_alu instid0(VALU_DEP_1) | instskip(NEXT) | instid1(VALU_DEP_1)
	v_and_b32_e32 v7, 0xff, v6
	v_cmp_ne_u32_e64 s9, 0, v7
.LBB151_299:
	v_mov_b32_e32 v8, s0
	s_delay_alu instid0(VALU_DEP_2)
	s_and_not1_b32 vcc_lo, exec_lo, s9
	s_cbranch_vccnz .LBB151_301
; %bb.300:
	v_mov_b32_e32 v8, v7
.LBB151_301:
	global_store_b8 v[3:4], v8, off
.LBB151_302:
	s_mov_b32 s0, -1
.LBB151_303:
	s_mov_b32 s1, 0
.LBB151_304:
	s_delay_alu instid0(SALU_CYCLE_1)
	s_and_b32 vcc_lo, exec_lo, s1
	s_cbranch_vccz .LBB151_465
; %bb.305:
	v_cmp_lt_i16_e32 vcc_lo, 22, v5
	s_mov_b32 s1, -1
	s_cbranch_vccz .LBB151_458
; %bb.306:
	v_cmp_gt_i16_e32 vcc_lo, 24, v5
	s_mov_b32 s0, -1
	s_cbranch_vccnz .LBB151_445
; %bb.307:
	v_cmp_lt_i16_e32 vcc_lo, 24, v5
	s_mov_b32 s8, -1
	s_cbranch_vccz .LBB151_432
; %bb.308:
	v_and_b32_e64 v6, 0xff, s4
	v_mov_b32_e32 v7, 0x7f800001
	s_and_b32 s0, s4, 0xff
	v_mov_b32_e32 v8, 0x80
	s_lshl_b32 s9, s0, 23
	v_cmp_eq_u16_e64 s1, 0xff, v6
	v_cmp_eq_u16_e64 s0, 0, v6
	s_mov_b32 s8, 0
	s_delay_alu instid0(VALU_DEP_2) | instskip(NEXT) | instid1(VALU_DEP_1)
	v_cndmask_b32_e64 v7, |s9|, v7, s1
	v_cndmask_b32_e64 v6, v7, 0x400000, s0
	s_delay_alu instid0(VALU_DEP_1)
	v_cmp_lt_u32_e32 vcc_lo, 0x477fffff, v6
	s_cbranch_vccnz .LBB151_431
; %bb.309:
	v_cmp_lt_u32_e32 vcc_lo, 0x37ffffff, v6
	s_cbranch_vccz .LBB151_426
; %bb.310:
	s_add_i32 s10, s9, 0x88fffff
	s_mov_b32 s9, 0
	s_lshr_b32 s10, s10, 21
	s_and_b32 s1, s1, exec_lo
	s_cselect_b32 s1, 0x440, s10
	s_and_b32 s0, s0, exec_lo
	s_cselect_b32 s1, 0x46, s1
	s_mov_b32 s0, -1
	s_branch .LBB151_427
.LBB151_311:
	s_mov_b32 s12, s44
.LBB151_312:
	s_and_b32 vcc_lo, exec_lo, s26
	s_cbranch_vccz .LBB151_315
; %bb.313:
	v_cmp_eq_u16_e32 vcc_lo, 44, v10
	s_mov_b32 s12, -1
	s_cbranch_vccz .LBB151_315
; %bb.314:
	v_mov_b32_e32 v2, s39
	s_mov_b32 s13, -1
	s_mov_b32 s12, 0
	global_store_b8 v[8:9], v2, off
.LBB151_315:
	s_mov_b32 s26, 0
.LBB151_316:
	s_delay_alu instid0(SALU_CYCLE_1)
	s_and_b32 vcc_lo, exec_lo, s26
	s_cbranch_vccz .LBB151_319
; %bb.317:
	v_cmp_eq_u16_e32 vcc_lo, 29, v10
	s_mov_b32 s12, -1
	s_cbranch_vccz .LBB151_319
; %bb.318:
	s_mov_b32 s13, -1
	s_mov_b32 s12, 0
	global_store_b64 v[8:9], v[6:7], off
.LBB151_319:
	s_mov_b32 s26, 0
.LBB151_320:
	s_delay_alu instid0(SALU_CYCLE_1)
	s_and_b32 vcc_lo, exec_lo, s26
	s_cbranch_vccz .LBB151_333
; %bb.321:
	v_cmp_gt_i16_e32 vcc_lo, 27, v10
	s_mov_b32 s13, -1
	s_cbranch_vccnz .LBB151_327
; %bb.322:
	v_cmp_lt_i16_e32 vcc_lo, 27, v10
	s_cbranch_vccz .LBB151_324
; %bb.323:
	s_mov_b32 s13, 0
	global_store_b32 v[8:9], v24, off
.LBB151_324:
	s_and_not1_b32 vcc_lo, exec_lo, s13
	s_cbranch_vccnz .LBB151_326
; %bb.325:
	global_store_b16 v[8:9], v24, off
.LBB151_326:
	s_mov_b32 s13, 0
.LBB151_327:
	s_delay_alu instid0(SALU_CYCLE_1)
	s_and_not1_b32 vcc_lo, exec_lo, s13
	s_cbranch_vccnz .LBB151_332
; %bb.328:
	v_mov_b32_e32 v2, 0x80
	s_and_not1_b32 vcc_lo, exec_lo, s10
	s_cbranch_vccnz .LBB151_331
; %bb.329:
	v_mov_b32_e32 v2, 0
	s_or_b32 s13, s9, s11
	s_delay_alu instid0(SALU_CYCLE_1)
	s_and_not1_b32 vcc_lo, exec_lo, s13
	s_cbranch_vccnz .LBB151_331
; %bb.330:
	v_cndmask_b32_e64 v2, v23, s38, s9
.LBB151_331:
	global_store_b8 v[8:9], v2, off
.LBB151_332:
	s_mov_b32 s13, -1
.LBB151_333:
	s_mov_b32 s26, 0
.LBB151_334:
	s_delay_alu instid0(SALU_CYCLE_1)
	s_and_b32 vcc_lo, exec_lo, s26
	s_cbranch_vccz .LBB151_356
; %bb.335:
	v_cmp_lt_i16_e32 vcc_lo, 22, v10
	s_mov_b32 s26, -1
	s_cbranch_vccz .LBB151_348
; %bb.336:
	v_cmp_gt_i16_e32 vcc_lo, 24, v10
	s_mov_b32 s13, -1
	s_cbranch_vccnz .LBB151_345
; %bb.337:
	v_cmp_lt_i16_e32 vcc_lo, 24, v10
	s_cbranch_vccz .LBB151_342
; %bb.338:
	v_mov_b32_e32 v2, 0x80
	s_and_not1_b32 vcc_lo, exec_lo, s7
	s_cbranch_vccnz .LBB151_341
; %bb.339:
	v_mov_b32_e32 v2, 0
	s_or_b32 s13, s6, s8
	s_delay_alu instid0(SALU_CYCLE_1)
	s_and_not1_b32 vcc_lo, exec_lo, s13
	s_cbranch_vccnz .LBB151_341
; %bb.340:
	v_cndmask_b32_e64 v2, v19, s36, s6
.LBB151_341:
	s_mov_b32 s13, 0
	global_store_b8 v[8:9], v2, off
.LBB151_342:
	s_and_b32 vcc_lo, exec_lo, s13
	s_cbranch_vccz .LBB151_344
; %bb.343:
	v_cndmask_b32_e64 v2, s35, v18, s5
	s_delay_alu instid0(VALU_DEP_1)
	v_cndmask_b32_e64 v2, v2, v22, s3
	global_store_b8 v[8:9], v2, off
.LBB151_344:
	s_mov_b32 s13, 0
.LBB151_345:
	s_delay_alu instid0(SALU_CYCLE_1)
	s_and_not1_b32 vcc_lo, exec_lo, s13
	s_cbranch_vccnz .LBB151_347
; %bb.346:
	v_cndmask_b32_e64 v2, s37, v20, s4
	s_delay_alu instid0(VALU_DEP_1)
	v_cndmask_b32_e64 v2, v2, v21, s2
	global_store_b8 v[8:9], v2, off
.LBB151_347:
	s_mov_b32 s26, 0
	s_mov_b32 s13, -1
.LBB151_348:
	s_and_not1_b32 vcc_lo, exec_lo, s26
	s_cbranch_vccnz .LBB151_356
; %bb.349:
	v_cmp_lt_i16_e32 vcc_lo, 14, v10
	s_mov_b32 s26, -1
	s_cbranch_vccz .LBB151_353
; %bb.350:
	v_cmp_eq_u16_e32 vcc_lo, 15, v10
	s_mov_b32 s12, -1
	s_cbranch_vccz .LBB151_352
; %bb.351:
	s_mov_b32 s13, -1
	s_mov_b32 s12, 0
	global_store_b16 v[8:9], v17, off
.LBB151_352:
	s_mov_b32 s26, 0
.LBB151_353:
	s_delay_alu instid0(SALU_CYCLE_1)
	s_and_b32 vcc_lo, exec_lo, s26
	s_cbranch_vccz .LBB151_356
; %bb.354:
	v_cmp_eq_u16_e32 vcc_lo, 11, v10
	s_mov_b32 s12, -1
	s_cbranch_vccz .LBB151_356
; %bb.355:
	v_mov_b32_e32 v2, 1
	s_mov_b32 s13, -1
	s_mov_b32 s12, 0
	global_store_b8 v[8:9], v2, off
.LBB151_356:
.LBB151_357:
	s_and_not1_b32 vcc_lo, exec_lo, s13
	s_cbranch_vccnz .LBB151_292
.LBB151_358:
	v_add_nc_u32_e32 v14, 0x80, v14
	s_mov_b32 s13, -1
.LBB151_359:
	s_and_not1_b32 s26, s44, exec_lo
	s_and_b32 s12, s12, exec_lo
	s_delay_alu instid0(SALU_CYCLE_1)
	s_or_b32 s46, s26, s12
	s_or_not1_b32 s12, s13, exec_lo
.LBB151_360:
	s_or_b32 exec_lo, exec_lo, s47
	s_mov_b32 s13, 0
	s_mov_b32 s27, 0
                                        ; implicit-def: $vgpr8_vgpr9
	s_and_saveexec_b32 s47, s12
	s_cbranch_execz .LBB151_672
; %bb.361:
	s_mov_b32 s49, -1
	s_mov_b32 s26, s46
	s_mov_b32 s48, exec_lo
	v_cmpx_gt_i32_e64 s41, v14
	s_cbranch_execz .LBB151_603
; %bb.362:
	s_and_not1_b32 vcc_lo, exec_lo, s31
	s_cbranch_vccnz .LBB151_367
; %bb.363:
	v_mov_b32_e32 v2, 0
	s_and_not1_b32 vcc_lo, exec_lo, s43
	s_cbranch_vccnz .LBB151_372
; %bb.364:
	s_add_i32 s50, s42, 1
	s_cmp_eq_u32 s29, 2
	s_mov_b32 s49, 0
	s_cbranch_scc1 .LBB151_368
; %bb.365:
	v_dual_mov_b32 v2, 0 :: v_dual_mov_b32 v3, v14
	s_and_b32 s49, s50, 28
	s_mov_b32 s51, 0
	s_mov_b64 s[12:13], s[0:1]
	s_mov_b64 s[26:27], s[24:25]
.LBB151_366:                            ; =>This Inner Loop Header: Depth=1
	s_clause 0x1
	s_load_b256 s[52:59], s[12:13], 0x4
	s_load_b128 s[60:63], s[12:13], 0x24
	s_load_b128 s[64:67], s[26:27], 0x0
	s_add_u32 s12, s12, 48
	s_addc_u32 s13, s13, 0
	s_add_i32 s51, s51, 4
	s_add_u32 s26, s26, 16
	s_addc_u32 s27, s27, 0
	s_cmp_eq_u32 s49, s51
	s_waitcnt lgkmcnt(0)
	v_mul_hi_u32 v8, s53, v3
	s_delay_alu instid0(VALU_DEP_1) | instskip(NEXT) | instid1(VALU_DEP_1)
	v_add_nc_u32_e32 v8, v3, v8
	v_lshrrev_b32_e32 v8, s54, v8
	s_delay_alu instid0(VALU_DEP_1) | instskip(SKIP_1) | instid1(VALU_DEP_2)
	v_mul_hi_u32 v9, s56, v8
	v_mul_lo_u32 v27, v8, s52
	v_add_nc_u32_e32 v9, v8, v9
	s_delay_alu instid0(VALU_DEP_2) | instskip(NEXT) | instid1(VALU_DEP_2)
	v_sub_nc_u32_e32 v27, v3, v27
	v_lshrrev_b32_e32 v9, s57, v9
	s_delay_alu instid0(VALU_DEP_2) | instskip(NEXT) | instid1(VALU_DEP_2)
	v_mul_lo_u32 v27, v27, s64
	v_mul_hi_u32 v25, s59, v9
	v_mul_lo_u32 v28, v9, s55
	s_delay_alu instid0(VALU_DEP_2) | instskip(NEXT) | instid1(VALU_DEP_2)
	v_add_nc_u32_e32 v25, v9, v25
	v_sub_nc_u32_e32 v8, v8, v28
	s_delay_alu instid0(VALU_DEP_2) | instskip(NEXT) | instid1(VALU_DEP_2)
	v_lshrrev_b32_e32 v25, s60, v25
	v_mul_lo_u32 v8, v8, s65
	s_delay_alu instid0(VALU_DEP_2) | instskip(NEXT) | instid1(VALU_DEP_2)
	v_mul_hi_u32 v26, s62, v25
	v_add3_u32 v2, v27, v2, v8
	s_delay_alu instid0(VALU_DEP_2) | instskip(NEXT) | instid1(VALU_DEP_1)
	v_add_nc_u32_e32 v26, v25, v26
	v_lshrrev_b32_e32 v3, s63, v26
	v_mul_lo_u32 v26, v25, s58
	s_delay_alu instid0(VALU_DEP_2) | instskip(NEXT) | instid1(VALU_DEP_2)
	v_mul_lo_u32 v29, v3, s61
	v_sub_nc_u32_e32 v9, v9, v26
	s_delay_alu instid0(VALU_DEP_2) | instskip(NEXT) | instid1(VALU_DEP_2)
	v_sub_nc_u32_e32 v25, v25, v29
	v_mul_lo_u32 v9, v9, s66
	s_delay_alu instid0(VALU_DEP_2) | instskip(NEXT) | instid1(VALU_DEP_1)
	v_mul_lo_u32 v25, v25, s67
	v_add3_u32 v2, v9, v2, v25
	s_cbranch_scc0 .LBB151_366
	s_branch .LBB151_369
.LBB151_367:
	s_mov_b32 s12, -1
                                        ; implicit-def: $vgpr2
	s_branch .LBB151_373
.LBB151_368:
	v_mov_b32_e32 v3, v14
.LBB151_369:
	s_and_b32 s50, s50, 3
	s_delay_alu instid0(SALU_CYCLE_1)
	s_cmp_eq_u32 s50, 0
	s_cbranch_scc1 .LBB151_372
; %bb.370:
	s_lshl_b32 s12, s49, 2
	s_mul_i32 s26, s49, 12
	s_add_u32 s12, s12, s0
	s_addc_u32 s13, s1, 0
	s_add_u32 s12, s12, 0xc4
	s_addc_u32 s13, s13, 0
	;; [unrolled: 2-line block ×3, first 2 shown]
	.p2align	6
.LBB151_371:                            ; =>This Inner Loop Header: Depth=1
	s_clause 0x1
	s_load_b64 s[52:53], s[26:27], 0x4
	s_load_b32 s49, s[26:27], 0xc
	s_load_b32 s51, s[12:13], 0x0
	s_add_u32 s26, s26, 12
	s_addc_u32 s27, s27, 0
	s_add_u32 s12, s12, 4
	s_addc_u32 s13, s13, 0
	s_add_i32 s50, s50, -1
	s_delay_alu instid0(SALU_CYCLE_1) | instskip(SKIP_2) | instid1(VALU_DEP_1)
	s_cmp_lg_u32 s50, 0
	s_waitcnt lgkmcnt(0)
	v_mul_hi_u32 v8, s53, v3
	v_add_nc_u32_e32 v8, v3, v8
	s_delay_alu instid0(VALU_DEP_1) | instskip(NEXT) | instid1(VALU_DEP_1)
	v_lshrrev_b32_e32 v25, s49, v8
	v_mul_lo_u32 v8, v25, s52
	s_delay_alu instid0(VALU_DEP_1) | instskip(NEXT) | instid1(VALU_DEP_1)
	v_sub_nc_u32_e32 v3, v3, v8
	v_mad_u64_u32 v[8:9], null, v3, s51, v[2:3]
	s_delay_alu instid0(VALU_DEP_1)
	v_dual_mov_b32 v3, v25 :: v_dual_mov_b32 v2, v8
	s_cbranch_scc1 .LBB151_371
.LBB151_372:
	s_mov_b32 s12, 0
.LBB151_373:
	s_delay_alu instid0(SALU_CYCLE_1)
	s_and_not1_b32 vcc_lo, exec_lo, s12
	s_cbranch_vccnz .LBB151_376
; %bb.374:
	v_mul_hi_u32 v2, s17, v14
	s_and_not1_b32 vcc_lo, exec_lo, s40
	s_delay_alu instid0(VALU_DEP_1) | instskip(NEXT) | instid1(VALU_DEP_1)
	v_add_nc_u32_e32 v2, v14, v2
	v_lshrrev_b32_e32 v3, s18, v2
	s_delay_alu instid0(VALU_DEP_1) | instskip(NEXT) | instid1(VALU_DEP_1)
	v_mul_lo_u32 v2, v3, s16
	v_sub_nc_u32_e32 v2, v14, v2
	s_delay_alu instid0(VALU_DEP_1)
	v_mul_lo_u32 v2, v2, s20
	s_cbranch_vccnz .LBB151_376
; %bb.375:
	v_mul_hi_u32 v8, s22, v3
	s_delay_alu instid0(VALU_DEP_1) | instskip(NEXT) | instid1(VALU_DEP_1)
	v_add_nc_u32_e32 v8, v3, v8
	v_lshrrev_b32_e32 v8, s23, v8
	s_delay_alu instid0(VALU_DEP_1) | instskip(NEXT) | instid1(VALU_DEP_1)
	v_mul_lo_u32 v8, v8, s19
	v_sub_nc_u32_e32 v3, v3, v8
	s_delay_alu instid0(VALU_DEP_1) | instskip(NEXT) | instid1(VALU_DEP_1)
	v_mad_u64_u32 v[8:9], null, v3, s21, v[2:3]
	v_mov_b32_e32 v2, v8
.LBB151_376:
	v_cmp_gt_i16_e32 vcc_lo, 11, v10
	s_delay_alu instid0(VALU_DEP_2) | instskip(NEXT) | instid1(VALU_DEP_1)
	v_add_co_u32 v8, s12, s14, v2
	v_add_co_ci_u32_e64 v9, null, s15, 0, s12
	s_mov_b32 s13, 0
	s_mov_b32 s26, -1
	s_mov_b32 s12, s46
	s_cbranch_vccnz .LBB151_383
; %bb.377:
	v_cmp_lt_i16_e32 vcc_lo, 25, v10
	s_cbranch_vccz .LBB151_423
; %bb.378:
	v_cmp_lt_i16_e32 vcc_lo, 28, v10
	s_cbranch_vccz .LBB151_424
	;; [unrolled: 3-line block ×4, first 2 shown]
; %bb.381:
	v_cmp_eq_u16_e32 vcc_lo, 46, v10
	s_mov_b32 s26, 0
	s_mov_b32 s12, -1
	s_cbranch_vccz .LBB151_555
; %bb.382:
	s_mov_b32 s13, -1
	s_mov_b32 s12, 0
	global_store_b32 v[8:9], v17, off
	s_branch .LBB151_555
.LBB151_383:
	s_and_b32 vcc_lo, exec_lo, s26
	s_cbranch_vccz .LBB151_600
; %bb.384:
	v_cmp_gt_i16_e32 vcc_lo, 5, v10
	s_mov_b32 s13, -1
	s_cbranch_vccnz .LBB151_405
; %bb.385:
	v_cmp_gt_i16_e32 vcc_lo, 8, v10
	s_cbranch_vccnz .LBB151_395
; %bb.386:
	v_cmp_gt_i16_e32 vcc_lo, 9, v10
	s_cbranch_vccnz .LBB151_392
; %bb.387:
	v_cmp_lt_i16_e32 vcc_lo, 9, v10
	s_cbranch_vccz .LBB151_389
; %bb.388:
	v_mov_b32_e32 v2, 0
	s_mov_b32 s13, 0
	s_delay_alu instid0(VALU_DEP_1)
	v_mov_b32_e32 v3, v2
	global_store_b128 v[8:9], v[0:3], off
.LBB151_389:
	s_and_not1_b32 vcc_lo, exec_lo, s13
	s_cbranch_vccnz .LBB151_391
; %bb.390:
	v_dual_mov_b32 v2, s34 :: v_dual_mov_b32 v3, 0
	global_store_b64 v[8:9], v[2:3], off
.LBB151_391:
	s_mov_b32 s13, 0
.LBB151_392:
	s_delay_alu instid0(SALU_CYCLE_1)
	s_and_not1_b32 vcc_lo, exec_lo, s13
	s_cbranch_vccnz .LBB151_394
; %bb.393:
	global_store_b32 v[8:9], v16, off
.LBB151_394:
	s_mov_b32 s13, 0
.LBB151_395:
	s_delay_alu instid0(SALU_CYCLE_1)
	s_and_not1_b32 vcc_lo, exec_lo, s13
	s_cbranch_vccnz .LBB151_404
; %bb.396:
	v_cmp_gt_i16_e32 vcc_lo, 6, v10
	s_mov_b32 s13, -1
	s_cbranch_vccnz .LBB151_402
; %bb.397:
	v_cmp_lt_i16_e32 vcc_lo, 6, v10
	s_cbranch_vccz .LBB151_399
; %bb.398:
	s_mov_b32 s13, 0
	global_store_b64 v[8:9], v[0:1], off
.LBB151_399:
	s_and_not1_b32 vcc_lo, exec_lo, s13
	s_cbranch_vccnz .LBB151_401
; %bb.400:
	global_store_b32 v[8:9], v15, off
.LBB151_401:
	s_mov_b32 s13, 0
.LBB151_402:
	s_delay_alu instid0(SALU_CYCLE_1)
	s_and_not1_b32 vcc_lo, exec_lo, s13
	s_cbranch_vccnz .LBB151_404
; %bb.403:
	global_store_b16 v[8:9], v16, off
.LBB151_404:
	s_mov_b32 s13, 0
.LBB151_405:
	s_delay_alu instid0(SALU_CYCLE_1)
	s_and_not1_b32 vcc_lo, exec_lo, s13
	s_cbranch_vccnz .LBB151_421
; %bb.406:
	v_cmp_gt_i16_e32 vcc_lo, 2, v10
	s_mov_b32 s13, -1
	s_cbranch_vccnz .LBB151_416
; %bb.407:
	v_cmp_gt_i16_e32 vcc_lo, 3, v10
	s_cbranch_vccnz .LBB151_413
; %bb.408:
	v_cmp_lt_i16_e32 vcc_lo, 3, v10
	s_cbranch_vccz .LBB151_410
; %bb.409:
	s_mov_b32 s13, 0
	global_store_b64 v[8:9], v[4:5], off
.LBB151_410:
	s_and_not1_b32 vcc_lo, exec_lo, s13
	s_cbranch_vccnz .LBB151_412
; %bb.411:
	global_store_b32 v[8:9], v13, off
.LBB151_412:
	s_mov_b32 s13, 0
.LBB151_413:
	s_delay_alu instid0(SALU_CYCLE_1)
	s_and_not1_b32 vcc_lo, exec_lo, s13
	s_cbranch_vccnz .LBB151_415
; %bb.414:
	global_store_b16 v[8:9], v13, off
.LBB151_415:
	s_mov_b32 s13, 0
.LBB151_416:
	s_delay_alu instid0(SALU_CYCLE_1)
	s_and_not1_b32 vcc_lo, exec_lo, s13
	s_cbranch_vccnz .LBB151_421
; %bb.417:
	v_cmp_lt_i16_e32 vcc_lo, 0, v10
	s_mov_b32 s13, -1
	s_cbranch_vccz .LBB151_419
; %bb.418:
	s_mov_b32 s13, 0
	global_store_b8 v[8:9], v12, off
.LBB151_419:
	s_and_not1_b32 vcc_lo, exec_lo, s13
	s_cbranch_vccnz .LBB151_421
; %bb.420:
	global_store_b8 v[8:9], v11, off
.LBB151_421:
	s_branch .LBB151_601
.LBB151_422:
	s_mov_b32 s13, 0
                                        ; implicit-def: $vgpr14
	s_branch .LBB151_602
.LBB151_423:
	s_mov_b32 s12, s46
	s_branch .LBB151_577
.LBB151_424:
	s_mov_b32 s12, s46
	s_branch .LBB151_563
.LBB151_425:
	s_mov_b32 s12, s46
	s_branch .LBB151_559
.LBB151_426:
	s_mov_b32 s9, -1
	s_mov_b32 s0, 0
                                        ; implicit-def: $sgpr1
.LBB151_427:
	v_mov_b32_e32 v7, s1
	s_and_not1_b32 vcc_lo, exec_lo, s9
                                        ; implicit-def: $sgpr1
	s_cbranch_vccnz .LBB151_429
; %bb.428:
	v_add_f32_e32 v6, 0x42800000, v6
	s_mov_b32 s1, 0
	s_delay_alu instid0(VALU_DEP_1) | instskip(NEXT) | instid1(VALU_DEP_1)
	v_and_b32_e32 v7, 0xff, v6
	v_cmp_ne_u32_e64 s0, 0, v7
.LBB151_429:
	v_mov_b32_e32 v8, s1
	s_delay_alu instid0(VALU_DEP_2)
	s_and_not1_b32 vcc_lo, exec_lo, s0
	s_cbranch_vccnz .LBB151_431
; %bb.430:
	v_mov_b32_e32 v8, v7
.LBB151_431:
	global_store_b8 v[3:4], v8, off
.LBB151_432:
	s_and_b32 vcc_lo, exec_lo, s8
	s_cbranch_vccz .LBB151_444
; %bb.433:
	v_and_b32_e64 v6, 0xff, s4
	v_mov_b32_e32 v7, 0x7f800001
	s_and_b32 s0, s4, 0xff
	s_delay_alu instid0(SALU_CYCLE_1) | instskip(NEXT) | instid1(VALU_DEP_2)
	s_lshl_b32 s8, s0, 23
	v_cmp_eq_u16_e64 s1, 0xff, v6
	v_cmp_eq_u16_e64 s0, 0, v6
	s_delay_alu instid0(VALU_DEP_2) | instskip(NEXT) | instid1(VALU_DEP_1)
	v_cndmask_b32_e64 v7, |s8|, v7, s1
	v_cndmask_b32_e64 v6, v7, 0x400000, s0
	s_delay_alu instid0(VALU_DEP_1)
	v_cmp_gt_u32_e32 vcc_lo, 0x43f00000, v6
	s_cbranch_vccz .LBB151_436
; %bb.434:
	v_cmp_lt_u32_e32 vcc_lo, 0x3c7fffff, v6
	s_cbranch_vccz .LBB151_437
; %bb.435:
	s_add_i32 s8, s8, 0x407ffff
	s_delay_alu instid0(SALU_CYCLE_1)
	s_lshr_b32 s8, s8, 20
	s_and_b32 s1, s1, exec_lo
	s_cselect_b32 s1, 0x838, s8
	s_and_b32 s0, s0, exec_lo
	s_cselect_b32 s1, 0x44, s1
	s_mov_b32 s0, 0
	s_branch .LBB151_438
.LBB151_436:
	s_mov_b32 s0, -1
                                        ; implicit-def: $vgpr7
	s_branch .LBB151_441
.LBB151_437:
	s_mov_b32 s0, -1
                                        ; implicit-def: $sgpr1
.LBB151_438:
	v_mov_b32_e32 v7, s1
	s_and_not1_b32 vcc_lo, exec_lo, s0
	s_cbranch_vccnz .LBB151_440
; %bb.439:
	v_add_f32_e32 v7, 0x46800000, v6
.LBB151_440:
	s_mov_b32 s0, 0
.LBB151_441:
	s_delay_alu instid0(SALU_CYCLE_1)
	s_and_not1_b32 vcc_lo, exec_lo, s0
	s_cbranch_vccnz .LBB151_443
; %bb.442:
	v_mov_b32_e32 v7, 0x7f
	v_cmp_lt_u32_e32 vcc_lo, 0x7f800000, v6
	s_delay_alu instid0(VALU_DEP_2)
	v_cndmask_b32_e32 v7, 0x7e, v7, vcc_lo
.LBB151_443:
	global_store_b8 v[3:4], v7, off
.LBB151_444:
	s_mov_b32 s0, 0
.LBB151_445:
	s_delay_alu instid0(SALU_CYCLE_1)
	s_and_not1_b32 vcc_lo, exec_lo, s0
	s_cbranch_vccnz .LBB151_457
; %bb.446:
	v_and_b32_e64 v6, 0xff, s4
	v_mov_b32_e32 v7, 0x7f800001
	s_and_b32 s0, s4, 0xff
	s_delay_alu instid0(SALU_CYCLE_1) | instskip(NEXT) | instid1(VALU_DEP_2)
	s_lshl_b32 s8, s0, 23
	v_cmp_eq_u16_e64 s1, 0xff, v6
	v_cmp_eq_u16_e64 s0, 0, v6
	s_delay_alu instid0(VALU_DEP_2) | instskip(NEXT) | instid1(VALU_DEP_1)
	v_cndmask_b32_e64 v7, |s8|, v7, s1
	v_cndmask_b32_e64 v6, v7, 0x400000, s0
	s_delay_alu instid0(VALU_DEP_1)
	v_cmp_gt_u32_e32 vcc_lo, 0x47800000, v6
	s_cbranch_vccz .LBB151_449
; %bb.447:
	v_cmp_lt_u32_e32 vcc_lo, 0x387fffff, v6
	s_cbranch_vccz .LBB151_450
; %bb.448:
	s_add_i32 s8, s8, 0x80fffff
	s_delay_alu instid0(SALU_CYCLE_1)
	s_lshr_b32 s8, s8, 21
	s_and_b32 s1, s1, exec_lo
	s_cselect_b32 s1, 0x43c, s8
	s_and_b32 s0, s0, exec_lo
	s_cselect_b32 s1, 0x42, s1
	s_mov_b32 s0, 0
	s_branch .LBB151_451
.LBB151_449:
	s_mov_b32 s0, -1
                                        ; implicit-def: $vgpr7
	s_branch .LBB151_454
.LBB151_450:
	s_mov_b32 s0, -1
                                        ; implicit-def: $sgpr1
.LBB151_451:
	v_mov_b32_e32 v7, s1
	s_and_not1_b32 vcc_lo, exec_lo, s0
	s_cbranch_vccnz .LBB151_453
; %bb.452:
	v_add_f32_e32 v7, 0x43000000, v6
.LBB151_453:
	s_mov_b32 s0, 0
.LBB151_454:
	s_delay_alu instid0(SALU_CYCLE_1)
	s_and_not1_b32 vcc_lo, exec_lo, s0
	s_cbranch_vccnz .LBB151_456
; %bb.455:
	v_mov_b32_e32 v7, 0x7f
	v_cmp_lt_u32_e32 vcc_lo, 0x7f800000, v6
	s_delay_alu instid0(VALU_DEP_2)
	v_cndmask_b32_e32 v7, 0x7c, v7, vcc_lo
.LBB151_456:
	global_store_b8 v[3:4], v7, off
.LBB151_457:
	s_mov_b32 s1, 0
	s_mov_b32 s0, -1
.LBB151_458:
	s_and_not1_b32 vcc_lo, exec_lo, s1
	s_mov_b32 s8, 0
	s_cbranch_vccnz .LBB151_465
; %bb.459:
	v_cmp_lt_i16_e32 vcc_lo, 14, v5
	s_mov_b32 s1, -1
	s_cbranch_vccz .LBB151_463
; %bb.460:
	v_cmp_eq_u16_e32 vcc_lo, 15, v5
	s_mov_b32 s5, -1
	s_cbranch_vccz .LBB151_462
; %bb.461:
	v_and_b32_e64 v6, 0xff, s4
	s_and_b32 s0, s4, 0xff
	s_mov_b32 s5, 0
	s_lshl_b32 s0, s0, 23
	s_delay_alu instid0(SALU_CYCLE_1) | instskip(SKIP_2) | instid1(VALU_DEP_2)
	v_mov_b32_e32 v7, s0
	v_cmp_ne_u16_e32 vcc_lo, 0xff, v6
	s_mov_b32 s0, -1
	v_cndmask_b32_e32 v7, 0x7f800001, v7, vcc_lo
	v_cmp_ne_u16_e32 vcc_lo, 0, v6
	s_delay_alu instid0(VALU_DEP_2) | instskip(NEXT) | instid1(VALU_DEP_1)
	v_cndmask_b32_e32 v6, 0x400000, v7, vcc_lo
	v_add_nc_u32_e32 v7, 0x7fff, v6
	v_cmp_o_f32_e32 vcc_lo, v6, v6
	s_delay_alu instid0(VALU_DEP_2) | instskip(NEXT) | instid1(VALU_DEP_1)
	v_lshrrev_b32_e32 v7, 16, v7
	v_cndmask_b32_e32 v6, 0x7fc0, v7, vcc_lo
	global_store_b16 v[3:4], v6, off
.LBB151_462:
	s_mov_b32 s1, 0
.LBB151_463:
	s_delay_alu instid0(SALU_CYCLE_1)
	s_and_b32 vcc_lo, exec_lo, s1
	s_cbranch_vccz .LBB151_465
; %bb.464:
	v_cmp_ne_u16_e64 s5, 11, v5
	s_mov_b32 s8, -1
.LBB151_465:
	s_delay_alu instid0(VALU_DEP_1)
	s_and_b32 vcc_lo, exec_lo, s5
	s_mov_b32 s5, s6
	s_cbranch_vccnz .LBB151_535
; %bb.466:
	s_and_not1_b32 vcc_lo, exec_lo, s8
	s_cbranch_vccnz .LBB151_468
.LBB151_467:
	v_mov_b32_e32 v6, 1
	s_mov_b32 s0, -1
	global_store_b8 v[3:4], v6, off
.LBB151_468:
	s_mov_b32 s1, 0
.LBB151_469:
	s_delay_alu instid0(SALU_CYCLE_1)
	s_and_b32 vcc_lo, exec_lo, s1
	s_cbranch_vccz .LBB151_508
; %bb.470:
	v_cmp_gt_i16_e32 vcc_lo, 5, v5
	s_mov_b32 s0, -1
	s_cbranch_vccnz .LBB151_491
; %bb.471:
	v_cmp_gt_i16_e32 vcc_lo, 8, v5
	s_cbranch_vccnz .LBB151_481
; %bb.472:
	v_cmp_gt_i16_e32 vcc_lo, 9, v5
	s_cbranch_vccnz .LBB151_478
; %bb.473:
	v_cmp_lt_i16_e32 vcc_lo, 9, v5
	s_cbranch_vccz .LBB151_475
; %bb.474:
	s_and_b32 s0, s4, 0xff
	v_and_b32_e64 v8, 0xff, s4
	s_lshl_b32 s0, s0, 23
	s_delay_alu instid0(SALU_CYCLE_1) | instskip(SKIP_1) | instid1(VALU_DEP_2)
	v_cvt_f64_f32_e32 v[6:7], s0
	s_mov_b32 s0, 0
	v_cmp_ne_u16_e32 vcc_lo, 0xff, v8
	s_delay_alu instid0(VALU_DEP_2) | instskip(NEXT) | instid1(VALU_DEP_3)
	v_cndmask_b32_e32 v6, 0x20000000, v6, vcc_lo
	v_cndmask_b32_e32 v7, 0x7ff80000, v7, vcc_lo
	v_cmp_ne_u16_e32 vcc_lo, 0, v8
	s_delay_alu instid0(VALU_DEP_2) | instskip(NEXT) | instid1(VALU_DEP_1)
	v_dual_mov_b32 v8, 0 :: v_dual_cndmask_b32 v7, 0x38000000, v7
	v_dual_mov_b32 v9, v8 :: v_dual_cndmask_b32 v6, 0, v6
	global_store_b128 v[3:4], v[6:9], off
.LBB151_475:
	s_and_not1_b32 vcc_lo, exec_lo, s0
	s_cbranch_vccnz .LBB151_477
; %bb.476:
	v_and_b32_e64 v6, 0xff, s4
	s_and_b32 s1, s4, 0xff
	v_mov_b32_e32 v7, 0
	s_lshl_b32 s1, s1, 23
	s_delay_alu instid0(VALU_DEP_2) | instskip(SKIP_3) | instid1(VALU_DEP_1)
	v_cmp_ne_u16_e32 vcc_lo, 0xff, v6
	v_cmp_ne_u16_e64 s0, 0, v6
	s_and_b32 s8, vcc_lo, exec_lo
	s_cselect_b32 s1, s1, 0x7f800001
	s_and_b32 s0, s0, exec_lo
	s_cselect_b32 s0, s1, 0x400000
	s_delay_alu instid0(SALU_CYCLE_1)
	v_mov_b32_e32 v6, s0
	global_store_b64 v[3:4], v[6:7], off
.LBB151_477:
	s_mov_b32 s0, 0
.LBB151_478:
	s_delay_alu instid0(SALU_CYCLE_1)
	s_and_not1_b32 vcc_lo, exec_lo, s0
	s_cbranch_vccnz .LBB151_480
; %bb.479:
	s_and_b32 s0, s4, 0xff
	v_and_b32_e64 v7, 0xff, s4
	s_lshl_b32 s0, s0, 23
	s_delay_alu instid0(SALU_CYCLE_1) | instskip(NEXT) | instid1(VALU_DEP_2)
	v_cvt_f16_f32_e32 v6, s0
	v_cmp_ne_u16_e32 vcc_lo, 0xff, v7
	s_delay_alu instid0(VALU_DEP_2) | instskip(NEXT) | instid1(VALU_DEP_1)
	v_and_b32_e32 v6, 0xffff, v6
	v_cndmask_b32_e32 v6, 0x7e00, v6, vcc_lo
	v_cmp_ne_u16_e32 vcc_lo, 0, v7
	s_delay_alu instid0(VALU_DEP_2)
	v_cndmask_b32_e32 v6, 0, v6, vcc_lo
	global_store_b32 v[3:4], v6, off
.LBB151_480:
	s_mov_b32 s0, 0
.LBB151_481:
	s_delay_alu instid0(SALU_CYCLE_1)
	s_and_not1_b32 vcc_lo, exec_lo, s0
	s_cbranch_vccnz .LBB151_490
; %bb.482:
	v_cmp_gt_i16_e32 vcc_lo, 6, v5
	s_mov_b32 s0, -1
	s_cbranch_vccnz .LBB151_488
; %bb.483:
	v_cmp_lt_i16_e32 vcc_lo, 6, v5
	s_cbranch_vccz .LBB151_485
; %bb.484:
	s_and_b32 s0, s4, 0xff
	v_and_b32_e64 v8, 0xff, s4
	s_lshl_b32 s0, s0, 23
	s_delay_alu instid0(SALU_CYCLE_1) | instskip(SKIP_1) | instid1(VALU_DEP_2)
	v_cvt_f64_f32_e32 v[6:7], s0
	s_mov_b32 s0, 0
	v_cmp_ne_u16_e32 vcc_lo, 0xff, v8
	s_delay_alu instid0(VALU_DEP_2) | instskip(NEXT) | instid1(VALU_DEP_3)
	v_cndmask_b32_e32 v6, 0x20000000, v6, vcc_lo
	v_cndmask_b32_e32 v7, 0x7ff80000, v7, vcc_lo
	v_cmp_ne_u16_e32 vcc_lo, 0, v8
	s_delay_alu instid0(VALU_DEP_2) | instskip(NEXT) | instid1(VALU_DEP_4)
	v_cndmask_b32_e32 v7, 0x38000000, v7, vcc_lo
	v_cndmask_b32_e32 v6, 0, v6, vcc_lo
	global_store_b64 v[3:4], v[6:7], off
.LBB151_485:
	s_and_not1_b32 vcc_lo, exec_lo, s0
	s_cbranch_vccnz .LBB151_487
; %bb.486:
	v_and_b32_e64 v6, 0xff, s4
	s_and_b32 s0, s4, 0xff
	s_delay_alu instid0(SALU_CYCLE_1) | instskip(NEXT) | instid1(SALU_CYCLE_1)
	s_lshl_b32 s0, s0, 23
	v_mov_b32_e32 v7, s0
	s_delay_alu instid0(VALU_DEP_2) | instskip(NEXT) | instid1(VALU_DEP_2)
	v_cmp_ne_u16_e32 vcc_lo, 0xff, v6
	v_cndmask_b32_e32 v7, 0x7f800001, v7, vcc_lo
	v_cmp_ne_u16_e32 vcc_lo, 0, v6
	s_delay_alu instid0(VALU_DEP_2)
	v_cndmask_b32_e32 v6, 0x400000, v7, vcc_lo
	global_store_b32 v[3:4], v6, off
.LBB151_487:
	s_mov_b32 s0, 0
.LBB151_488:
	s_delay_alu instid0(SALU_CYCLE_1)
	s_and_not1_b32 vcc_lo, exec_lo, s0
	s_cbranch_vccnz .LBB151_490
; %bb.489:
	v_and_b32_e64 v6, 0xff, s4
	s_and_b32 s0, s4, 0xff
	s_delay_alu instid0(SALU_CYCLE_1) | instskip(NEXT) | instid1(SALU_CYCLE_1)
	s_lshl_b32 s0, s0, 23
	v_cvt_f16_f32_e32 v7, s0
	s_delay_alu instid0(VALU_DEP_2) | instskip(NEXT) | instid1(VALU_DEP_2)
	v_cmp_ne_u16_e32 vcc_lo, 0xff, v6
	v_cndmask_b32_e32 v7, 0x7e00, v7, vcc_lo
	v_cmp_ne_u16_e32 vcc_lo, 0, v6
	s_delay_alu instid0(VALU_DEP_2)
	v_cndmask_b32_e32 v6, 0, v7, vcc_lo
	global_store_b16 v[3:4], v6, off
.LBB151_490:
	s_mov_b32 s0, 0
.LBB151_491:
	s_delay_alu instid0(SALU_CYCLE_1)
	s_and_not1_b32 vcc_lo, exec_lo, s0
	s_cbranch_vccnz .LBB151_507
; %bb.492:
	v_cmp_gt_i16_e32 vcc_lo, 2, v5
	s_mov_b32 s0, -1
	s_cbranch_vccnz .LBB151_502
; %bb.493:
	v_cmp_gt_i16_e32 vcc_lo, 3, v5
	s_cbranch_vccnz .LBB151_499
; %bb.494:
	v_cmp_lt_i16_e32 vcc_lo, 3, v5
	s_cbranch_vccz .LBB151_496
; %bb.495:
	s_and_b32 s0, s4, 0xff
	v_and_b32_e64 v9, 0xff, s4
	s_lshl_b32 s0, s0, 23
	s_delay_alu instid0(SALU_CYCLE_1) | instskip(SKIP_1) | instid1(VALU_DEP_1)
	v_trunc_f32_e32 v6, s0
	s_mov_b32 s0, 0
	v_mul_f32_e64 v7, 0x2f800000, |v6|
	s_delay_alu instid0(VALU_DEP_1) | instskip(NEXT) | instid1(VALU_DEP_1)
	v_floor_f32_e32 v7, v7
	v_fma_f32 v8, 0xcf800000, v7, |v6|
	v_ashrrev_i32_e32 v6, 31, v6
	v_cvt_u32_f32_e32 v7, v7
	s_delay_alu instid0(VALU_DEP_3) | instskip(NEXT) | instid1(VALU_DEP_2)
	v_cvt_u32_f32_e32 v8, v8
	v_xor_b32_e32 v7, v7, v6
	s_delay_alu instid0(VALU_DEP_2) | instskip(NEXT) | instid1(VALU_DEP_1)
	v_xor_b32_e32 v8, v8, v6
	v_sub_co_u32 v8, vcc_lo, v8, v6
	s_delay_alu instid0(VALU_DEP_3) | instskip(SKIP_1) | instid1(VALU_DEP_2)
	v_sub_co_ci_u32_e32 v6, vcc_lo, v7, v6, vcc_lo
	v_cmp_ne_u16_e32 vcc_lo, 0, v9
	v_dual_cndmask_b32 v7, 0, v6 :: v_dual_cndmask_b32 v6, 0, v8
	global_store_b64 v[3:4], v[6:7], off
.LBB151_496:
	s_and_not1_b32 vcc_lo, exec_lo, s0
	s_cbranch_vccnz .LBB151_498
; %bb.497:
	v_and_b32_e64 v6, 0xff, s4
	s_and_b32 s0, s4, 0xff
	s_delay_alu instid0(SALU_CYCLE_1) | instskip(NEXT) | instid1(SALU_CYCLE_1)
	s_lshl_b32 s0, s0, 23
	v_cvt_i32_f32_e32 v7, s0
	s_delay_alu instid0(VALU_DEP_2) | instskip(NEXT) | instid1(VALU_DEP_2)
	v_cmp_ne_u16_e32 vcc_lo, 0, v6
	v_cndmask_b32_e32 v6, 0, v7, vcc_lo
	global_store_b32 v[3:4], v6, off
.LBB151_498:
	s_mov_b32 s0, 0
.LBB151_499:
	s_delay_alu instid0(SALU_CYCLE_1)
	s_and_not1_b32 vcc_lo, exec_lo, s0
	s_cbranch_vccnz .LBB151_501
; %bb.500:
	v_and_b32_e64 v6, 0xff, s4
	s_and_b32 s0, s4, 0xff
	s_delay_alu instid0(SALU_CYCLE_1) | instskip(NEXT) | instid1(SALU_CYCLE_1)
	s_lshl_b32 s0, s0, 23
	v_cvt_i32_f32_e32 v7, s0
	s_delay_alu instid0(VALU_DEP_2) | instskip(NEXT) | instid1(VALU_DEP_2)
	v_cmp_ne_u16_e32 vcc_lo, 0, v6
	v_cndmask_b32_e32 v6, 0, v7, vcc_lo
	global_store_b16 v[3:4], v6, off
.LBB151_501:
	s_mov_b32 s0, 0
.LBB151_502:
	s_delay_alu instid0(SALU_CYCLE_1)
	s_and_not1_b32 vcc_lo, exec_lo, s0
	s_cbranch_vccnz .LBB151_507
; %bb.503:
	v_cmp_lt_i16_e32 vcc_lo, 0, v5
	s_mov_b32 s0, -1
	s_cbranch_vccz .LBB151_505
; %bb.504:
	v_and_b32_e64 v6, 0xff, s4
	s_and_b32 s0, s4, 0xff
	s_delay_alu instid0(SALU_CYCLE_1) | instskip(NEXT) | instid1(SALU_CYCLE_1)
	s_lshl_b32 s0, s0, 23
	v_cvt_i32_f32_e32 v7, s0
	s_delay_alu instid0(VALU_DEP_2) | instskip(SKIP_1) | instid1(VALU_DEP_2)
	v_cmp_ne_u16_e32 vcc_lo, 0, v6
	s_mov_b32 s0, 0
	v_cndmask_b32_e32 v6, 0, v7, vcc_lo
	global_store_b8 v[3:4], v6, off
.LBB151_505:
	s_and_not1_b32 vcc_lo, exec_lo, s0
	s_cbranch_vccnz .LBB151_507
; %bb.506:
	s_and_b32 s0, s4, 0xff
	v_and_b32_e64 v8, 0xff, s4
	s_lshl_b32 s0, s0, 23
	s_delay_alu instid0(SALU_CYCLE_1) | instskip(NEXT) | instid1(VALU_DEP_2)
	v_trunc_f32_e32 v6, s0
	v_cmp_ne_u16_e32 vcc_lo, 0, v8
	s_delay_alu instid0(VALU_DEP_2) | instskip(NEXT) | instid1(VALU_DEP_1)
	v_mul_f32_e64 v7, 0x2f800000, |v6|
	v_floor_f32_e32 v7, v7
	s_delay_alu instid0(VALU_DEP_1) | instskip(SKIP_1) | instid1(VALU_DEP_2)
	v_fma_f32 v7, 0xcf800000, v7, |v6|
	v_ashrrev_i32_e32 v6, 31, v6
	v_cvt_u32_f32_e32 v7, v7
	s_delay_alu instid0(VALU_DEP_1) | instskip(NEXT) | instid1(VALU_DEP_1)
	v_xor_b32_e32 v7, v7, v6
	v_sub_nc_u32_e32 v6, v7, v6
	s_delay_alu instid0(VALU_DEP_1)
	v_cndmask_b32_e32 v6, 0, v6, vcc_lo
	global_store_b8 v[3:4], v6, off
.LBB151_507:
	s_mov_b32 s0, -1
.LBB151_508:
	s_delay_alu instid0(SALU_CYCLE_1)
	s_and_not1_b32 vcc_lo, exec_lo, s0
	s_cbranch_vccnz .LBB151_915
; %bb.509:
	v_cmp_gt_i16_e32 vcc_lo, 11, v5
	v_add_co_u32 v2, s1, s2, v2
	s_delay_alu instid0(VALU_DEP_1)
	v_add_co_ci_u32_e64 v3, null, s3, 0, s1
	s_mov_b32 s0, 0
	s_mov_b32 s1, -1
	s_cbranch_vccnz .LBB151_720
; %bb.510:
	v_cmp_lt_i16_e32 vcc_lo, 25, v5
	s_mov_b32 s9, 0
	s_mov_b32 s8, 0
	s_cbranch_vccz .LBB151_547
; %bb.511:
	v_cmp_lt_i16_e32 vcc_lo, 28, v5
	s_cbranch_vccz .LBB151_524
; %bb.512:
	v_cmp_lt_i16_e32 vcc_lo, 43, v5
	;; [unrolled: 3-line block ×3, first 2 shown]
	s_cbranch_vccz .LBB151_516
; %bb.514:
	v_cmp_eq_u16_e32 vcc_lo, 46, v5
	s_mov_b32 s8, -1
	s_mov_b32 s1, 0
	s_cbranch_vccz .LBB151_516
; %bb.515:
	v_and_b32_e64 v4, 0xff, s4
	s_and_b32 s0, s4, 0xff
	s_mov_b32 s8, 0
	s_lshl_b32 s0, s0, 23
	s_delay_alu instid0(SALU_CYCLE_1) | instskip(SKIP_2) | instid1(VALU_DEP_2)
	v_mov_b32_e32 v6, s0
	v_cmp_ne_u16_e32 vcc_lo, 0xff, v4
	s_mov_b32 s0, -1
	v_cndmask_b32_e32 v6, 0x7f800001, v6, vcc_lo
	v_cmp_ne_u16_e32 vcc_lo, 0, v4
	s_delay_alu instid0(VALU_DEP_2) | instskip(NEXT) | instid1(VALU_DEP_1)
	v_cndmask_b32_e32 v4, 0x400000, v6, vcc_lo
	v_add_nc_u32_e32 v6, 0x7fff, v4
	v_cmp_o_f32_e32 vcc_lo, v4, v4
	s_delay_alu instid0(VALU_DEP_2) | instskip(NEXT) | instid1(VALU_DEP_1)
	v_lshrrev_b32_e32 v6, 16, v6
	v_cndmask_b32_e32 v4, 0x7fc0, v6, vcc_lo
	global_store_b32 v[2:3], v4, off
.LBB151_516:
	s_and_b32 vcc_lo, exec_lo, s1
	s_cbranch_vccz .LBB151_519
; %bb.517:
	v_cmp_eq_u16_e32 vcc_lo, 44, v5
	s_mov_b32 s8, -1
	s_cbranch_vccz .LBB151_519
; %bb.518:
	v_mov_b32_e32 v4, s4
	s_mov_b32 s8, 0
	s_mov_b32 s0, -1
	global_store_b8 v[2:3], v4, off
.LBB151_519:
	s_mov_b32 s1, 0
.LBB151_520:
	s_delay_alu instid0(SALU_CYCLE_1)
	s_and_b32 vcc_lo, exec_lo, s1
	s_cbranch_vccz .LBB151_523
; %bb.521:
	v_cmp_eq_u16_e32 vcc_lo, 29, v5
	s_mov_b32 s8, -1
	s_cbranch_vccz .LBB151_523
; %bb.522:
	s_and_b32 s0, s4, 0xff
	v_and_b32_e64 v7, 0xff, s4
	s_lshl_b32 s0, s0, 23
	s_mov_b32 s8, 0
	v_trunc_f32_e32 v4, s0
	s_mov_b32 s0, -1
	v_cmp_ne_u16_e32 vcc_lo, 0, v7
	s_delay_alu instid0(VALU_DEP_2) | instskip(NEXT) | instid1(VALU_DEP_1)
	v_mul_f32_e32 v6, 0x2f800000, v4
	v_floor_f32_e32 v6, v6
	s_delay_alu instid0(VALU_DEP_1) | instskip(SKIP_1) | instid1(VALU_DEP_1)
	v_fmamk_f32 v4, v6, 0xcf800000, v4
	v_cvt_u32_f32_e32 v6, v6
	v_cndmask_b32_e32 v7, 0, v6, vcc_lo
	s_delay_alu instid0(VALU_DEP_3) | instskip(NEXT) | instid1(VALU_DEP_1)
	v_cvt_u32_f32_e32 v4, v4
	v_cndmask_b32_e32 v6, 0, v4, vcc_lo
	global_store_b64 v[2:3], v[6:7], off
.LBB151_523:
	s_mov_b32 s1, 0
.LBB151_524:
	s_delay_alu instid0(SALU_CYCLE_1)
	s_and_b32 vcc_lo, exec_lo, s1
	s_cbranch_vccz .LBB151_546
; %bb.525:
	v_cmp_gt_i16_e32 vcc_lo, 27, v5
	s_mov_b32 s0, -1
	s_cbranch_vccnz .LBB151_531
; %bb.526:
	v_cmp_lt_i16_e32 vcc_lo, 27, v5
	s_cbranch_vccz .LBB151_528
; %bb.527:
	v_and_b32_e64 v4, 0xff, s4
	s_and_b32 s0, s4, 0xff
	s_delay_alu instid0(SALU_CYCLE_1) | instskip(NEXT) | instid1(SALU_CYCLE_1)
	s_lshl_b32 s0, s0, 23
	v_cvt_u32_f32_e32 v6, s0
	s_delay_alu instid0(VALU_DEP_2) | instskip(SKIP_1) | instid1(VALU_DEP_2)
	v_cmp_ne_u16_e32 vcc_lo, 0, v4
	s_mov_b32 s0, 0
	v_cndmask_b32_e32 v4, 0, v6, vcc_lo
	global_store_b32 v[2:3], v4, off
.LBB151_528:
	s_and_not1_b32 vcc_lo, exec_lo, s0
	s_cbranch_vccnz .LBB151_530
; %bb.529:
	v_and_b32_e64 v4, 0xff, s4
	s_and_b32 s0, s4, 0xff
	s_delay_alu instid0(SALU_CYCLE_1) | instskip(NEXT) | instid1(SALU_CYCLE_1)
	s_lshl_b32 s0, s0, 23
	v_cvt_u32_f32_e32 v6, s0
	s_delay_alu instid0(VALU_DEP_2) | instskip(NEXT) | instid1(VALU_DEP_2)
	v_cmp_ne_u16_e32 vcc_lo, 0, v4
	v_cndmask_b32_e32 v4, 0, v6, vcc_lo
	global_store_b16 v[2:3], v4, off
.LBB151_530:
	s_mov_b32 s0, 0
.LBB151_531:
	s_delay_alu instid0(SALU_CYCLE_1)
	s_and_not1_b32 vcc_lo, exec_lo, s0
	s_cbranch_vccnz .LBB151_545
; %bb.532:
	v_and_b32_e64 v4, 0xff, s4
	v_mov_b32_e32 v6, 0x7f800001
	s_and_b32 s0, s4, 0xff
	v_mov_b32_e32 v7, 0x80
	s_lshl_b32 s11, s0, 23
	v_cmp_eq_u16_e64 s1, 0xff, v4
	v_cmp_eq_u16_e64 s0, 0, v4
	s_mov_b32 s10, 0
	s_delay_alu instid0(VALU_DEP_2) | instskip(NEXT) | instid1(VALU_DEP_1)
	v_cndmask_b32_e64 v6, |s11|, v6, s1
	v_cndmask_b32_e64 v4, v6, 0x400000, s0
	s_delay_alu instid0(VALU_DEP_1)
	v_cmp_lt_u32_e32 vcc_lo, 0x437fffff, v4
	s_cbranch_vccnz .LBB151_544
; %bb.533:
	v_cmp_lt_u32_e32 vcc_lo, 0x3bffffff, v4
	s_cbranch_vccz .LBB151_539
; %bb.534:
	s_add_i32 s10, s11, 0x487ffff
	s_mov_b32 s11, 0
	s_lshr_b32 s10, s10, 20
	s_and_b32 s1, s1, exec_lo
	s_cselect_b32 s1, 0x840, s10
	s_and_b32 s0, s0, exec_lo
	s_cselect_b32 s0, 0x4c, s1
	s_mov_b32 s10, -1
	s_branch .LBB151_540
.LBB151_535:
	s_cbranch_execnz .LBB151_537
; %bb.536:
	s_or_b32 s5, s6, exec_lo
	s_cbranch_execz .LBB151_467
	s_branch .LBB151_468
.LBB151_537:
	s_trap 2
	s_sendmsg_rtn_b32 s0, sendmsg(MSG_RTN_GET_DOORBELL)
	s_mov_b32 ttmp2, m0
	s_waitcnt lgkmcnt(0)
	s_and_b32 s0, s0, 0x3ff
	s_delay_alu instid0(SALU_CYCLE_1) | instskip(NEXT) | instid1(SALU_CYCLE_1)
	s_bitset1_b32 s0, 10
	s_mov_b32 m0, s0
	s_sendmsg sendmsg(MSG_INTERRUPT)
	s_mov_b32 m0, ttmp2
.LBB151_538:                            ; =>This Inner Loop Header: Depth=1
	s_sethalt 5
	s_branch .LBB151_538
.LBB151_539:
	s_mov_b32 s11, -1
                                        ; implicit-def: $sgpr0
.LBB151_540:
	v_mov_b32_e32 v6, s0
	s_and_not1_b32 vcc_lo, exec_lo, s11
                                        ; implicit-def: $sgpr0
	s_cbranch_vccnz .LBB151_542
; %bb.541:
	v_add_f32_e32 v4, 0x46000000, v4
	s_mov_b32 s0, 0
	s_delay_alu instid0(VALU_DEP_1) | instskip(NEXT) | instid1(VALU_DEP_1)
	v_and_b32_e32 v6, 0xff, v4
	v_cmp_ne_u32_e64 s10, 0, v6
.LBB151_542:
	v_mov_b32_e32 v7, s0
	s_delay_alu instid0(VALU_DEP_2)
	s_and_not1_b32 vcc_lo, exec_lo, s10
	s_cbranch_vccnz .LBB151_544
; %bb.543:
	v_mov_b32_e32 v7, v6
.LBB151_544:
	global_store_b8 v[2:3], v7, off
.LBB151_545:
	s_mov_b32 s0, -1
.LBB151_546:
	s_mov_b32 s1, 0
.LBB151_547:
	s_delay_alu instid0(SALU_CYCLE_1)
	s_and_b32 vcc_lo, exec_lo, s1
	s_cbranch_vccz .LBB151_716
; %bb.548:
	v_cmp_lt_i16_e32 vcc_lo, 22, v5
	s_mov_b32 s1, -1
	s_cbranch_vccz .LBB151_709
; %bb.549:
	v_cmp_gt_i16_e32 vcc_lo, 24, v5
	s_mov_b32 s0, -1
	s_cbranch_vccnz .LBB151_696
; %bb.550:
	v_cmp_lt_i16_e32 vcc_lo, 24, v5
	s_mov_b32 s9, -1
	s_cbranch_vccz .LBB151_683
; %bb.551:
	v_and_b32_e64 v4, 0xff, s4
	v_mov_b32_e32 v6, 0x7f800001
	s_and_b32 s0, s4, 0xff
	v_mov_b32_e32 v7, 0x80
	s_lshl_b32 s10, s0, 23
	v_cmp_eq_u16_e64 s1, 0xff, v4
	v_cmp_eq_u16_e64 s0, 0, v4
	s_mov_b32 s9, 0
	s_delay_alu instid0(VALU_DEP_2) | instskip(NEXT) | instid1(VALU_DEP_1)
	v_cndmask_b32_e64 v6, |s10|, v6, s1
	v_cndmask_b32_e64 v4, v6, 0x400000, s0
	s_delay_alu instid0(VALU_DEP_1)
	v_cmp_lt_u32_e32 vcc_lo, 0x477fffff, v4
	s_cbranch_vccnz .LBB151_682
; %bb.552:
	v_cmp_lt_u32_e32 vcc_lo, 0x37ffffff, v4
	s_cbranch_vccz .LBB151_677
; %bb.553:
	s_add_i32 s11, s10, 0x88fffff
	s_mov_b32 s10, 0
	s_lshr_b32 s11, s11, 21
	s_and_b32 s1, s1, exec_lo
	s_cselect_b32 s1, 0x440, s11
	s_and_b32 s0, s0, exec_lo
	s_cselect_b32 s1, 0x46, s1
	s_mov_b32 s0, -1
	s_branch .LBB151_678
.LBB151_554:
	s_mov_b32 s12, s46
.LBB151_555:
	s_and_b32 vcc_lo, exec_lo, s26
	s_cbranch_vccz .LBB151_558
; %bb.556:
	v_cmp_eq_u16_e32 vcc_lo, 44, v10
	s_mov_b32 s12, -1
	s_cbranch_vccz .LBB151_558
; %bb.557:
	v_mov_b32_e32 v2, s39
	s_mov_b32 s13, -1
	s_mov_b32 s12, 0
	global_store_b8 v[8:9], v2, off
.LBB151_558:
	s_mov_b32 s26, 0
.LBB151_559:
	s_delay_alu instid0(SALU_CYCLE_1)
	s_and_b32 vcc_lo, exec_lo, s26
	s_cbranch_vccz .LBB151_562
; %bb.560:
	v_cmp_eq_u16_e32 vcc_lo, 29, v10
	s_mov_b32 s12, -1
	s_cbranch_vccz .LBB151_562
; %bb.561:
	s_mov_b32 s13, -1
	s_mov_b32 s12, 0
	global_store_b64 v[8:9], v[6:7], off
.LBB151_562:
	s_mov_b32 s26, 0
.LBB151_563:
	s_delay_alu instid0(SALU_CYCLE_1)
	s_and_b32 vcc_lo, exec_lo, s26
	s_cbranch_vccz .LBB151_576
; %bb.564:
	v_cmp_gt_i16_e32 vcc_lo, 27, v10
	s_mov_b32 s13, -1
	s_cbranch_vccnz .LBB151_570
; %bb.565:
	v_cmp_lt_i16_e32 vcc_lo, 27, v10
	s_cbranch_vccz .LBB151_567
; %bb.566:
	s_mov_b32 s13, 0
	global_store_b32 v[8:9], v24, off
.LBB151_567:
	s_and_not1_b32 vcc_lo, exec_lo, s13
	s_cbranch_vccnz .LBB151_569
; %bb.568:
	global_store_b16 v[8:9], v24, off
.LBB151_569:
	s_mov_b32 s13, 0
.LBB151_570:
	s_delay_alu instid0(SALU_CYCLE_1)
	s_and_not1_b32 vcc_lo, exec_lo, s13
	s_cbranch_vccnz .LBB151_575
; %bb.571:
	v_mov_b32_e32 v2, 0x80
	s_and_not1_b32 vcc_lo, exec_lo, s10
	s_cbranch_vccnz .LBB151_574
; %bb.572:
	v_mov_b32_e32 v2, 0
	s_or_b32 s13, s9, s11
	s_delay_alu instid0(SALU_CYCLE_1)
	s_and_not1_b32 vcc_lo, exec_lo, s13
	s_cbranch_vccnz .LBB151_574
; %bb.573:
	v_cndmask_b32_e64 v2, v23, s38, s9
.LBB151_574:
	global_store_b8 v[8:9], v2, off
.LBB151_575:
	s_mov_b32 s13, -1
.LBB151_576:
	s_mov_b32 s26, 0
.LBB151_577:
	s_delay_alu instid0(SALU_CYCLE_1)
	s_and_b32 vcc_lo, exec_lo, s26
	s_cbranch_vccz .LBB151_599
; %bb.578:
	v_cmp_lt_i16_e32 vcc_lo, 22, v10
	s_mov_b32 s26, -1
	s_cbranch_vccz .LBB151_591
; %bb.579:
	v_cmp_gt_i16_e32 vcc_lo, 24, v10
	s_mov_b32 s13, -1
	s_cbranch_vccnz .LBB151_588
; %bb.580:
	v_cmp_lt_i16_e32 vcc_lo, 24, v10
	s_cbranch_vccz .LBB151_585
; %bb.581:
	v_mov_b32_e32 v2, 0x80
	s_and_not1_b32 vcc_lo, exec_lo, s7
	s_cbranch_vccnz .LBB151_584
; %bb.582:
	v_mov_b32_e32 v2, 0
	s_or_b32 s13, s6, s8
	s_delay_alu instid0(SALU_CYCLE_1)
	s_and_not1_b32 vcc_lo, exec_lo, s13
	s_cbranch_vccnz .LBB151_584
; %bb.583:
	v_cndmask_b32_e64 v2, v19, s36, s6
.LBB151_584:
	s_mov_b32 s13, 0
	global_store_b8 v[8:9], v2, off
.LBB151_585:
	s_and_b32 vcc_lo, exec_lo, s13
	s_cbranch_vccz .LBB151_587
; %bb.586:
	v_cndmask_b32_e64 v2, s35, v18, s5
	s_delay_alu instid0(VALU_DEP_1)
	v_cndmask_b32_e64 v2, v2, v22, s3
	global_store_b8 v[8:9], v2, off
.LBB151_587:
	s_mov_b32 s13, 0
.LBB151_588:
	s_delay_alu instid0(SALU_CYCLE_1)
	s_and_not1_b32 vcc_lo, exec_lo, s13
	s_cbranch_vccnz .LBB151_590
; %bb.589:
	v_cndmask_b32_e64 v2, s37, v20, s4
	s_delay_alu instid0(VALU_DEP_1)
	v_cndmask_b32_e64 v2, v2, v21, s2
	global_store_b8 v[8:9], v2, off
.LBB151_590:
	s_mov_b32 s26, 0
	s_mov_b32 s13, -1
.LBB151_591:
	s_and_not1_b32 vcc_lo, exec_lo, s26
	s_cbranch_vccnz .LBB151_599
; %bb.592:
	v_cmp_lt_i16_e32 vcc_lo, 14, v10
	s_mov_b32 s26, -1
	s_cbranch_vccz .LBB151_596
; %bb.593:
	v_cmp_eq_u16_e32 vcc_lo, 15, v10
	s_mov_b32 s12, -1
	s_cbranch_vccz .LBB151_595
; %bb.594:
	s_mov_b32 s13, -1
	s_mov_b32 s12, 0
	global_store_b16 v[8:9], v17, off
.LBB151_595:
	s_mov_b32 s26, 0
.LBB151_596:
	s_delay_alu instid0(SALU_CYCLE_1)
	s_and_b32 vcc_lo, exec_lo, s26
	s_cbranch_vccz .LBB151_599
; %bb.597:
	v_cmp_eq_u16_e32 vcc_lo, 11, v10
	s_mov_b32 s12, -1
	s_cbranch_vccz .LBB151_599
; %bb.598:
	v_mov_b32_e32 v2, 1
	s_mov_b32 s13, -1
	s_mov_b32 s12, 0
	global_store_b8 v[8:9], v2, off
.LBB151_599:
.LBB151_600:
	s_and_not1_b32 vcc_lo, exec_lo, s13
	s_cbranch_vccnz .LBB151_422
.LBB151_601:
	v_add_nc_u32_e32 v14, 0x80, v14
	s_mov_b32 s13, -1
.LBB151_602:
	s_and_not1_b32 s26, s46, exec_lo
	s_and_b32 s12, s12, exec_lo
	s_or_not1_b32 s49, s13, exec_lo
	s_or_b32 s26, s26, s12
.LBB151_603:
	s_or_b32 exec_lo, exec_lo, s48
	s_mov_b32 s12, 0
	s_mov_b32 s13, 0
                                        ; implicit-def: $vgpr8_vgpr9
	s_and_saveexec_b32 s27, s49
	s_cbranch_execz .LBB151_671
; %bb.604:
	v_cmp_gt_i32_e32 vcc_lo, s41, v14
	s_mov_b32 s48, s26
                                        ; implicit-def: $vgpr8_vgpr9
	s_and_saveexec_b32 s41, vcc_lo
	s_cbranch_execz .LBB151_670
; %bb.605:
	s_and_not1_b32 vcc_lo, exec_lo, s31
	s_cbranch_vccnz .LBB151_610
; %bb.606:
	v_mov_b32_e32 v2, 0
	s_and_not1_b32 vcc_lo, exec_lo, s43
	s_cbranch_vccnz .LBB151_615
; %bb.607:
	s_add_i32 s43, s42, 1
	s_cmp_eq_u32 s29, 2
	s_mov_b32 s42, 0
	s_cbranch_scc1 .LBB151_611
; %bb.608:
	v_dual_mov_b32 v2, 0 :: v_dual_mov_b32 v3, v14
	s_and_b32 s42, s43, 28
	s_mov_b32 s48, 0
	s_mov_b64 s[12:13], s[0:1]
.LBB151_609:                            ; =>This Inner Loop Header: Depth=1
	s_clause 0x1
	s_load_b256 s[52:59], s[12:13], 0x4
	s_load_b128 s[60:63], s[12:13], 0x24
	s_load_b128 s[64:67], s[24:25], 0x0
	s_add_u32 s12, s12, 48
	s_addc_u32 s13, s13, 0
	s_add_i32 s48, s48, 4
	s_add_u32 s24, s24, 16
	s_addc_u32 s25, s25, 0
	s_cmp_eq_u32 s42, s48
	s_waitcnt lgkmcnt(0)
	v_mul_hi_u32 v8, s53, v3
	s_delay_alu instid0(VALU_DEP_1) | instskip(NEXT) | instid1(VALU_DEP_1)
	v_add_nc_u32_e32 v8, v3, v8
	v_lshrrev_b32_e32 v8, s54, v8
	s_delay_alu instid0(VALU_DEP_1) | instskip(SKIP_1) | instid1(VALU_DEP_2)
	v_mul_hi_u32 v9, s56, v8
	v_mul_lo_u32 v27, v8, s52
	v_add_nc_u32_e32 v9, v8, v9
	s_delay_alu instid0(VALU_DEP_2) | instskip(NEXT) | instid1(VALU_DEP_2)
	v_sub_nc_u32_e32 v27, v3, v27
	v_lshrrev_b32_e32 v9, s57, v9
	s_delay_alu instid0(VALU_DEP_2) | instskip(NEXT) | instid1(VALU_DEP_2)
	v_mul_lo_u32 v27, v27, s64
	v_mul_hi_u32 v25, s59, v9
	v_mul_lo_u32 v28, v9, s55
	s_delay_alu instid0(VALU_DEP_2) | instskip(NEXT) | instid1(VALU_DEP_2)
	v_add_nc_u32_e32 v25, v9, v25
	v_sub_nc_u32_e32 v8, v8, v28
	s_delay_alu instid0(VALU_DEP_2) | instskip(NEXT) | instid1(VALU_DEP_2)
	v_lshrrev_b32_e32 v25, s60, v25
	v_mul_lo_u32 v8, v8, s65
	s_delay_alu instid0(VALU_DEP_2) | instskip(NEXT) | instid1(VALU_DEP_2)
	v_mul_hi_u32 v26, s62, v25
	v_add3_u32 v2, v27, v2, v8
	s_delay_alu instid0(VALU_DEP_2) | instskip(NEXT) | instid1(VALU_DEP_1)
	v_add_nc_u32_e32 v26, v25, v26
	v_lshrrev_b32_e32 v3, s63, v26
	v_mul_lo_u32 v26, v25, s58
	s_delay_alu instid0(VALU_DEP_2) | instskip(NEXT) | instid1(VALU_DEP_2)
	v_mul_lo_u32 v29, v3, s61
	v_sub_nc_u32_e32 v9, v9, v26
	s_delay_alu instid0(VALU_DEP_2) | instskip(NEXT) | instid1(VALU_DEP_2)
	v_sub_nc_u32_e32 v25, v25, v29
	v_mul_lo_u32 v9, v9, s66
	s_delay_alu instid0(VALU_DEP_2) | instskip(NEXT) | instid1(VALU_DEP_1)
	v_mul_lo_u32 v25, v25, s67
	v_add3_u32 v2, v9, v2, v25
	s_cbranch_scc0 .LBB151_609
	s_branch .LBB151_612
.LBB151_610:
	s_mov_b32 s12, -1
                                        ; implicit-def: $vgpr2
	s_branch .LBB151_616
.LBB151_611:
	v_mov_b32_e32 v3, v14
.LBB151_612:
	s_and_b32 s43, s43, 3
	s_delay_alu instid0(SALU_CYCLE_1)
	s_cmp_eq_u32 s43, 0
	s_cbranch_scc1 .LBB151_615
; %bb.613:
	s_lshl_b32 s12, s42, 2
	s_mul_i32 s24, s42, 12
	s_add_u32 s12, s12, s0
	s_addc_u32 s13, s1, 0
	s_add_u32 s12, s12, 0xc4
	s_addc_u32 s13, s13, 0
	;; [unrolled: 2-line block ×3, first 2 shown]
.LBB151_614:                            ; =>This Inner Loop Header: Depth=1
	s_clause 0x1
	s_load_b64 s[48:49], s[24:25], 0x4
	s_load_b32 s42, s[24:25], 0xc
	s_add_u32 s24, s24, 12
	s_addc_u32 s25, s25, 0
	s_waitcnt lgkmcnt(0)
	v_mul_hi_u32 v8, s49, v3
	s_load_b32 s49, s[12:13], 0x0
	s_add_u32 s12, s12, 4
	s_addc_u32 s13, s13, 0
	s_add_i32 s43, s43, -1
	s_delay_alu instid0(SALU_CYCLE_1) | instskip(NEXT) | instid1(VALU_DEP_1)
	s_cmp_lg_u32 s43, 0
	v_add_nc_u32_e32 v8, v3, v8
	s_delay_alu instid0(VALU_DEP_1) | instskip(NEXT) | instid1(VALU_DEP_1)
	v_lshrrev_b32_e32 v25, s42, v8
	v_mul_lo_u32 v8, v25, s48
	s_delay_alu instid0(VALU_DEP_1) | instskip(SKIP_1) | instid1(VALU_DEP_1)
	v_sub_nc_u32_e32 v3, v3, v8
	s_waitcnt lgkmcnt(0)
	v_mad_u64_u32 v[8:9], null, v3, s49, v[2:3]
	s_delay_alu instid0(VALU_DEP_1)
	v_dual_mov_b32 v3, v25 :: v_dual_mov_b32 v2, v8
	s_cbranch_scc1 .LBB151_614
.LBB151_615:
	s_mov_b32 s12, 0
.LBB151_616:
	s_delay_alu instid0(SALU_CYCLE_1)
	s_and_not1_b32 vcc_lo, exec_lo, s12
	s_cbranch_vccnz .LBB151_619
; %bb.617:
	v_mul_hi_u32 v2, s17, v14
	s_and_not1_b32 vcc_lo, exec_lo, s40
	s_delay_alu instid0(VALU_DEP_1) | instskip(NEXT) | instid1(VALU_DEP_1)
	v_add_nc_u32_e32 v2, v14, v2
	v_lshrrev_b32_e32 v3, s18, v2
	s_delay_alu instid0(VALU_DEP_1) | instskip(NEXT) | instid1(VALU_DEP_1)
	v_mul_lo_u32 v2, v3, s16
	v_sub_nc_u32_e32 v2, v14, v2
	s_delay_alu instid0(VALU_DEP_1)
	v_mul_lo_u32 v2, v2, s20
	s_cbranch_vccnz .LBB151_619
; %bb.618:
	v_mul_hi_u32 v8, s22, v3
	s_delay_alu instid0(VALU_DEP_1) | instskip(NEXT) | instid1(VALU_DEP_1)
	v_add_nc_u32_e32 v8, v3, v8
	v_lshrrev_b32_e32 v8, s23, v8
	s_delay_alu instid0(VALU_DEP_1) | instskip(NEXT) | instid1(VALU_DEP_1)
	v_mul_lo_u32 v8, v8, s19
	v_sub_nc_u32_e32 v3, v3, v8
	s_delay_alu instid0(VALU_DEP_1) | instskip(NEXT) | instid1(VALU_DEP_1)
	v_mad_u64_u32 v[8:9], null, v3, s21, v[2:3]
	v_mov_b32_e32 v2, v8
.LBB151_619:
	v_cmp_gt_i16_e32 vcc_lo, 11, v10
	s_delay_alu instid0(VALU_DEP_2) | instskip(NEXT) | instid1(VALU_DEP_1)
	v_add_co_u32 v8, s12, s14, v2
	v_add_co_ci_u32_e64 v9, null, s15, 0, s12
	s_mov_b32 s16, 0
	s_mov_b32 s13, -1
	s_mov_b32 s12, s26
	s_cbranch_vccnz .LBB151_669
; %bb.620:
	v_cmp_lt_i16_e32 vcc_lo, 25, v10
	s_mov_b32 s12, s26
	s_cbranch_vccz .LBB151_648
; %bb.621:
	v_cmp_lt_i16_e32 vcc_lo, 28, v10
	s_mov_b32 s12, s26
	s_cbranch_vccz .LBB151_635
	;; [unrolled: 4-line block ×4, first 2 shown]
; %bb.624:
	v_cmp_eq_u16_e32 vcc_lo, 46, v10
	s_mov_b32 s12, -1
	s_cbranch_vccz .LBB151_626
; %bb.625:
	s_mov_b32 s12, 0
	global_store_b32 v[8:9], v17, off
.LBB151_626:
	s_mov_b32 s13, 0
.LBB151_627:
	s_delay_alu instid0(SALU_CYCLE_1)
	s_and_b32 vcc_lo, exec_lo, s13
	s_cbranch_vccz .LBB151_630
; %bb.628:
	v_cmp_eq_u16_e32 vcc_lo, 44, v10
	s_mov_b32 s12, -1
	s_cbranch_vccz .LBB151_630
; %bb.629:
	v_mov_b32_e32 v2, s39
	s_mov_b32 s12, 0
	global_store_b8 v[8:9], v2, off
.LBB151_630:
	s_mov_b32 s13, 0
.LBB151_631:
	s_delay_alu instid0(SALU_CYCLE_1)
	s_and_b32 vcc_lo, exec_lo, s13
	s_cbranch_vccz .LBB151_634
; %bb.632:
	v_cmp_eq_u16_e32 vcc_lo, 29, v10
	s_mov_b32 s12, -1
	s_cbranch_vccz .LBB151_634
; %bb.633:
	s_mov_b32 s12, 0
	global_store_b64 v[8:9], v[6:7], off
.LBB151_634:
	s_mov_b32 s13, 0
.LBB151_635:
	s_delay_alu instid0(SALU_CYCLE_1)
	s_and_b32 vcc_lo, exec_lo, s13
	s_cbranch_vccz .LBB151_647
; %bb.636:
	v_cmp_gt_i16_e32 vcc_lo, 27, v10
	s_mov_b32 s13, -1
	s_cbranch_vccnz .LBB151_642
; %bb.637:
	v_cmp_lt_i16_e32 vcc_lo, 27, v10
	s_cbranch_vccz .LBB151_639
; %bb.638:
	s_mov_b32 s13, 0
	global_store_b32 v[8:9], v24, off
.LBB151_639:
	s_and_not1_b32 vcc_lo, exec_lo, s13
	s_cbranch_vccnz .LBB151_641
; %bb.640:
	global_store_b16 v[8:9], v24, off
.LBB151_641:
	s_mov_b32 s13, 0
.LBB151_642:
	s_delay_alu instid0(SALU_CYCLE_1)
	s_and_not1_b32 vcc_lo, exec_lo, s13
	s_cbranch_vccnz .LBB151_647
; %bb.643:
	v_mov_b32_e32 v2, 0x80
	s_and_not1_b32 vcc_lo, exec_lo, s10
	s_cbranch_vccnz .LBB151_646
; %bb.644:
	v_mov_b32_e32 v2, 0
	s_or_b32 s10, s9, s11
	s_delay_alu instid0(SALU_CYCLE_1)
	s_and_not1_b32 vcc_lo, exec_lo, s10
	s_cbranch_vccnz .LBB151_646
; %bb.645:
	v_cndmask_b32_e64 v2, v23, s38, s9
.LBB151_646:
	global_store_b8 v[8:9], v2, off
.LBB151_647:
	s_mov_b32 s13, 0
.LBB151_648:
	s_delay_alu instid0(SALU_CYCLE_1)
	s_and_b32 vcc_lo, exec_lo, s13
	s_mov_b32 s13, 0
	s_cbranch_vccz .LBB151_669
; %bb.649:
	v_cmp_lt_i16_e32 vcc_lo, 22, v10
	s_mov_b32 s9, -1
	s_cbranch_vccz .LBB151_662
; %bb.650:
	v_cmp_gt_i16_e32 vcc_lo, 24, v10
	s_cbranch_vccnz .LBB151_659
; %bb.651:
	v_cmp_lt_i16_e32 vcc_lo, 24, v10
	s_cbranch_vccz .LBB151_656
; %bb.652:
	v_mov_b32_e32 v2, 0x80
	s_and_not1_b32 vcc_lo, exec_lo, s7
	s_cbranch_vccnz .LBB151_655
; %bb.653:
	v_mov_b32_e32 v2, 0
	s_or_b32 s7, s6, s8
	s_delay_alu instid0(SALU_CYCLE_1)
	s_and_not1_b32 vcc_lo, exec_lo, s7
	s_cbranch_vccnz .LBB151_655
; %bb.654:
	v_cndmask_b32_e64 v2, v19, s36, s6
.LBB151_655:
	s_mov_b32 s9, 0
	global_store_b8 v[8:9], v2, off
.LBB151_656:
	s_and_b32 vcc_lo, exec_lo, s9
	s_cbranch_vccz .LBB151_658
; %bb.657:
	v_cndmask_b32_e64 v2, s35, v18, s5
	s_delay_alu instid0(VALU_DEP_1)
	v_cndmask_b32_e64 v2, v2, v22, s3
	global_store_b8 v[8:9], v2, off
.LBB151_658:
	s_mov_b32 s9, 0
.LBB151_659:
	s_delay_alu instid0(SALU_CYCLE_1)
	s_and_not1_b32 vcc_lo, exec_lo, s9
	s_cbranch_vccnz .LBB151_661
; %bb.660:
	v_cndmask_b32_e64 v2, s37, v20, s4
	s_delay_alu instid0(VALU_DEP_1)
	v_cndmask_b32_e64 v2, v2, v21, s2
	global_store_b8 v[8:9], v2, off
.LBB151_661:
	s_mov_b32 s9, 0
.LBB151_662:
	s_delay_alu instid0(SALU_CYCLE_1)
	s_and_not1_b32 vcc_lo, exec_lo, s9
	s_cbranch_vccnz .LBB151_669
; %bb.663:
	v_cmp_lt_i16_e32 vcc_lo, 14, v10
	s_mov_b32 s2, -1
	s_cbranch_vccz .LBB151_667
; %bb.664:
	v_cmp_eq_u16_e32 vcc_lo, 15, v10
	s_mov_b32 s12, -1
	s_cbranch_vccz .LBB151_666
; %bb.665:
	s_mov_b32 s12, 0
	global_store_b16 v[8:9], v17, off
.LBB151_666:
	s_mov_b32 s2, 0
.LBB151_667:
	s_delay_alu instid0(SALU_CYCLE_1)
	s_and_b32 vcc_lo, exec_lo, s2
	s_cbranch_vccz .LBB151_669
; %bb.668:
	v_cmp_ne_u16_e32 vcc_lo, 11, v10
	s_and_not1_b32 s2, s12, exec_lo
	s_mov_b32 s16, -1
	s_and_b32 s3, vcc_lo, exec_lo
	s_delay_alu instid0(SALU_CYCLE_1)
	s_or_b32 s12, s2, s3
.LBB151_669:
	s_and_not1_b32 s2, s26, exec_lo
	s_and_b32 s3, s12, exec_lo
	s_and_b32 s13, s13, exec_lo
	;; [unrolled: 1-line block ×3, first 2 shown]
	s_or_b32 s48, s2, s3
.LBB151_670:
	s_or_b32 exec_lo, exec_lo, s41
	s_delay_alu instid0(SALU_CYCLE_1)
	s_and_not1_b32 s2, s26, exec_lo
	s_and_b32 s3, s48, exec_lo
	s_and_b32 s13, s13, exec_lo
	;; [unrolled: 1-line block ×3, first 2 shown]
	s_or_b32 s26, s2, s3
.LBB151_671:
	s_or_b32 exec_lo, exec_lo, s27
	s_delay_alu instid0(SALU_CYCLE_1)
	s_and_not1_b32 s2, s46, exec_lo
	s_and_b32 s3, s26, exec_lo
	s_and_b32 s27, s13, exec_lo
	;; [unrolled: 1-line block ×3, first 2 shown]
	s_or_b32 s46, s2, s3
.LBB151_672:
	s_or_b32 exec_lo, exec_lo, s47
	s_delay_alu instid0(SALU_CYCLE_1)
	s_and_not1_b32 s2, s44, exec_lo
	s_and_b32 s3, s46, exec_lo
	s_and_b32 s12, s27, exec_lo
	;; [unrolled: 1-line block ×3, first 2 shown]
	s_or_b32 s44, s2, s3
	s_or_b32 exec_lo, exec_lo, s45
	s_mov_b32 s2, 0
	s_and_saveexec_b32 s3, s44
	s_cbranch_execz .LBB151_118
.LBB151_673:
	s_cbranch_execnz .LBB151_675
; %bb.674:
	s_mov_b32 s2, exec_lo
	s_and_not1_b32 s46, s46, exec_lo
	s_or_b32 exec_lo, exec_lo, s3
	s_and_saveexec_b32 s3, s46
	s_delay_alu instid0(SALU_CYCLE_1)
	s_xor_b32 s3, exec_lo, s3
	s_cbranch_execnz .LBB151_119
	s_branch .LBB151_120
.LBB151_675:
	s_trap 2
	s_sendmsg_rtn_b32 s0, sendmsg(MSG_RTN_GET_DOORBELL)
	s_mov_b32 ttmp2, m0
	s_waitcnt lgkmcnt(0)
	s_and_b32 s0, s0, 0x3ff
	s_delay_alu instid0(SALU_CYCLE_1) | instskip(NEXT) | instid1(SALU_CYCLE_1)
	s_bitset1_b32 s0, 10
	s_mov_b32 m0, s0
	s_sendmsg sendmsg(MSG_INTERRUPT)
	s_mov_b32 m0, ttmp2
.LBB151_676:                            ; =>This Inner Loop Header: Depth=1
	s_sethalt 5
	s_branch .LBB151_676
.LBB151_677:
	s_mov_b32 s10, -1
	s_mov_b32 s0, 0
                                        ; implicit-def: $sgpr1
.LBB151_678:
	v_mov_b32_e32 v6, s1
	s_and_not1_b32 vcc_lo, exec_lo, s10
                                        ; implicit-def: $sgpr1
	s_cbranch_vccnz .LBB151_680
; %bb.679:
	v_add_f32_e32 v4, 0x42800000, v4
	s_mov_b32 s1, 0
	s_delay_alu instid0(VALU_DEP_1) | instskip(NEXT) | instid1(VALU_DEP_1)
	v_and_b32_e32 v6, 0xff, v4
	v_cmp_ne_u32_e64 s0, 0, v6
.LBB151_680:
	v_mov_b32_e32 v7, s1
	s_delay_alu instid0(VALU_DEP_2)
	s_and_not1_b32 vcc_lo, exec_lo, s0
	s_cbranch_vccnz .LBB151_682
; %bb.681:
	v_mov_b32_e32 v7, v6
.LBB151_682:
	global_store_b8 v[2:3], v7, off
.LBB151_683:
	s_and_b32 vcc_lo, exec_lo, s9
	s_cbranch_vccz .LBB151_695
; %bb.684:
	v_and_b32_e64 v4, 0xff, s4
	v_mov_b32_e32 v6, 0x7f800001
	s_and_b32 s0, s4, 0xff
	s_delay_alu instid0(SALU_CYCLE_1) | instskip(NEXT) | instid1(VALU_DEP_2)
	s_lshl_b32 s9, s0, 23
	v_cmp_eq_u16_e64 s1, 0xff, v4
	v_cmp_eq_u16_e64 s0, 0, v4
	s_delay_alu instid0(VALU_DEP_2) | instskip(NEXT) | instid1(VALU_DEP_1)
	v_cndmask_b32_e64 v6, |s9|, v6, s1
	v_cndmask_b32_e64 v4, v6, 0x400000, s0
	s_delay_alu instid0(VALU_DEP_1)
	v_cmp_gt_u32_e32 vcc_lo, 0x43f00000, v4
	s_cbranch_vccz .LBB151_687
; %bb.685:
	v_cmp_lt_u32_e32 vcc_lo, 0x3c7fffff, v4
	s_cbranch_vccz .LBB151_688
; %bb.686:
	s_add_i32 s9, s9, 0x407ffff
	s_delay_alu instid0(SALU_CYCLE_1)
	s_lshr_b32 s9, s9, 20
	s_and_b32 s1, s1, exec_lo
	s_cselect_b32 s1, 0x838, s9
	s_and_b32 s0, s0, exec_lo
	s_cselect_b32 s1, 0x44, s1
	s_mov_b32 s0, 0
	s_branch .LBB151_689
.LBB151_687:
	s_mov_b32 s0, -1
                                        ; implicit-def: $vgpr6
	s_branch .LBB151_692
.LBB151_688:
	s_mov_b32 s0, -1
                                        ; implicit-def: $sgpr1
.LBB151_689:
	v_mov_b32_e32 v6, s1
	s_and_not1_b32 vcc_lo, exec_lo, s0
	s_cbranch_vccnz .LBB151_691
; %bb.690:
	v_add_f32_e32 v6, 0x46800000, v4
.LBB151_691:
	s_mov_b32 s0, 0
.LBB151_692:
	s_delay_alu instid0(SALU_CYCLE_1)
	s_and_not1_b32 vcc_lo, exec_lo, s0
	s_cbranch_vccnz .LBB151_694
; %bb.693:
	v_mov_b32_e32 v6, 0x7f
	v_cmp_lt_u32_e32 vcc_lo, 0x7f800000, v4
	s_delay_alu instid0(VALU_DEP_2)
	v_cndmask_b32_e32 v6, 0x7e, v6, vcc_lo
.LBB151_694:
	global_store_b8 v[2:3], v6, off
.LBB151_695:
	s_mov_b32 s0, 0
.LBB151_696:
	s_delay_alu instid0(SALU_CYCLE_1)
	s_and_not1_b32 vcc_lo, exec_lo, s0
	s_cbranch_vccnz .LBB151_708
; %bb.697:
	v_and_b32_e64 v4, 0xff, s4
	v_mov_b32_e32 v6, 0x7f800001
	s_and_b32 s0, s4, 0xff
	s_delay_alu instid0(SALU_CYCLE_1) | instskip(NEXT) | instid1(VALU_DEP_2)
	s_lshl_b32 s9, s0, 23
	v_cmp_eq_u16_e64 s1, 0xff, v4
	v_cmp_eq_u16_e64 s0, 0, v4
	s_delay_alu instid0(VALU_DEP_2) | instskip(NEXT) | instid1(VALU_DEP_1)
	v_cndmask_b32_e64 v6, |s9|, v6, s1
	v_cndmask_b32_e64 v4, v6, 0x400000, s0
	s_delay_alu instid0(VALU_DEP_1)
	v_cmp_gt_u32_e32 vcc_lo, 0x47800000, v4
	s_cbranch_vccz .LBB151_700
; %bb.698:
	v_cmp_lt_u32_e32 vcc_lo, 0x387fffff, v4
	s_cbranch_vccz .LBB151_701
; %bb.699:
	s_add_i32 s9, s9, 0x80fffff
	s_delay_alu instid0(SALU_CYCLE_1)
	s_lshr_b32 s9, s9, 21
	s_and_b32 s1, s1, exec_lo
	s_cselect_b32 s1, 0x43c, s9
	s_and_b32 s0, s0, exec_lo
	s_cselect_b32 s1, 0x42, s1
	s_mov_b32 s0, 0
	s_branch .LBB151_702
.LBB151_700:
	s_mov_b32 s0, -1
                                        ; implicit-def: $vgpr6
	s_branch .LBB151_705
.LBB151_701:
	s_mov_b32 s0, -1
                                        ; implicit-def: $sgpr1
.LBB151_702:
	v_mov_b32_e32 v6, s1
	s_and_not1_b32 vcc_lo, exec_lo, s0
	s_cbranch_vccnz .LBB151_704
; %bb.703:
	v_add_f32_e32 v6, 0x43000000, v4
.LBB151_704:
	s_mov_b32 s0, 0
.LBB151_705:
	s_delay_alu instid0(SALU_CYCLE_1)
	s_and_not1_b32 vcc_lo, exec_lo, s0
	s_cbranch_vccnz .LBB151_707
; %bb.706:
	v_mov_b32_e32 v6, 0x7f
	v_cmp_lt_u32_e32 vcc_lo, 0x7f800000, v4
	s_delay_alu instid0(VALU_DEP_2)
	v_cndmask_b32_e32 v6, 0x7c, v6, vcc_lo
.LBB151_707:
	global_store_b8 v[2:3], v6, off
.LBB151_708:
	s_mov_b32 s1, 0
	s_mov_b32 s0, -1
.LBB151_709:
	s_and_not1_b32 vcc_lo, exec_lo, s1
	s_mov_b32 s9, 0
	s_cbranch_vccnz .LBB151_716
; %bb.710:
	v_cmp_lt_i16_e32 vcc_lo, 14, v5
	s_mov_b32 s1, -1
	s_cbranch_vccz .LBB151_714
; %bb.711:
	v_cmp_eq_u16_e32 vcc_lo, 15, v5
	s_mov_b32 s8, -1
	s_cbranch_vccz .LBB151_713
; %bb.712:
	v_and_b32_e64 v4, 0xff, s4
	s_and_b32 s0, s4, 0xff
	s_mov_b32 s8, 0
	s_lshl_b32 s0, s0, 23
	s_delay_alu instid0(SALU_CYCLE_1) | instskip(SKIP_2) | instid1(VALU_DEP_2)
	v_mov_b32_e32 v6, s0
	v_cmp_ne_u16_e32 vcc_lo, 0xff, v4
	s_mov_b32 s0, -1
	v_cndmask_b32_e32 v6, 0x7f800001, v6, vcc_lo
	v_cmp_ne_u16_e32 vcc_lo, 0, v4
	s_delay_alu instid0(VALU_DEP_2) | instskip(NEXT) | instid1(VALU_DEP_1)
	v_cndmask_b32_e32 v4, 0x400000, v6, vcc_lo
	v_add_nc_u32_e32 v6, 0x7fff, v4
	v_cmp_o_f32_e32 vcc_lo, v4, v4
	s_delay_alu instid0(VALU_DEP_2) | instskip(NEXT) | instid1(VALU_DEP_1)
	v_lshrrev_b32_e32 v6, 16, v6
	v_cndmask_b32_e32 v4, 0x7fc0, v6, vcc_lo
	global_store_b16 v[2:3], v4, off
.LBB151_713:
	s_mov_b32 s1, 0
.LBB151_714:
	s_delay_alu instid0(SALU_CYCLE_1)
	s_and_b32 vcc_lo, exec_lo, s1
	s_cbranch_vccz .LBB151_716
; %bb.715:
	v_cmp_ne_u16_e64 s8, 11, v5
	s_mov_b32 s9, -1
.LBB151_716:
	s_delay_alu instid0(VALU_DEP_1)
	s_and_b32 vcc_lo, exec_lo, s8
	s_cbranch_vccnz .LBB151_786
; %bb.717:
	s_and_not1_b32 vcc_lo, exec_lo, s9
	s_cbranch_vccnz .LBB151_719
.LBB151_718:
	v_mov_b32_e32 v4, 1
	s_mov_b32 s0, -1
	global_store_b8 v[2:3], v4, off
.LBB151_719:
	s_mov_b32 s1, 0
.LBB151_720:
	s_delay_alu instid0(SALU_CYCLE_1)
	s_and_b32 vcc_lo, exec_lo, s1
	s_cbranch_vccz .LBB151_759
; %bb.721:
	v_cmp_gt_i16_e32 vcc_lo, 5, v5
	s_mov_b32 s0, -1
	s_cbranch_vccnz .LBB151_742
; %bb.722:
	v_cmp_gt_i16_e32 vcc_lo, 8, v5
	s_cbranch_vccnz .LBB151_732
; %bb.723:
	v_cmp_gt_i16_e32 vcc_lo, 9, v5
	s_cbranch_vccnz .LBB151_729
; %bb.724:
	v_cmp_lt_i16_e32 vcc_lo, 9, v5
	s_cbranch_vccz .LBB151_726
; %bb.725:
	s_and_b32 s0, s4, 0xff
	v_and_b32_e64 v4, 0xff, s4
	s_lshl_b32 s0, s0, 23
	v_mov_b32_e32 v8, 0
	v_cvt_f64_f32_e32 v[6:7], s0
	s_mov_b32 s0, 0
	v_cmp_ne_u16_e32 vcc_lo, 0xff, v4
	s_delay_alu instid0(VALU_DEP_2) | instskip(NEXT) | instid1(VALU_DEP_3)
	v_dual_mov_b32 v9, v8 :: v_dual_cndmask_b32 v6, 0x20000000, v6
	v_cndmask_b32_e32 v7, 0x7ff80000, v7, vcc_lo
	v_cmp_ne_u16_e32 vcc_lo, 0, v4
	s_delay_alu instid0(VALU_DEP_2) | instskip(NEXT) | instid1(VALU_DEP_4)
	v_cndmask_b32_e32 v7, 0x38000000, v7, vcc_lo
	v_cndmask_b32_e32 v6, 0, v6, vcc_lo
	global_store_b128 v[2:3], v[6:9], off
.LBB151_726:
	s_and_not1_b32 vcc_lo, exec_lo, s0
	s_cbranch_vccnz .LBB151_728
; %bb.727:
	v_and_b32_e64 v4, 0xff, s4
	s_and_b32 s1, s4, 0xff
	v_mov_b32_e32 v7, 0
	s_lshl_b32 s1, s1, 23
	s_delay_alu instid0(VALU_DEP_2) | instskip(SKIP_3) | instid1(VALU_DEP_1)
	v_cmp_ne_u16_e32 vcc_lo, 0xff, v4
	v_cmp_ne_u16_e64 s0, 0, v4
	s_and_b32 s8, vcc_lo, exec_lo
	s_cselect_b32 s1, s1, 0x7f800001
	s_and_b32 s0, s0, exec_lo
	s_cselect_b32 s0, s1, 0x400000
	s_delay_alu instid0(SALU_CYCLE_1)
	v_mov_b32_e32 v6, s0
	global_store_b64 v[2:3], v[6:7], off
.LBB151_728:
	s_mov_b32 s0, 0
.LBB151_729:
	s_delay_alu instid0(SALU_CYCLE_1)
	s_and_not1_b32 vcc_lo, exec_lo, s0
	s_cbranch_vccnz .LBB151_731
; %bb.730:
	s_and_b32 s0, s4, 0xff
	v_and_b32_e64 v6, 0xff, s4
	s_lshl_b32 s0, s0, 23
	s_delay_alu instid0(SALU_CYCLE_1) | instskip(NEXT) | instid1(VALU_DEP_2)
	v_cvt_f16_f32_e32 v4, s0
	v_cmp_ne_u16_e32 vcc_lo, 0xff, v6
	s_delay_alu instid0(VALU_DEP_2) | instskip(NEXT) | instid1(VALU_DEP_1)
	v_and_b32_e32 v4, 0xffff, v4
	v_cndmask_b32_e32 v4, 0x7e00, v4, vcc_lo
	v_cmp_ne_u16_e32 vcc_lo, 0, v6
	s_delay_alu instid0(VALU_DEP_2)
	v_cndmask_b32_e32 v4, 0, v4, vcc_lo
	global_store_b32 v[2:3], v4, off
.LBB151_731:
	s_mov_b32 s0, 0
.LBB151_732:
	s_delay_alu instid0(SALU_CYCLE_1)
	s_and_not1_b32 vcc_lo, exec_lo, s0
	s_cbranch_vccnz .LBB151_741
; %bb.733:
	v_cmp_gt_i16_e32 vcc_lo, 6, v5
	s_mov_b32 s0, -1
	s_cbranch_vccnz .LBB151_739
; %bb.734:
	v_cmp_lt_i16_e32 vcc_lo, 6, v5
	s_cbranch_vccz .LBB151_736
; %bb.735:
	s_and_b32 s0, s4, 0xff
	v_and_b32_e64 v4, 0xff, s4
	s_lshl_b32 s0, s0, 23
	s_delay_alu instid0(SALU_CYCLE_1) | instskip(SKIP_1) | instid1(VALU_DEP_2)
	v_cvt_f64_f32_e32 v[6:7], s0
	s_mov_b32 s0, 0
	v_cmp_ne_u16_e32 vcc_lo, 0xff, v4
	s_delay_alu instid0(VALU_DEP_2) | instskip(NEXT) | instid1(VALU_DEP_3)
	v_cndmask_b32_e32 v6, 0x20000000, v6, vcc_lo
	v_cndmask_b32_e32 v7, 0x7ff80000, v7, vcc_lo
	v_cmp_ne_u16_e32 vcc_lo, 0, v4
	s_delay_alu instid0(VALU_DEP_2) | instskip(NEXT) | instid1(VALU_DEP_4)
	v_cndmask_b32_e32 v7, 0x38000000, v7, vcc_lo
	v_cndmask_b32_e32 v6, 0, v6, vcc_lo
	global_store_b64 v[2:3], v[6:7], off
.LBB151_736:
	s_and_not1_b32 vcc_lo, exec_lo, s0
	s_cbranch_vccnz .LBB151_738
; %bb.737:
	v_and_b32_e64 v4, 0xff, s4
	s_and_b32 s0, s4, 0xff
	s_delay_alu instid0(SALU_CYCLE_1) | instskip(NEXT) | instid1(SALU_CYCLE_1)
	s_lshl_b32 s0, s0, 23
	v_mov_b32_e32 v6, s0
	s_delay_alu instid0(VALU_DEP_2) | instskip(NEXT) | instid1(VALU_DEP_2)
	v_cmp_ne_u16_e32 vcc_lo, 0xff, v4
	v_cndmask_b32_e32 v6, 0x7f800001, v6, vcc_lo
	v_cmp_ne_u16_e32 vcc_lo, 0, v4
	s_delay_alu instid0(VALU_DEP_2)
	v_cndmask_b32_e32 v4, 0x400000, v6, vcc_lo
	global_store_b32 v[2:3], v4, off
.LBB151_738:
	s_mov_b32 s0, 0
.LBB151_739:
	s_delay_alu instid0(SALU_CYCLE_1)
	s_and_not1_b32 vcc_lo, exec_lo, s0
	s_cbranch_vccnz .LBB151_741
; %bb.740:
	v_and_b32_e64 v4, 0xff, s4
	s_and_b32 s0, s4, 0xff
	s_delay_alu instid0(SALU_CYCLE_1) | instskip(NEXT) | instid1(SALU_CYCLE_1)
	s_lshl_b32 s0, s0, 23
	v_cvt_f16_f32_e32 v6, s0
	s_delay_alu instid0(VALU_DEP_2) | instskip(NEXT) | instid1(VALU_DEP_2)
	v_cmp_ne_u16_e32 vcc_lo, 0xff, v4
	v_cndmask_b32_e32 v6, 0x7e00, v6, vcc_lo
	v_cmp_ne_u16_e32 vcc_lo, 0, v4
	s_delay_alu instid0(VALU_DEP_2)
	v_cndmask_b32_e32 v4, 0, v6, vcc_lo
	global_store_b16 v[2:3], v4, off
.LBB151_741:
	s_mov_b32 s0, 0
.LBB151_742:
	s_delay_alu instid0(SALU_CYCLE_1)
	s_and_not1_b32 vcc_lo, exec_lo, s0
	s_cbranch_vccnz .LBB151_758
; %bb.743:
	v_cmp_gt_i16_e32 vcc_lo, 2, v5
	s_mov_b32 s0, -1
	s_cbranch_vccnz .LBB151_753
; %bb.744:
	v_cmp_gt_i16_e32 vcc_lo, 3, v5
	s_cbranch_vccnz .LBB151_750
; %bb.745:
	v_cmp_lt_i16_e32 vcc_lo, 3, v5
	s_cbranch_vccz .LBB151_747
; %bb.746:
	s_and_b32 s0, s4, 0xff
	v_and_b32_e64 v8, 0xff, s4
	s_lshl_b32 s0, s0, 23
	s_delay_alu instid0(SALU_CYCLE_1) | instskip(SKIP_1) | instid1(VALU_DEP_1)
	v_trunc_f32_e32 v4, s0
	s_mov_b32 s0, 0
	v_mul_f32_e64 v6, 0x2f800000, |v4|
	s_delay_alu instid0(VALU_DEP_1) | instskip(NEXT) | instid1(VALU_DEP_1)
	v_floor_f32_e32 v6, v6
	v_fma_f32 v7, 0xcf800000, v6, |v4|
	v_ashrrev_i32_e32 v4, 31, v4
	v_cvt_u32_f32_e32 v6, v6
	s_delay_alu instid0(VALU_DEP_3) | instskip(NEXT) | instid1(VALU_DEP_2)
	v_cvt_u32_f32_e32 v7, v7
	v_xor_b32_e32 v6, v6, v4
	s_delay_alu instid0(VALU_DEP_2) | instskip(NEXT) | instid1(VALU_DEP_1)
	v_xor_b32_e32 v7, v7, v4
	v_sub_co_u32 v9, vcc_lo, v7, v4
	s_delay_alu instid0(VALU_DEP_3) | instskip(SKIP_1) | instid1(VALU_DEP_2)
	v_sub_co_ci_u32_e32 v4, vcc_lo, v6, v4, vcc_lo
	v_cmp_ne_u16_e32 vcc_lo, 0, v8
	v_dual_cndmask_b32 v7, 0, v4 :: v_dual_cndmask_b32 v6, 0, v9
	global_store_b64 v[2:3], v[6:7], off
.LBB151_747:
	s_and_not1_b32 vcc_lo, exec_lo, s0
	s_cbranch_vccnz .LBB151_749
; %bb.748:
	v_and_b32_e64 v4, 0xff, s4
	s_and_b32 s0, s4, 0xff
	s_delay_alu instid0(SALU_CYCLE_1) | instskip(NEXT) | instid1(SALU_CYCLE_1)
	s_lshl_b32 s0, s0, 23
	v_cvt_i32_f32_e32 v6, s0
	s_delay_alu instid0(VALU_DEP_2) | instskip(NEXT) | instid1(VALU_DEP_2)
	v_cmp_ne_u16_e32 vcc_lo, 0, v4
	v_cndmask_b32_e32 v4, 0, v6, vcc_lo
	global_store_b32 v[2:3], v4, off
.LBB151_749:
	s_mov_b32 s0, 0
.LBB151_750:
	s_delay_alu instid0(SALU_CYCLE_1)
	s_and_not1_b32 vcc_lo, exec_lo, s0
	s_cbranch_vccnz .LBB151_752
; %bb.751:
	v_and_b32_e64 v4, 0xff, s4
	s_and_b32 s0, s4, 0xff
	s_delay_alu instid0(SALU_CYCLE_1) | instskip(NEXT) | instid1(SALU_CYCLE_1)
	s_lshl_b32 s0, s0, 23
	v_cvt_i32_f32_e32 v6, s0
	s_delay_alu instid0(VALU_DEP_2) | instskip(NEXT) | instid1(VALU_DEP_2)
	v_cmp_ne_u16_e32 vcc_lo, 0, v4
	v_cndmask_b32_e32 v4, 0, v6, vcc_lo
	global_store_b16 v[2:3], v4, off
.LBB151_752:
	s_mov_b32 s0, 0
.LBB151_753:
	s_delay_alu instid0(SALU_CYCLE_1)
	s_and_not1_b32 vcc_lo, exec_lo, s0
	s_cbranch_vccnz .LBB151_758
; %bb.754:
	v_cmp_lt_i16_e32 vcc_lo, 0, v5
	s_mov_b32 s0, -1
	s_cbranch_vccz .LBB151_756
; %bb.755:
	v_and_b32_e64 v4, 0xff, s4
	s_and_b32 s0, s4, 0xff
	s_delay_alu instid0(SALU_CYCLE_1) | instskip(NEXT) | instid1(SALU_CYCLE_1)
	s_lshl_b32 s0, s0, 23
	v_cvt_i32_f32_e32 v6, s0
	s_delay_alu instid0(VALU_DEP_2) | instskip(SKIP_1) | instid1(VALU_DEP_2)
	v_cmp_ne_u16_e32 vcc_lo, 0, v4
	s_mov_b32 s0, 0
	v_cndmask_b32_e32 v4, 0, v6, vcc_lo
	global_store_b8 v[2:3], v4, off
.LBB151_756:
	s_and_not1_b32 vcc_lo, exec_lo, s0
	s_cbranch_vccnz .LBB151_758
; %bb.757:
	s_and_b32 s0, s4, 0xff
	v_and_b32_e64 v7, 0xff, s4
	s_lshl_b32 s0, s0, 23
	s_delay_alu instid0(SALU_CYCLE_1) | instskip(NEXT) | instid1(VALU_DEP_2)
	v_trunc_f32_e32 v4, s0
	v_cmp_ne_u16_e32 vcc_lo, 0, v7
	s_delay_alu instid0(VALU_DEP_2) | instskip(NEXT) | instid1(VALU_DEP_1)
	v_mul_f32_e64 v6, 0x2f800000, |v4|
	v_floor_f32_e32 v6, v6
	s_delay_alu instid0(VALU_DEP_1) | instskip(SKIP_1) | instid1(VALU_DEP_2)
	v_fma_f32 v6, 0xcf800000, v6, |v4|
	v_ashrrev_i32_e32 v4, 31, v4
	v_cvt_u32_f32_e32 v6, v6
	s_delay_alu instid0(VALU_DEP_1) | instskip(NEXT) | instid1(VALU_DEP_1)
	v_xor_b32_e32 v6, v6, v4
	v_sub_nc_u32_e32 v4, v6, v4
	s_delay_alu instid0(VALU_DEP_1)
	v_cndmask_b32_e32 v4, 0, v4, vcc_lo
	global_store_b8 v[2:3], v4, off
.LBB151_758:
	s_mov_b32 s0, -1
.LBB151_759:
	s_delay_alu instid0(SALU_CYCLE_1)
	s_and_not1_b32 vcc_lo, exec_lo, s0
	s_cbranch_vccnz .LBB151_915
; %bb.760:
	v_cmp_gt_i16_e32 vcc_lo, 11, v5
	v_add_co_u32 v1, s1, s2, v1
	s_delay_alu instid0(VALU_DEP_1)
	v_add_co_ci_u32_e64 v2, null, s3, 0, s1
	s_mov_b32 s0, 0
	s_mov_b32 s1, -1
	s_cbranch_vccnz .LBB151_848
; %bb.761:
	v_cmp_lt_i16_e32 vcc_lo, 25, v5
	s_mov_b32 s9, 0
	s_mov_b32 s8, 0
	s_cbranch_vccz .LBB151_798
; %bb.762:
	v_cmp_lt_i16_e32 vcc_lo, 28, v5
	s_cbranch_vccz .LBB151_775
; %bb.763:
	v_cmp_lt_i16_e32 vcc_lo, 43, v5
	s_cbranch_vccz .LBB151_771
; %bb.764:
	v_cmp_lt_i16_e32 vcc_lo, 45, v5
	s_cbranch_vccz .LBB151_767
; %bb.765:
	v_cmp_eq_u16_e32 vcc_lo, 46, v5
	s_mov_b32 s8, -1
	s_mov_b32 s1, 0
	s_cbranch_vccz .LBB151_767
; %bb.766:
	v_and_b32_e64 v3, 0xff, s4
	s_and_b32 s0, s4, 0xff
	s_mov_b32 s8, 0
	s_lshl_b32 s0, s0, 23
	s_delay_alu instid0(SALU_CYCLE_1) | instskip(SKIP_2) | instid1(VALU_DEP_2)
	v_mov_b32_e32 v4, s0
	v_cmp_ne_u16_e32 vcc_lo, 0xff, v3
	s_mov_b32 s0, -1
	v_cndmask_b32_e32 v4, 0x7f800001, v4, vcc_lo
	v_cmp_ne_u16_e32 vcc_lo, 0, v3
	s_delay_alu instid0(VALU_DEP_2) | instskip(NEXT) | instid1(VALU_DEP_1)
	v_cndmask_b32_e32 v3, 0x400000, v4, vcc_lo
	v_add_nc_u32_e32 v4, 0x7fff, v3
	v_cmp_o_f32_e32 vcc_lo, v3, v3
	s_delay_alu instid0(VALU_DEP_2) | instskip(NEXT) | instid1(VALU_DEP_1)
	v_lshrrev_b32_e32 v4, 16, v4
	v_cndmask_b32_e32 v3, 0x7fc0, v4, vcc_lo
	global_store_b32 v[1:2], v3, off
.LBB151_767:
	s_and_b32 vcc_lo, exec_lo, s1
	s_cbranch_vccz .LBB151_770
; %bb.768:
	v_cmp_eq_u16_e32 vcc_lo, 44, v5
	s_mov_b32 s8, -1
	s_cbranch_vccz .LBB151_770
; %bb.769:
	v_mov_b32_e32 v3, s4
	s_mov_b32 s8, 0
	s_mov_b32 s0, -1
	global_store_b8 v[1:2], v3, off
.LBB151_770:
	s_mov_b32 s1, 0
.LBB151_771:
	s_delay_alu instid0(SALU_CYCLE_1)
	s_and_b32 vcc_lo, exec_lo, s1
	s_cbranch_vccz .LBB151_774
; %bb.772:
	v_cmp_eq_u16_e32 vcc_lo, 29, v5
	s_mov_b32 s8, -1
	s_cbranch_vccz .LBB151_774
; %bb.773:
	s_and_b32 s0, s4, 0xff
	v_and_b32_e64 v6, 0xff, s4
	s_lshl_b32 s0, s0, 23
	s_mov_b32 s8, 0
	v_trunc_f32_e32 v3, s0
	s_mov_b32 s0, -1
	v_cmp_ne_u16_e32 vcc_lo, 0, v6
	s_delay_alu instid0(VALU_DEP_2) | instskip(NEXT) | instid1(VALU_DEP_1)
	v_mul_f32_e32 v4, 0x2f800000, v3
	v_floor_f32_e32 v4, v4
	s_delay_alu instid0(VALU_DEP_1) | instskip(SKIP_1) | instid1(VALU_DEP_1)
	v_fmamk_f32 v3, v4, 0xcf800000, v3
	v_cvt_u32_f32_e32 v4, v4
	v_cndmask_b32_e32 v4, 0, v4, vcc_lo
	s_delay_alu instid0(VALU_DEP_3) | instskip(NEXT) | instid1(VALU_DEP_1)
	v_cvt_u32_f32_e32 v3, v3
	v_cndmask_b32_e32 v3, 0, v3, vcc_lo
	global_store_b64 v[1:2], v[3:4], off
.LBB151_774:
	s_mov_b32 s1, 0
.LBB151_775:
	s_delay_alu instid0(SALU_CYCLE_1)
	s_and_b32 vcc_lo, exec_lo, s1
	s_cbranch_vccz .LBB151_797
; %bb.776:
	v_cmp_gt_i16_e32 vcc_lo, 27, v5
	s_mov_b32 s0, -1
	s_cbranch_vccnz .LBB151_782
; %bb.777:
	v_cmp_lt_i16_e32 vcc_lo, 27, v5
	s_cbranch_vccz .LBB151_779
; %bb.778:
	v_and_b32_e64 v3, 0xff, s4
	s_and_b32 s0, s4, 0xff
	s_delay_alu instid0(SALU_CYCLE_1) | instskip(NEXT) | instid1(SALU_CYCLE_1)
	s_lshl_b32 s0, s0, 23
	v_cvt_u32_f32_e32 v4, s0
	s_delay_alu instid0(VALU_DEP_2) | instskip(SKIP_1) | instid1(VALU_DEP_2)
	v_cmp_ne_u16_e32 vcc_lo, 0, v3
	s_mov_b32 s0, 0
	v_cndmask_b32_e32 v3, 0, v4, vcc_lo
	global_store_b32 v[1:2], v3, off
.LBB151_779:
	s_and_not1_b32 vcc_lo, exec_lo, s0
	s_cbranch_vccnz .LBB151_781
; %bb.780:
	v_and_b32_e64 v3, 0xff, s4
	s_and_b32 s0, s4, 0xff
	s_delay_alu instid0(SALU_CYCLE_1) | instskip(NEXT) | instid1(SALU_CYCLE_1)
	s_lshl_b32 s0, s0, 23
	v_cvt_u32_f32_e32 v4, s0
	s_delay_alu instid0(VALU_DEP_2) | instskip(NEXT) | instid1(VALU_DEP_2)
	v_cmp_ne_u16_e32 vcc_lo, 0, v3
	v_cndmask_b32_e32 v3, 0, v4, vcc_lo
	global_store_b16 v[1:2], v3, off
.LBB151_781:
	s_mov_b32 s0, 0
.LBB151_782:
	s_delay_alu instid0(SALU_CYCLE_1)
	s_and_not1_b32 vcc_lo, exec_lo, s0
	s_cbranch_vccnz .LBB151_796
; %bb.783:
	v_and_b32_e64 v3, 0xff, s4
	v_mov_b32_e32 v4, 0x7f800001
	s_and_b32 s0, s4, 0xff
	v_mov_b32_e32 v6, 0x80
	s_lshl_b32 s11, s0, 23
	v_cmp_eq_u16_e64 s1, 0xff, v3
	v_cmp_eq_u16_e64 s0, 0, v3
	s_mov_b32 s10, 0
	s_delay_alu instid0(VALU_DEP_2) | instskip(NEXT) | instid1(VALU_DEP_1)
	v_cndmask_b32_e64 v4, |s11|, v4, s1
	v_cndmask_b32_e64 v3, v4, 0x400000, s0
	s_delay_alu instid0(VALU_DEP_1)
	v_cmp_lt_u32_e32 vcc_lo, 0x437fffff, v3
	s_cbranch_vccnz .LBB151_795
; %bb.784:
	v_cmp_lt_u32_e32 vcc_lo, 0x3bffffff, v3
	s_cbranch_vccz .LBB151_790
; %bb.785:
	s_add_i32 s10, s11, 0x487ffff
	s_mov_b32 s11, 0
	s_lshr_b32 s10, s10, 20
	s_and_b32 s1, s1, exec_lo
	s_cselect_b32 s1, 0x840, s10
	s_and_b32 s0, s0, exec_lo
	s_cselect_b32 s0, 0x4c, s1
	s_mov_b32 s10, -1
	s_branch .LBB151_791
.LBB151_786:
	s_cbranch_execnz .LBB151_788
; %bb.787:
	s_or_b32 s5, s5, exec_lo
	s_cbranch_execz .LBB151_718
	s_branch .LBB151_719
.LBB151_788:
	s_trap 2
	s_sendmsg_rtn_b32 s0, sendmsg(MSG_RTN_GET_DOORBELL)
	s_mov_b32 ttmp2, m0
	s_waitcnt lgkmcnt(0)
	s_and_b32 s0, s0, 0x3ff
	s_delay_alu instid0(SALU_CYCLE_1) | instskip(NEXT) | instid1(SALU_CYCLE_1)
	s_bitset1_b32 s0, 10
	s_mov_b32 m0, s0
	s_sendmsg sendmsg(MSG_INTERRUPT)
	s_mov_b32 m0, ttmp2
.LBB151_789:                            ; =>This Inner Loop Header: Depth=1
	s_sethalt 5
	s_branch .LBB151_789
.LBB151_790:
	s_mov_b32 s11, -1
                                        ; implicit-def: $sgpr0
.LBB151_791:
	v_mov_b32_e32 v4, s0
	s_and_not1_b32 vcc_lo, exec_lo, s11
                                        ; implicit-def: $sgpr0
	s_cbranch_vccnz .LBB151_793
; %bb.792:
	v_add_f32_e32 v3, 0x46000000, v3
	s_mov_b32 s0, 0
	s_delay_alu instid0(VALU_DEP_1) | instskip(NEXT) | instid1(VALU_DEP_1)
	v_and_b32_e32 v4, 0xff, v3
	v_cmp_ne_u32_e64 s10, 0, v4
.LBB151_793:
	v_mov_b32_e32 v6, s0
	s_delay_alu instid0(VALU_DEP_2)
	s_and_not1_b32 vcc_lo, exec_lo, s10
	s_cbranch_vccnz .LBB151_795
; %bb.794:
	v_mov_b32_e32 v6, v4
.LBB151_795:
	global_store_b8 v[1:2], v6, off
.LBB151_796:
	s_mov_b32 s0, -1
.LBB151_797:
	s_mov_b32 s1, 0
.LBB151_798:
	s_delay_alu instid0(SALU_CYCLE_1)
	s_and_b32 vcc_lo, exec_lo, s1
	s_cbranch_vccz .LBB151_844
; %bb.799:
	v_cmp_lt_i16_e32 vcc_lo, 22, v5
	s_mov_b32 s1, -1
	s_cbranch_vccz .LBB151_837
; %bb.800:
	v_cmp_gt_i16_e32 vcc_lo, 24, v5
	s_mov_b32 s0, -1
	s_cbranch_vccnz .LBB151_824
; %bb.801:
	v_cmp_lt_i16_e32 vcc_lo, 24, v5
	s_mov_b32 s9, -1
	s_cbranch_vccz .LBB151_811
; %bb.802:
	v_and_b32_e64 v3, 0xff, s4
	v_mov_b32_e32 v4, 0x7f800001
	s_and_b32 s0, s4, 0xff
	v_mov_b32_e32 v6, 0x80
	s_lshl_b32 s10, s0, 23
	v_cmp_eq_u16_e64 s1, 0xff, v3
	v_cmp_eq_u16_e64 s0, 0, v3
	s_mov_b32 s9, 0
	s_delay_alu instid0(VALU_DEP_2) | instskip(NEXT) | instid1(VALU_DEP_1)
	v_cndmask_b32_e64 v4, |s10|, v4, s1
	v_cndmask_b32_e64 v3, v4, 0x400000, s0
	s_delay_alu instid0(VALU_DEP_1)
	v_cmp_lt_u32_e32 vcc_lo, 0x477fffff, v3
	s_cbranch_vccnz .LBB151_810
; %bb.803:
	v_cmp_lt_u32_e32 vcc_lo, 0x37ffffff, v3
	s_cbranch_vccz .LBB151_805
; %bb.804:
	s_add_i32 s11, s10, 0x88fffff
	s_mov_b32 s10, 0
	s_lshr_b32 s11, s11, 21
	s_and_b32 s1, s1, exec_lo
	s_cselect_b32 s1, 0x440, s11
	s_and_b32 s0, s0, exec_lo
	s_cselect_b32 s1, 0x46, s1
	s_mov_b32 s0, -1
	s_branch .LBB151_806
.LBB151_805:
	s_mov_b32 s10, -1
	s_mov_b32 s0, 0
                                        ; implicit-def: $sgpr1
.LBB151_806:
	v_mov_b32_e32 v4, s1
	s_and_not1_b32 vcc_lo, exec_lo, s10
                                        ; implicit-def: $sgpr1
	s_cbranch_vccnz .LBB151_808
; %bb.807:
	v_add_f32_e32 v3, 0x42800000, v3
	s_mov_b32 s1, 0
	s_delay_alu instid0(VALU_DEP_1) | instskip(NEXT) | instid1(VALU_DEP_1)
	v_and_b32_e32 v4, 0xff, v3
	v_cmp_ne_u32_e64 s0, 0, v4
.LBB151_808:
	v_mov_b32_e32 v6, s1
	s_delay_alu instid0(VALU_DEP_2)
	s_and_not1_b32 vcc_lo, exec_lo, s0
	s_cbranch_vccnz .LBB151_810
; %bb.809:
	v_mov_b32_e32 v6, v4
.LBB151_810:
	global_store_b8 v[1:2], v6, off
.LBB151_811:
	s_and_b32 vcc_lo, exec_lo, s9
	s_cbranch_vccz .LBB151_823
; %bb.812:
	v_and_b32_e64 v3, 0xff, s4
	v_mov_b32_e32 v4, 0x7f800001
	s_and_b32 s0, s4, 0xff
	s_delay_alu instid0(SALU_CYCLE_1) | instskip(NEXT) | instid1(VALU_DEP_2)
	s_lshl_b32 s9, s0, 23
	v_cmp_eq_u16_e64 s1, 0xff, v3
	v_cmp_eq_u16_e64 s0, 0, v3
	s_delay_alu instid0(VALU_DEP_2) | instskip(NEXT) | instid1(VALU_DEP_1)
	v_cndmask_b32_e64 v4, |s9|, v4, s1
	v_cndmask_b32_e64 v3, v4, 0x400000, s0
	s_delay_alu instid0(VALU_DEP_1)
	v_cmp_gt_u32_e32 vcc_lo, 0x43f00000, v3
	s_cbranch_vccz .LBB151_815
; %bb.813:
	v_cmp_lt_u32_e32 vcc_lo, 0x3c7fffff, v3
	s_cbranch_vccz .LBB151_816
; %bb.814:
	s_add_i32 s9, s9, 0x407ffff
	s_delay_alu instid0(SALU_CYCLE_1)
	s_lshr_b32 s9, s9, 20
	s_and_b32 s1, s1, exec_lo
	s_cselect_b32 s1, 0x838, s9
	s_and_b32 s0, s0, exec_lo
	s_cselect_b32 s1, 0x44, s1
	s_mov_b32 s0, 0
	s_branch .LBB151_817
.LBB151_815:
	s_mov_b32 s0, -1
                                        ; implicit-def: $vgpr4
	s_branch .LBB151_820
.LBB151_816:
	s_mov_b32 s0, -1
                                        ; implicit-def: $sgpr1
.LBB151_817:
	v_mov_b32_e32 v4, s1
	s_and_not1_b32 vcc_lo, exec_lo, s0
	s_cbranch_vccnz .LBB151_819
; %bb.818:
	v_add_f32_e32 v4, 0x46800000, v3
.LBB151_819:
	s_mov_b32 s0, 0
.LBB151_820:
	s_delay_alu instid0(SALU_CYCLE_1)
	s_and_not1_b32 vcc_lo, exec_lo, s0
	s_cbranch_vccnz .LBB151_822
; %bb.821:
	v_mov_b32_e32 v4, 0x7f
	v_cmp_lt_u32_e32 vcc_lo, 0x7f800000, v3
	s_delay_alu instid0(VALU_DEP_2)
	v_cndmask_b32_e32 v4, 0x7e, v4, vcc_lo
.LBB151_822:
	global_store_b8 v[1:2], v4, off
.LBB151_823:
	s_mov_b32 s0, 0
.LBB151_824:
	s_delay_alu instid0(SALU_CYCLE_1)
	s_and_not1_b32 vcc_lo, exec_lo, s0
	s_cbranch_vccnz .LBB151_836
; %bb.825:
	v_and_b32_e64 v3, 0xff, s4
	v_mov_b32_e32 v4, 0x7f800001
	s_and_b32 s0, s4, 0xff
	s_delay_alu instid0(SALU_CYCLE_1) | instskip(NEXT) | instid1(VALU_DEP_2)
	s_lshl_b32 s9, s0, 23
	v_cmp_eq_u16_e64 s1, 0xff, v3
	v_cmp_eq_u16_e64 s0, 0, v3
	s_delay_alu instid0(VALU_DEP_2) | instskip(NEXT) | instid1(VALU_DEP_1)
	v_cndmask_b32_e64 v4, |s9|, v4, s1
	v_cndmask_b32_e64 v3, v4, 0x400000, s0
	s_delay_alu instid0(VALU_DEP_1)
	v_cmp_gt_u32_e32 vcc_lo, 0x47800000, v3
	s_cbranch_vccz .LBB151_828
; %bb.826:
	v_cmp_lt_u32_e32 vcc_lo, 0x387fffff, v3
	s_cbranch_vccz .LBB151_829
; %bb.827:
	s_add_i32 s9, s9, 0x80fffff
	s_delay_alu instid0(SALU_CYCLE_1)
	s_lshr_b32 s9, s9, 21
	s_and_b32 s1, s1, exec_lo
	s_cselect_b32 s1, 0x43c, s9
	s_and_b32 s0, s0, exec_lo
	s_cselect_b32 s1, 0x42, s1
	s_mov_b32 s0, 0
	s_branch .LBB151_830
.LBB151_828:
	s_mov_b32 s0, -1
                                        ; implicit-def: $vgpr4
	s_branch .LBB151_833
.LBB151_829:
	s_mov_b32 s0, -1
                                        ; implicit-def: $sgpr1
.LBB151_830:
	v_mov_b32_e32 v4, s1
	s_and_not1_b32 vcc_lo, exec_lo, s0
	s_cbranch_vccnz .LBB151_832
; %bb.831:
	v_add_f32_e32 v4, 0x43000000, v3
.LBB151_832:
	s_mov_b32 s0, 0
.LBB151_833:
	s_delay_alu instid0(SALU_CYCLE_1)
	s_and_not1_b32 vcc_lo, exec_lo, s0
	s_cbranch_vccnz .LBB151_835
; %bb.834:
	v_mov_b32_e32 v4, 0x7f
	v_cmp_lt_u32_e32 vcc_lo, 0x7f800000, v3
	s_delay_alu instid0(VALU_DEP_2)
	v_cndmask_b32_e32 v4, 0x7c, v4, vcc_lo
.LBB151_835:
	global_store_b8 v[1:2], v4, off
.LBB151_836:
	s_mov_b32 s1, 0
	s_mov_b32 s0, -1
.LBB151_837:
	s_and_not1_b32 vcc_lo, exec_lo, s1
	s_mov_b32 s9, 0
	s_cbranch_vccnz .LBB151_844
; %bb.838:
	v_cmp_lt_i16_e32 vcc_lo, 14, v5
	s_mov_b32 s1, -1
	s_cbranch_vccz .LBB151_842
; %bb.839:
	v_cmp_eq_u16_e32 vcc_lo, 15, v5
	s_mov_b32 s8, -1
	s_cbranch_vccz .LBB151_841
; %bb.840:
	v_and_b32_e64 v3, 0xff, s4
	s_and_b32 s0, s4, 0xff
	s_mov_b32 s8, 0
	s_lshl_b32 s0, s0, 23
	s_delay_alu instid0(SALU_CYCLE_1) | instskip(SKIP_2) | instid1(VALU_DEP_2)
	v_mov_b32_e32 v4, s0
	v_cmp_ne_u16_e32 vcc_lo, 0xff, v3
	s_mov_b32 s0, -1
	v_cndmask_b32_e32 v4, 0x7f800001, v4, vcc_lo
	v_cmp_ne_u16_e32 vcc_lo, 0, v3
	s_delay_alu instid0(VALU_DEP_2) | instskip(NEXT) | instid1(VALU_DEP_1)
	v_cndmask_b32_e32 v3, 0x400000, v4, vcc_lo
	v_add_nc_u32_e32 v4, 0x7fff, v3
	v_cmp_o_f32_e32 vcc_lo, v3, v3
	s_delay_alu instid0(VALU_DEP_2) | instskip(NEXT) | instid1(VALU_DEP_1)
	v_lshrrev_b32_e32 v4, 16, v4
	v_cndmask_b32_e32 v3, 0x7fc0, v4, vcc_lo
	global_store_b16 v[1:2], v3, off
.LBB151_841:
	s_mov_b32 s1, 0
.LBB151_842:
	s_delay_alu instid0(SALU_CYCLE_1)
	s_and_b32 vcc_lo, exec_lo, s1
	s_cbranch_vccz .LBB151_844
; %bb.843:
	v_cmp_ne_u16_e64 s8, 11, v5
	s_mov_b32 s9, -1
.LBB151_844:
	s_delay_alu instid0(VALU_DEP_1)
	s_and_b32 vcc_lo, exec_lo, s8
	s_cbranch_vccnz .LBB151_960
; %bb.845:
	s_and_not1_b32 vcc_lo, exec_lo, s9
	s_cbranch_vccnz .LBB151_847
.LBB151_846:
	v_mov_b32_e32 v3, 1
	s_mov_b32 s0, -1
	global_store_b8 v[1:2], v3, off
.LBB151_847:
	s_mov_b32 s1, 0
.LBB151_848:
	s_delay_alu instid0(SALU_CYCLE_1)
	s_and_b32 vcc_lo, exec_lo, s1
	s_cbranch_vccz .LBB151_887
; %bb.849:
	v_cmp_gt_i16_e32 vcc_lo, 5, v5
	s_mov_b32 s0, -1
	s_cbranch_vccnz .LBB151_870
; %bb.850:
	v_cmp_gt_i16_e32 vcc_lo, 8, v5
	s_cbranch_vccnz .LBB151_860
; %bb.851:
	v_cmp_gt_i16_e32 vcc_lo, 9, v5
	s_cbranch_vccnz .LBB151_857
; %bb.852:
	v_cmp_lt_i16_e32 vcc_lo, 9, v5
	s_cbranch_vccz .LBB151_854
; %bb.853:
	s_and_b32 s0, s4, 0xff
	v_and_b32_e64 v6, 0xff, s4
	s_lshl_b32 s0, s0, 23
	v_mov_b32_e32 v8, 0
	v_cvt_f64_f32_e32 v[3:4], s0
	s_mov_b32 s0, 0
	v_cmp_ne_u16_e32 vcc_lo, 0xff, v6
	s_delay_alu instid0(VALU_DEP_3) | instskip(NEXT) | instid1(VALU_DEP_3)
	v_mov_b32_e32 v9, v8
	v_cndmask_b32_e32 v3, 0x20000000, v3, vcc_lo
	s_delay_alu instid0(VALU_DEP_4) | instskip(SKIP_1) | instid1(VALU_DEP_2)
	v_cndmask_b32_e32 v4, 0x7ff80000, v4, vcc_lo
	v_cmp_ne_u16_e32 vcc_lo, 0, v6
	v_cndmask_b32_e32 v7, 0x38000000, v4, vcc_lo
	s_delay_alu instid0(VALU_DEP_4)
	v_cndmask_b32_e32 v6, 0, v3, vcc_lo
	global_store_b128 v[1:2], v[6:9], off
.LBB151_854:
	s_and_not1_b32 vcc_lo, exec_lo, s0
	s_cbranch_vccnz .LBB151_856
; %bb.855:
	v_and_b32_e64 v3, 0xff, s4
	s_and_b32 s1, s4, 0xff
	v_mov_b32_e32 v4, 0
	s_lshl_b32 s1, s1, 23
	s_delay_alu instid0(VALU_DEP_2) | instskip(SKIP_3) | instid1(VALU_DEP_1)
	v_cmp_ne_u16_e32 vcc_lo, 0xff, v3
	v_cmp_ne_u16_e64 s0, 0, v3
	s_and_b32 s8, vcc_lo, exec_lo
	s_cselect_b32 s1, s1, 0x7f800001
	s_and_b32 s0, s0, exec_lo
	s_cselect_b32 s0, s1, 0x400000
	s_delay_alu instid0(SALU_CYCLE_1)
	v_mov_b32_e32 v3, s0
	global_store_b64 v[1:2], v[3:4], off
.LBB151_856:
	s_mov_b32 s0, 0
.LBB151_857:
	s_delay_alu instid0(SALU_CYCLE_1)
	s_and_not1_b32 vcc_lo, exec_lo, s0
	s_cbranch_vccnz .LBB151_859
; %bb.858:
	s_and_b32 s0, s4, 0xff
	v_and_b32_e64 v4, 0xff, s4
	s_lshl_b32 s0, s0, 23
	s_delay_alu instid0(SALU_CYCLE_1) | instskip(NEXT) | instid1(VALU_DEP_2)
	v_cvt_f16_f32_e32 v3, s0
	v_cmp_ne_u16_e32 vcc_lo, 0xff, v4
	s_delay_alu instid0(VALU_DEP_2) | instskip(NEXT) | instid1(VALU_DEP_1)
	v_and_b32_e32 v3, 0xffff, v3
	v_cndmask_b32_e32 v3, 0x7e00, v3, vcc_lo
	v_cmp_ne_u16_e32 vcc_lo, 0, v4
	s_delay_alu instid0(VALU_DEP_2)
	v_cndmask_b32_e32 v3, 0, v3, vcc_lo
	global_store_b32 v[1:2], v3, off
.LBB151_859:
	s_mov_b32 s0, 0
.LBB151_860:
	s_delay_alu instid0(SALU_CYCLE_1)
	s_and_not1_b32 vcc_lo, exec_lo, s0
	s_cbranch_vccnz .LBB151_869
; %bb.861:
	v_cmp_gt_i16_e32 vcc_lo, 6, v5
	s_mov_b32 s0, -1
	s_cbranch_vccnz .LBB151_867
; %bb.862:
	v_cmp_lt_i16_e32 vcc_lo, 6, v5
	s_cbranch_vccz .LBB151_864
; %bb.863:
	s_and_b32 s0, s4, 0xff
	v_and_b32_e64 v6, 0xff, s4
	s_lshl_b32 s0, s0, 23
	s_delay_alu instid0(SALU_CYCLE_1) | instskip(SKIP_1) | instid1(VALU_DEP_2)
	v_cvt_f64_f32_e32 v[3:4], s0
	s_mov_b32 s0, 0
	v_cmp_ne_u16_e32 vcc_lo, 0xff, v6
	s_delay_alu instid0(VALU_DEP_2) | instskip(NEXT) | instid1(VALU_DEP_3)
	v_cndmask_b32_e32 v3, 0x20000000, v3, vcc_lo
	v_cndmask_b32_e32 v4, 0x7ff80000, v4, vcc_lo
	v_cmp_ne_u16_e32 vcc_lo, 0, v6
	s_delay_alu instid0(VALU_DEP_2) | instskip(NEXT) | instid1(VALU_DEP_4)
	v_cndmask_b32_e32 v4, 0x38000000, v4, vcc_lo
	v_cndmask_b32_e32 v3, 0, v3, vcc_lo
	global_store_b64 v[1:2], v[3:4], off
.LBB151_864:
	s_and_not1_b32 vcc_lo, exec_lo, s0
	s_cbranch_vccnz .LBB151_866
; %bb.865:
	v_and_b32_e64 v3, 0xff, s4
	s_and_b32 s0, s4, 0xff
	s_delay_alu instid0(SALU_CYCLE_1) | instskip(NEXT) | instid1(SALU_CYCLE_1)
	s_lshl_b32 s0, s0, 23
	v_mov_b32_e32 v4, s0
	s_delay_alu instid0(VALU_DEP_2) | instskip(NEXT) | instid1(VALU_DEP_2)
	v_cmp_ne_u16_e32 vcc_lo, 0xff, v3
	v_cndmask_b32_e32 v4, 0x7f800001, v4, vcc_lo
	v_cmp_ne_u16_e32 vcc_lo, 0, v3
	s_delay_alu instid0(VALU_DEP_2)
	v_cndmask_b32_e32 v3, 0x400000, v4, vcc_lo
	global_store_b32 v[1:2], v3, off
.LBB151_866:
	s_mov_b32 s0, 0
.LBB151_867:
	s_delay_alu instid0(SALU_CYCLE_1)
	s_and_not1_b32 vcc_lo, exec_lo, s0
	s_cbranch_vccnz .LBB151_869
; %bb.868:
	v_and_b32_e64 v3, 0xff, s4
	s_and_b32 s0, s4, 0xff
	s_delay_alu instid0(SALU_CYCLE_1) | instskip(NEXT) | instid1(SALU_CYCLE_1)
	s_lshl_b32 s0, s0, 23
	v_cvt_f16_f32_e32 v4, s0
	s_delay_alu instid0(VALU_DEP_2) | instskip(NEXT) | instid1(VALU_DEP_2)
	v_cmp_ne_u16_e32 vcc_lo, 0xff, v3
	v_cndmask_b32_e32 v4, 0x7e00, v4, vcc_lo
	v_cmp_ne_u16_e32 vcc_lo, 0, v3
	s_delay_alu instid0(VALU_DEP_2)
	v_cndmask_b32_e32 v3, 0, v4, vcc_lo
	global_store_b16 v[1:2], v3, off
.LBB151_869:
	s_mov_b32 s0, 0
.LBB151_870:
	s_delay_alu instid0(SALU_CYCLE_1)
	s_and_not1_b32 vcc_lo, exec_lo, s0
	s_cbranch_vccnz .LBB151_886
; %bb.871:
	v_cmp_gt_i16_e32 vcc_lo, 2, v5
	s_mov_b32 s0, -1
	s_cbranch_vccnz .LBB151_881
; %bb.872:
	v_cmp_gt_i16_e32 vcc_lo, 3, v5
	s_cbranch_vccnz .LBB151_878
; %bb.873:
	v_cmp_lt_i16_e32 vcc_lo, 3, v5
	s_cbranch_vccz .LBB151_875
; %bb.874:
	s_and_b32 s0, s4, 0xff
	v_and_b32_e64 v7, 0xff, s4
	s_lshl_b32 s0, s0, 23
	s_delay_alu instid0(SALU_CYCLE_1) | instskip(SKIP_1) | instid1(VALU_DEP_1)
	v_trunc_f32_e32 v3, s0
	s_mov_b32 s0, 0
	v_mul_f32_e64 v4, 0x2f800000, |v3|
	s_delay_alu instid0(VALU_DEP_1) | instskip(NEXT) | instid1(VALU_DEP_1)
	v_floor_f32_e32 v4, v4
	v_fma_f32 v6, 0xcf800000, v4, |v3|
	v_ashrrev_i32_e32 v3, 31, v3
	v_cvt_u32_f32_e32 v4, v4
	s_delay_alu instid0(VALU_DEP_3) | instskip(NEXT) | instid1(VALU_DEP_2)
	v_cvt_u32_f32_e32 v6, v6
	v_xor_b32_e32 v4, v4, v3
	s_delay_alu instid0(VALU_DEP_2) | instskip(NEXT) | instid1(VALU_DEP_1)
	v_xor_b32_e32 v6, v6, v3
	v_sub_co_u32 v6, vcc_lo, v6, v3
	s_delay_alu instid0(VALU_DEP_3) | instskip(SKIP_1) | instid1(VALU_DEP_2)
	v_sub_co_ci_u32_e32 v3, vcc_lo, v4, v3, vcc_lo
	v_cmp_ne_u16_e32 vcc_lo, 0, v7
	v_dual_cndmask_b32 v4, 0, v3 :: v_dual_cndmask_b32 v3, 0, v6
	global_store_b64 v[1:2], v[3:4], off
.LBB151_875:
	s_and_not1_b32 vcc_lo, exec_lo, s0
	s_cbranch_vccnz .LBB151_877
; %bb.876:
	v_and_b32_e64 v3, 0xff, s4
	s_and_b32 s0, s4, 0xff
	s_delay_alu instid0(SALU_CYCLE_1) | instskip(NEXT) | instid1(SALU_CYCLE_1)
	s_lshl_b32 s0, s0, 23
	v_cvt_i32_f32_e32 v4, s0
	s_delay_alu instid0(VALU_DEP_2) | instskip(NEXT) | instid1(VALU_DEP_2)
	v_cmp_ne_u16_e32 vcc_lo, 0, v3
	v_cndmask_b32_e32 v3, 0, v4, vcc_lo
	global_store_b32 v[1:2], v3, off
.LBB151_877:
	s_mov_b32 s0, 0
.LBB151_878:
	s_delay_alu instid0(SALU_CYCLE_1)
	s_and_not1_b32 vcc_lo, exec_lo, s0
	s_cbranch_vccnz .LBB151_880
; %bb.879:
	v_and_b32_e64 v3, 0xff, s4
	s_and_b32 s0, s4, 0xff
	s_delay_alu instid0(SALU_CYCLE_1) | instskip(NEXT) | instid1(SALU_CYCLE_1)
	s_lshl_b32 s0, s0, 23
	v_cvt_i32_f32_e32 v4, s0
	s_delay_alu instid0(VALU_DEP_2) | instskip(NEXT) | instid1(VALU_DEP_2)
	v_cmp_ne_u16_e32 vcc_lo, 0, v3
	v_cndmask_b32_e32 v3, 0, v4, vcc_lo
	global_store_b16 v[1:2], v3, off
.LBB151_880:
	s_mov_b32 s0, 0
.LBB151_881:
	s_delay_alu instid0(SALU_CYCLE_1)
	s_and_not1_b32 vcc_lo, exec_lo, s0
	s_cbranch_vccnz .LBB151_886
; %bb.882:
	v_cmp_lt_i16_e32 vcc_lo, 0, v5
	s_mov_b32 s0, -1
	s_cbranch_vccz .LBB151_884
; %bb.883:
	v_and_b32_e64 v3, 0xff, s4
	s_and_b32 s0, s4, 0xff
	s_delay_alu instid0(SALU_CYCLE_1) | instskip(NEXT) | instid1(SALU_CYCLE_1)
	s_lshl_b32 s0, s0, 23
	v_cvt_i32_f32_e32 v4, s0
	s_delay_alu instid0(VALU_DEP_2) | instskip(SKIP_1) | instid1(VALU_DEP_2)
	v_cmp_ne_u16_e32 vcc_lo, 0, v3
	s_mov_b32 s0, 0
	v_cndmask_b32_e32 v3, 0, v4, vcc_lo
	global_store_b8 v[1:2], v3, off
.LBB151_884:
	s_and_not1_b32 vcc_lo, exec_lo, s0
	s_cbranch_vccnz .LBB151_886
; %bb.885:
	s_and_b32 s0, s4, 0xff
	v_and_b32_e64 v6, 0xff, s4
	s_lshl_b32 s0, s0, 23
	s_delay_alu instid0(SALU_CYCLE_1) | instskip(NEXT) | instid1(VALU_DEP_2)
	v_trunc_f32_e32 v3, s0
	v_cmp_ne_u16_e32 vcc_lo, 0, v6
	s_delay_alu instid0(VALU_DEP_2) | instskip(NEXT) | instid1(VALU_DEP_1)
	v_mul_f32_e64 v4, 0x2f800000, |v3|
	v_floor_f32_e32 v4, v4
	s_delay_alu instid0(VALU_DEP_1) | instskip(SKIP_1) | instid1(VALU_DEP_2)
	v_fma_f32 v4, 0xcf800000, v4, |v3|
	v_ashrrev_i32_e32 v3, 31, v3
	v_cvt_u32_f32_e32 v4, v4
	s_delay_alu instid0(VALU_DEP_1) | instskip(NEXT) | instid1(VALU_DEP_1)
	v_xor_b32_e32 v4, v4, v3
	v_sub_nc_u32_e32 v3, v4, v3
	s_delay_alu instid0(VALU_DEP_1)
	v_cndmask_b32_e32 v3, 0, v3, vcc_lo
	global_store_b8 v[1:2], v3, off
.LBB151_886:
	s_mov_b32 s0, -1
.LBB151_887:
	s_delay_alu instid0(SALU_CYCLE_1)
	s_and_not1_b32 vcc_lo, exec_lo, s0
	s_cbranch_vccnz .LBB151_915
; %bb.888:
	v_cmp_gt_i16_e32 vcc_lo, 11, v5
	v_add_co_u32 v0, s0, s2, v0
	s_delay_alu instid0(VALU_DEP_1)
	v_add_co_ci_u32_e64 v1, null, s3, 0, s0
	s_mov_b32 s8, 0
	s_mov_b32 s0, -1
	s_cbranch_vccnz .LBB151_916
; %bb.889:
	v_cmp_lt_i16_e32 vcc_lo, 25, v5
	s_mov_b32 s2, 0
	s_cbranch_vccz .LBB151_971
; %bb.890:
	v_cmp_lt_i16_e32 vcc_lo, 28, v5
	s_cbranch_vccz .LBB151_904
; %bb.891:
	v_cmp_lt_i16_e32 vcc_lo, 43, v5
	;; [unrolled: 3-line block ×3, first 2 shown]
	s_cbranch_vccz .LBB151_896
; %bb.893:
	v_cmp_eq_u16_e32 vcc_lo, 46, v5
	s_mov_b32 s2, -1
	s_cbranch_vccz .LBB151_895
; %bb.894:
	v_and_b32_e64 v2, 0xff, s4
	s_and_b32 s0, s4, 0xff
	s_mov_b32 s2, 0
	s_lshl_b32 s0, s0, 23
	s_delay_alu instid0(SALU_CYCLE_1) | instskip(SKIP_1) | instid1(VALU_DEP_2)
	v_mov_b32_e32 v3, s0
	v_cmp_ne_u16_e32 vcc_lo, 0xff, v2
	v_cndmask_b32_e32 v3, 0x7f800001, v3, vcc_lo
	v_cmp_ne_u16_e32 vcc_lo, 0, v2
	s_delay_alu instid0(VALU_DEP_2) | instskip(NEXT) | instid1(VALU_DEP_1)
	v_cndmask_b32_e32 v2, 0x400000, v3, vcc_lo
	v_add_nc_u32_e32 v3, 0x7fff, v2
	v_cmp_o_f32_e32 vcc_lo, v2, v2
	s_delay_alu instid0(VALU_DEP_2) | instskip(NEXT) | instid1(VALU_DEP_1)
	v_lshrrev_b32_e32 v3, 16, v3
	v_cndmask_b32_e32 v2, 0x7fc0, v3, vcc_lo
	global_store_b32 v[0:1], v2, off
.LBB151_895:
	s_mov_b32 s0, 0
.LBB151_896:
	s_delay_alu instid0(SALU_CYCLE_1)
	s_and_b32 vcc_lo, exec_lo, s0
	s_cbranch_vccz .LBB151_899
; %bb.897:
	v_cmp_eq_u16_e32 vcc_lo, 44, v5
	s_mov_b32 s2, -1
	s_cbranch_vccz .LBB151_899
; %bb.898:
	v_mov_b32_e32 v2, s4
	s_mov_b32 s2, 0
	global_store_b8 v[0:1], v2, off
.LBB151_899:
	s_mov_b32 s0, 0
.LBB151_900:
	s_delay_alu instid0(SALU_CYCLE_1)
	s_and_b32 vcc_lo, exec_lo, s0
	s_cbranch_vccz .LBB151_903
; %bb.901:
	v_cmp_eq_u16_e32 vcc_lo, 29, v5
	s_mov_b32 s2, -1
	s_cbranch_vccz .LBB151_903
; %bb.902:
	s_and_b32 s0, s4, 0xff
	v_and_b32_e64 v4, 0xff, s4
	s_lshl_b32 s0, s0, 23
	s_mov_b32 s2, 0
	v_trunc_f32_e32 v2, s0
	s_delay_alu instid0(VALU_DEP_2) | instskip(NEXT) | instid1(VALU_DEP_2)
	v_cmp_ne_u16_e32 vcc_lo, 0, v4
	v_mul_f32_e32 v3, 0x2f800000, v2
	s_delay_alu instid0(VALU_DEP_1) | instskip(NEXT) | instid1(VALU_DEP_1)
	v_floor_f32_e32 v3, v3
	v_fmamk_f32 v2, v3, 0xcf800000, v2
	v_cvt_u32_f32_e32 v3, v3
	s_delay_alu instid0(VALU_DEP_1) | instskip(NEXT) | instid1(VALU_DEP_3)
	v_cndmask_b32_e32 v3, 0, v3, vcc_lo
	v_cvt_u32_f32_e32 v2, v2
	s_delay_alu instid0(VALU_DEP_1)
	v_cndmask_b32_e32 v2, 0, v2, vcc_lo
	global_store_b64 v[0:1], v[2:3], off
.LBB151_903:
	s_mov_b32 s0, 0
.LBB151_904:
	s_delay_alu instid0(SALU_CYCLE_1)
	s_and_b32 vcc_lo, exec_lo, s0
	s_cbranch_vccz .LBB151_970
; %bb.905:
	v_cmp_gt_i16_e32 vcc_lo, 27, v5
	s_mov_b32 s0, -1
	s_cbranch_vccnz .LBB151_911
; %bb.906:
	v_cmp_lt_i16_e32 vcc_lo, 27, v5
	s_cbranch_vccz .LBB151_908
; %bb.907:
	v_and_b32_e64 v2, 0xff, s4
	s_and_b32 s0, s4, 0xff
	s_delay_alu instid0(SALU_CYCLE_1) | instskip(NEXT) | instid1(SALU_CYCLE_1)
	s_lshl_b32 s0, s0, 23
	v_cvt_u32_f32_e32 v3, s0
	s_delay_alu instid0(VALU_DEP_2) | instskip(SKIP_1) | instid1(VALU_DEP_2)
	v_cmp_ne_u16_e32 vcc_lo, 0, v2
	s_mov_b32 s0, 0
	v_cndmask_b32_e32 v2, 0, v3, vcc_lo
	global_store_b32 v[0:1], v2, off
.LBB151_908:
	s_and_not1_b32 vcc_lo, exec_lo, s0
	s_cbranch_vccnz .LBB151_910
; %bb.909:
	v_and_b32_e64 v2, 0xff, s4
	s_and_b32 s0, s4, 0xff
	s_delay_alu instid0(SALU_CYCLE_1) | instskip(NEXT) | instid1(SALU_CYCLE_1)
	s_lshl_b32 s0, s0, 23
	v_cvt_u32_f32_e32 v3, s0
	s_delay_alu instid0(VALU_DEP_2) | instskip(NEXT) | instid1(VALU_DEP_2)
	v_cmp_ne_u16_e32 vcc_lo, 0, v2
	v_cndmask_b32_e32 v2, 0, v3, vcc_lo
	global_store_b16 v[0:1], v2, off
.LBB151_910:
	s_mov_b32 s0, 0
.LBB151_911:
	s_delay_alu instid0(SALU_CYCLE_1)
	s_and_not1_b32 vcc_lo, exec_lo, s0
	s_cbranch_vccnz .LBB151_970
; %bb.912:
	v_and_b32_e64 v2, 0xff, s4
	v_mov_b32_e32 v3, 0x7f800001
	s_and_b32 s0, s4, 0xff
	v_mov_b32_e32 v4, 0x80
	s_lshl_b32 s9, s0, 23
	v_cmp_eq_u16_e64 s1, 0xff, v2
	v_cmp_eq_u16_e64 s0, 0, v2
	s_mov_b32 s3, 0
	s_delay_alu instid0(VALU_DEP_2) | instskip(NEXT) | instid1(VALU_DEP_1)
	v_cndmask_b32_e64 v3, |s9|, v3, s1
	v_cndmask_b32_e64 v2, v3, 0x400000, s0
	s_delay_alu instid0(VALU_DEP_1)
	v_cmp_lt_u32_e32 vcc_lo, 0x437fffff, v2
	s_cbranch_vccnz .LBB151_969
; %bb.913:
	v_cmp_lt_u32_e32 vcc_lo, 0x3bffffff, v2
	s_cbranch_vccz .LBB151_964
; %bb.914:
	s_add_i32 s3, s9, 0x487ffff
	s_mov_b32 s9, 0
	s_lshr_b32 s3, s3, 20
	s_and_b32 s1, s1, exec_lo
	s_cselect_b32 s1, 0x840, s3
	s_and_b32 s0, s0, exec_lo
	s_cselect_b32 s0, 0x4c, s1
	s_mov_b32 s3, -1
	s_branch .LBB151_965
.LBB151_915:
	s_mov_b32 s0, 0
	s_mov_b32 s8, 0
                                        ; implicit-def: $vgpr5
                                        ; implicit-def: $vgpr0_vgpr1
.LBB151_916:
	s_and_b32 s2, s0, exec_lo
	s_and_not1_b32 s0, s6, exec_lo
	s_and_b32 s1, s5, exec_lo
	s_and_b32 s30, s8, exec_lo
	s_or_b32 s6, s0, s1
.LBB151_917:
	s_or_b32 exec_lo, exec_lo, s7
	s_and_saveexec_b32 s0, s6
	s_cbranch_execz .LBB151_920
; %bb.918:
	; divergent unreachable
	s_or_b32 exec_lo, exec_lo, s0
	s_and_saveexec_b32 s0, s30
	s_delay_alu instid0(SALU_CYCLE_1)
	s_xor_b32 s0, exec_lo, s0
	s_cbranch_execnz .LBB151_921
.LBB151_919:
	s_or_b32 exec_lo, exec_lo, s0
	s_and_saveexec_b32 s0, s2
	s_cbranch_execnz .LBB151_922
	s_branch .LBB151_959
.LBB151_920:
	s_or_b32 exec_lo, exec_lo, s0
	s_and_saveexec_b32 s0, s30
	s_delay_alu instid0(SALU_CYCLE_1)
	s_xor_b32 s0, exec_lo, s0
	s_cbranch_execz .LBB151_919
.LBB151_921:
	v_mov_b32_e32 v2, 1
	global_store_b8 v[0:1], v2, off
	s_or_b32 exec_lo, exec_lo, s0
	s_and_saveexec_b32 s0, s2
	s_cbranch_execz .LBB151_959
.LBB151_922:
	v_cmp_gt_i16_e32 vcc_lo, 5, v5
	s_mov_b32 s0, -1
	s_cbranch_vccnz .LBB151_943
; %bb.923:
	v_cmp_gt_i16_e32 vcc_lo, 8, v5
	s_cbranch_vccnz .LBB151_933
; %bb.924:
	v_cmp_gt_i16_e32 vcc_lo, 9, v5
	s_cbranch_vccnz .LBB151_930
; %bb.925:
	v_cmp_lt_i16_e32 vcc_lo, 9, v5
	s_cbranch_vccz .LBB151_927
; %bb.926:
	s_and_b32 s0, s4, 0xff
	v_and_b32_e64 v4, 0xff, s4
	s_lshl_b32 s0, s0, 23
	v_mov_b32_e32 v8, 0
	v_cvt_f64_f32_e32 v[2:3], s0
	s_mov_b32 s0, 0
	v_cmp_ne_u16_e32 vcc_lo, 0xff, v4
	s_delay_alu instid0(VALU_DEP_2) | instskip(NEXT) | instid1(VALU_DEP_3)
	v_dual_mov_b32 v9, v8 :: v_dual_cndmask_b32 v2, 0x20000000, v2
	v_cndmask_b32_e32 v3, 0x7ff80000, v3, vcc_lo
	v_cmp_ne_u16_e32 vcc_lo, 0, v4
	s_delay_alu instid0(VALU_DEP_2) | instskip(NEXT) | instid1(VALU_DEP_4)
	v_cndmask_b32_e32 v7, 0x38000000, v3, vcc_lo
	v_cndmask_b32_e32 v6, 0, v2, vcc_lo
	global_store_b128 v[0:1], v[6:9], off
.LBB151_927:
	s_and_not1_b32 vcc_lo, exec_lo, s0
	s_cbranch_vccnz .LBB151_929
; %bb.928:
	v_and_b32_e64 v2, 0xff, s4
	s_and_b32 s1, s4, 0xff
	v_mov_b32_e32 v3, 0
	s_lshl_b32 s1, s1, 23
	s_delay_alu instid0(VALU_DEP_2) | instskip(SKIP_3) | instid1(VALU_DEP_1)
	v_cmp_ne_u16_e32 vcc_lo, 0xff, v2
	v_cmp_ne_u16_e64 s0, 0, v2
	s_and_b32 s2, vcc_lo, exec_lo
	s_cselect_b32 s1, s1, 0x7f800001
	s_and_b32 s0, s0, exec_lo
	s_cselect_b32 s0, s1, 0x400000
	s_delay_alu instid0(SALU_CYCLE_1)
	v_mov_b32_e32 v2, s0
	global_store_b64 v[0:1], v[2:3], off
.LBB151_929:
	s_mov_b32 s0, 0
.LBB151_930:
	s_delay_alu instid0(SALU_CYCLE_1)
	s_and_not1_b32 vcc_lo, exec_lo, s0
	s_cbranch_vccnz .LBB151_932
; %bb.931:
	s_and_b32 s0, s4, 0xff
	v_and_b32_e64 v3, 0xff, s4
	s_lshl_b32 s0, s0, 23
	s_delay_alu instid0(SALU_CYCLE_1) | instskip(NEXT) | instid1(VALU_DEP_2)
	v_cvt_f16_f32_e32 v2, s0
	v_cmp_ne_u16_e32 vcc_lo, 0xff, v3
	s_delay_alu instid0(VALU_DEP_2) | instskip(NEXT) | instid1(VALU_DEP_1)
	v_and_b32_e32 v2, 0xffff, v2
	v_cndmask_b32_e32 v2, 0x7e00, v2, vcc_lo
	v_cmp_ne_u16_e32 vcc_lo, 0, v3
	s_delay_alu instid0(VALU_DEP_2)
	v_cndmask_b32_e32 v2, 0, v2, vcc_lo
	global_store_b32 v[0:1], v2, off
.LBB151_932:
	s_mov_b32 s0, 0
.LBB151_933:
	s_delay_alu instid0(SALU_CYCLE_1)
	s_and_not1_b32 vcc_lo, exec_lo, s0
	s_cbranch_vccnz .LBB151_942
; %bb.934:
	v_cmp_gt_i16_e32 vcc_lo, 6, v5
	s_mov_b32 s0, -1
	s_cbranch_vccnz .LBB151_940
; %bb.935:
	v_cmp_lt_i16_e32 vcc_lo, 6, v5
	s_cbranch_vccz .LBB151_937
; %bb.936:
	s_and_b32 s0, s4, 0xff
	v_and_b32_e64 v4, 0xff, s4
	s_lshl_b32 s0, s0, 23
	s_delay_alu instid0(SALU_CYCLE_1) | instskip(SKIP_1) | instid1(VALU_DEP_2)
	v_cvt_f64_f32_e32 v[2:3], s0
	s_mov_b32 s0, 0
	v_cmp_ne_u16_e32 vcc_lo, 0xff, v4
	s_delay_alu instid0(VALU_DEP_2) | instskip(NEXT) | instid1(VALU_DEP_3)
	v_cndmask_b32_e32 v2, 0x20000000, v2, vcc_lo
	v_cndmask_b32_e32 v3, 0x7ff80000, v3, vcc_lo
	v_cmp_ne_u16_e32 vcc_lo, 0, v4
	s_delay_alu instid0(VALU_DEP_2) | instskip(NEXT) | instid1(VALU_DEP_4)
	v_cndmask_b32_e32 v3, 0x38000000, v3, vcc_lo
	v_cndmask_b32_e32 v2, 0, v2, vcc_lo
	global_store_b64 v[0:1], v[2:3], off
.LBB151_937:
	s_and_not1_b32 vcc_lo, exec_lo, s0
	s_cbranch_vccnz .LBB151_939
; %bb.938:
	v_and_b32_e64 v2, 0xff, s4
	s_and_b32 s0, s4, 0xff
	s_delay_alu instid0(SALU_CYCLE_1) | instskip(NEXT) | instid1(SALU_CYCLE_1)
	s_lshl_b32 s0, s0, 23
	v_mov_b32_e32 v3, s0
	s_delay_alu instid0(VALU_DEP_2) | instskip(NEXT) | instid1(VALU_DEP_2)
	v_cmp_ne_u16_e32 vcc_lo, 0xff, v2
	v_cndmask_b32_e32 v3, 0x7f800001, v3, vcc_lo
	v_cmp_ne_u16_e32 vcc_lo, 0, v2
	s_delay_alu instid0(VALU_DEP_2)
	v_cndmask_b32_e32 v2, 0x400000, v3, vcc_lo
	global_store_b32 v[0:1], v2, off
.LBB151_939:
	s_mov_b32 s0, 0
.LBB151_940:
	s_delay_alu instid0(SALU_CYCLE_1)
	s_and_not1_b32 vcc_lo, exec_lo, s0
	s_cbranch_vccnz .LBB151_942
; %bb.941:
	v_and_b32_e64 v2, 0xff, s4
	s_and_b32 s0, s4, 0xff
	s_delay_alu instid0(SALU_CYCLE_1) | instskip(NEXT) | instid1(SALU_CYCLE_1)
	s_lshl_b32 s0, s0, 23
	v_cvt_f16_f32_e32 v3, s0
	s_delay_alu instid0(VALU_DEP_2) | instskip(NEXT) | instid1(VALU_DEP_2)
	v_cmp_ne_u16_e32 vcc_lo, 0xff, v2
	v_cndmask_b32_e32 v3, 0x7e00, v3, vcc_lo
	v_cmp_ne_u16_e32 vcc_lo, 0, v2
	s_delay_alu instid0(VALU_DEP_2)
	v_cndmask_b32_e32 v2, 0, v3, vcc_lo
	global_store_b16 v[0:1], v2, off
.LBB151_942:
	s_mov_b32 s0, 0
.LBB151_943:
	s_delay_alu instid0(SALU_CYCLE_1)
	s_and_not1_b32 vcc_lo, exec_lo, s0
	s_cbranch_vccnz .LBB151_959
; %bb.944:
	v_cmp_gt_i16_e32 vcc_lo, 2, v5
	s_mov_b32 s0, -1
	s_cbranch_vccnz .LBB151_954
; %bb.945:
	v_cmp_gt_i16_e32 vcc_lo, 3, v5
	s_cbranch_vccnz .LBB151_951
; %bb.946:
	v_cmp_lt_i16_e32 vcc_lo, 3, v5
	s_cbranch_vccz .LBB151_948
; %bb.947:
	s_and_b32 s0, s4, 0xff
	v_and_b32_e64 v6, 0xff, s4
	s_lshl_b32 s0, s0, 23
	s_delay_alu instid0(SALU_CYCLE_1) | instskip(SKIP_1) | instid1(VALU_DEP_1)
	v_trunc_f32_e32 v2, s0
	s_mov_b32 s0, 0
	v_mul_f32_e64 v3, 0x2f800000, |v2|
	s_delay_alu instid0(VALU_DEP_1) | instskip(NEXT) | instid1(VALU_DEP_1)
	v_floor_f32_e32 v3, v3
	v_fma_f32 v4, 0xcf800000, v3, |v2|
	v_ashrrev_i32_e32 v2, 31, v2
	v_cvt_u32_f32_e32 v3, v3
	s_delay_alu instid0(VALU_DEP_3) | instskip(NEXT) | instid1(VALU_DEP_2)
	v_cvt_u32_f32_e32 v4, v4
	v_xor_b32_e32 v3, v3, v2
	s_delay_alu instid0(VALU_DEP_2) | instskip(NEXT) | instid1(VALU_DEP_1)
	v_xor_b32_e32 v4, v4, v2
	v_sub_co_u32 v4, vcc_lo, v4, v2
	s_delay_alu instid0(VALU_DEP_3) | instskip(SKIP_1) | instid1(VALU_DEP_2)
	v_sub_co_ci_u32_e32 v2, vcc_lo, v3, v2, vcc_lo
	v_cmp_ne_u16_e32 vcc_lo, 0, v6
	v_dual_cndmask_b32 v3, 0, v2 :: v_dual_cndmask_b32 v2, 0, v4
	global_store_b64 v[0:1], v[2:3], off
.LBB151_948:
	s_and_not1_b32 vcc_lo, exec_lo, s0
	s_cbranch_vccnz .LBB151_950
; %bb.949:
	v_and_b32_e64 v2, 0xff, s4
	s_and_b32 s0, s4, 0xff
	s_delay_alu instid0(SALU_CYCLE_1) | instskip(NEXT) | instid1(SALU_CYCLE_1)
	s_lshl_b32 s0, s0, 23
	v_cvt_i32_f32_e32 v3, s0
	s_delay_alu instid0(VALU_DEP_2) | instskip(NEXT) | instid1(VALU_DEP_2)
	v_cmp_ne_u16_e32 vcc_lo, 0, v2
	v_cndmask_b32_e32 v2, 0, v3, vcc_lo
	global_store_b32 v[0:1], v2, off
.LBB151_950:
	s_mov_b32 s0, 0
.LBB151_951:
	s_delay_alu instid0(SALU_CYCLE_1)
	s_and_not1_b32 vcc_lo, exec_lo, s0
	s_cbranch_vccnz .LBB151_953
; %bb.952:
	v_and_b32_e64 v2, 0xff, s4
	s_and_b32 s0, s4, 0xff
	s_delay_alu instid0(SALU_CYCLE_1) | instskip(NEXT) | instid1(SALU_CYCLE_1)
	s_lshl_b32 s0, s0, 23
	v_cvt_i32_f32_e32 v3, s0
	s_delay_alu instid0(VALU_DEP_2) | instskip(NEXT) | instid1(VALU_DEP_2)
	v_cmp_ne_u16_e32 vcc_lo, 0, v2
	v_cndmask_b32_e32 v2, 0, v3, vcc_lo
	global_store_b16 v[0:1], v2, off
.LBB151_953:
	s_mov_b32 s0, 0
.LBB151_954:
	s_delay_alu instid0(SALU_CYCLE_1)
	s_and_not1_b32 vcc_lo, exec_lo, s0
	s_cbranch_vccnz .LBB151_959
; %bb.955:
	v_cmp_lt_i16_e32 vcc_lo, 0, v5
	s_mov_b32 s0, -1
	s_cbranch_vccz .LBB151_957
; %bb.956:
	v_and_b32_e64 v2, 0xff, s4
	s_and_b32 s0, s4, 0xff
	s_delay_alu instid0(SALU_CYCLE_1) | instskip(NEXT) | instid1(SALU_CYCLE_1)
	s_lshl_b32 s0, s0, 23
	v_cvt_i32_f32_e32 v3, s0
	s_delay_alu instid0(VALU_DEP_2) | instskip(SKIP_1) | instid1(VALU_DEP_2)
	v_cmp_ne_u16_e32 vcc_lo, 0, v2
	s_mov_b32 s0, 0
	v_cndmask_b32_e32 v2, 0, v3, vcc_lo
	global_store_b8 v[0:1], v2, off
.LBB151_957:
	s_and_not1_b32 vcc_lo, exec_lo, s0
	s_cbranch_vccnz .LBB151_959
; %bb.958:
	s_and_b32 s0, s4, 0xff
	v_and_b32_e64 v4, 0xff, s4
	s_lshl_b32 s0, s0, 23
	s_delay_alu instid0(SALU_CYCLE_1) | instskip(NEXT) | instid1(VALU_DEP_2)
	v_trunc_f32_e32 v2, s0
	v_cmp_ne_u16_e32 vcc_lo, 0, v4
	s_delay_alu instid0(VALU_DEP_2) | instskip(NEXT) | instid1(VALU_DEP_1)
	v_mul_f32_e64 v3, 0x2f800000, |v2|
	v_floor_f32_e32 v3, v3
	s_delay_alu instid0(VALU_DEP_1) | instskip(SKIP_1) | instid1(VALU_DEP_2)
	v_fma_f32 v3, 0xcf800000, v3, |v2|
	v_ashrrev_i32_e32 v2, 31, v2
	v_cvt_u32_f32_e32 v3, v3
	s_delay_alu instid0(VALU_DEP_1) | instskip(NEXT) | instid1(VALU_DEP_1)
	v_xor_b32_e32 v3, v3, v2
	v_sub_nc_u32_e32 v2, v3, v2
	s_delay_alu instid0(VALU_DEP_1)
	v_cndmask_b32_e32 v2, 0, v2, vcc_lo
	global_store_b8 v[0:1], v2, off
	s_nop 0
	s_sendmsg sendmsg(MSG_DEALLOC_VGPRS)
	s_endpgm
.LBB151_959:
	s_nop 0
	s_sendmsg sendmsg(MSG_DEALLOC_VGPRS)
	s_endpgm
.LBB151_960:
	s_cbranch_execnz .LBB151_962
; %bb.961:
	s_or_b32 s5, s5, exec_lo
	s_cbranch_execz .LBB151_846
	s_branch .LBB151_847
.LBB151_962:
	s_trap 2
	s_sendmsg_rtn_b32 s0, sendmsg(MSG_RTN_GET_DOORBELL)
	s_mov_b32 ttmp2, m0
	s_waitcnt lgkmcnt(0)
	s_and_b32 s0, s0, 0x3ff
	s_delay_alu instid0(SALU_CYCLE_1) | instskip(NEXT) | instid1(SALU_CYCLE_1)
	s_bitset1_b32 s0, 10
	s_mov_b32 m0, s0
	s_sendmsg sendmsg(MSG_INTERRUPT)
	s_mov_b32 m0, ttmp2
.LBB151_963:                            ; =>This Inner Loop Header: Depth=1
	s_sethalt 5
	s_branch .LBB151_963
.LBB151_964:
	s_mov_b32 s9, -1
                                        ; implicit-def: $sgpr0
.LBB151_965:
	v_mov_b32_e32 v3, s0
	s_and_not1_b32 vcc_lo, exec_lo, s9
                                        ; implicit-def: $sgpr0
	s_cbranch_vccnz .LBB151_967
; %bb.966:
	v_add_f32_e32 v2, 0x46000000, v2
	s_mov_b32 s0, 0
	s_delay_alu instid0(VALU_DEP_1) | instskip(NEXT) | instid1(VALU_DEP_1)
	v_and_b32_e32 v3, 0xff, v2
	v_cmp_ne_u32_e64 s3, 0, v3
.LBB151_967:
	v_mov_b32_e32 v4, s0
	s_delay_alu instid0(VALU_DEP_2)
	s_and_not1_b32 vcc_lo, exec_lo, s3
	s_cbranch_vccnz .LBB151_969
; %bb.968:
	v_mov_b32_e32 v4, v3
.LBB151_969:
	global_store_b8 v[0:1], v4, off
.LBB151_970:
	s_mov_b32 s0, 0
.LBB151_971:
	s_delay_alu instid0(SALU_CYCLE_1)
	s_and_b32 vcc_lo, exec_lo, s0
	s_cbranch_vccz .LBB151_1017
; %bb.972:
	v_cmp_lt_i16_e32 vcc_lo, 22, v5
	s_mov_b32 s0, -1
	s_cbranch_vccz .LBB151_1010
; %bb.973:
	v_cmp_gt_i16_e32 vcc_lo, 24, v5
	s_cbranch_vccnz .LBB151_997
; %bb.974:
	v_cmp_lt_i16_e32 vcc_lo, 24, v5
	s_mov_b32 s3, -1
	s_cbranch_vccz .LBB151_984
; %bb.975:
	v_and_b32_e64 v2, 0xff, s4
	v_mov_b32_e32 v3, 0x7f800001
	s_and_b32 s0, s4, 0xff
	v_mov_b32_e32 v4, 0x80
	s_lshl_b32 s8, s0, 23
	v_cmp_eq_u16_e64 s1, 0xff, v2
	v_cmp_eq_u16_e64 s0, 0, v2
	s_mov_b32 s3, 0
	s_delay_alu instid0(VALU_DEP_2) | instskip(NEXT) | instid1(VALU_DEP_1)
	v_cndmask_b32_e64 v3, |s8|, v3, s1
	v_cndmask_b32_e64 v2, v3, 0x400000, s0
	s_delay_alu instid0(VALU_DEP_1)
	v_cmp_lt_u32_e32 vcc_lo, 0x477fffff, v2
	s_cbranch_vccnz .LBB151_983
; %bb.976:
	v_cmp_lt_u32_e32 vcc_lo, 0x37ffffff, v2
	s_cbranch_vccz .LBB151_978
; %bb.977:
	s_add_i32 s9, s8, 0x88fffff
	s_mov_b32 s8, 0
	s_lshr_b32 s9, s9, 21
	s_and_b32 s1, s1, exec_lo
	s_cselect_b32 s1, 0x440, s9
	s_and_b32 s0, s0, exec_lo
	s_cselect_b32 s1, 0x46, s1
	s_mov_b32 s0, -1
	s_branch .LBB151_979
.LBB151_978:
	s_mov_b32 s8, -1
	s_mov_b32 s0, 0
                                        ; implicit-def: $sgpr1
.LBB151_979:
	v_mov_b32_e32 v3, s1
	s_and_not1_b32 vcc_lo, exec_lo, s8
                                        ; implicit-def: $sgpr1
	s_cbranch_vccnz .LBB151_981
; %bb.980:
	v_add_f32_e32 v2, 0x42800000, v2
	s_mov_b32 s1, 0
	s_delay_alu instid0(VALU_DEP_1) | instskip(NEXT) | instid1(VALU_DEP_1)
	v_and_b32_e32 v3, 0xff, v2
	v_cmp_ne_u32_e64 s0, 0, v3
.LBB151_981:
	v_mov_b32_e32 v4, s1
	s_delay_alu instid0(VALU_DEP_2)
	s_and_not1_b32 vcc_lo, exec_lo, s0
	s_cbranch_vccnz .LBB151_983
; %bb.982:
	v_mov_b32_e32 v4, v3
.LBB151_983:
	global_store_b8 v[0:1], v4, off
.LBB151_984:
	s_and_b32 vcc_lo, exec_lo, s3
	s_cbranch_vccz .LBB151_996
; %bb.985:
	v_and_b32_e64 v2, 0xff, s4
	v_mov_b32_e32 v3, 0x7f800001
	s_and_b32 s0, s4, 0xff
	s_delay_alu instid0(SALU_CYCLE_1) | instskip(NEXT) | instid1(VALU_DEP_2)
	s_lshl_b32 s3, s0, 23
	v_cmp_eq_u16_e64 s1, 0xff, v2
	v_cmp_eq_u16_e64 s0, 0, v2
	s_delay_alu instid0(VALU_DEP_2) | instskip(NEXT) | instid1(VALU_DEP_1)
	v_cndmask_b32_e64 v3, |s3|, v3, s1
	v_cndmask_b32_e64 v2, v3, 0x400000, s0
	s_delay_alu instid0(VALU_DEP_1)
	v_cmp_gt_u32_e32 vcc_lo, 0x43f00000, v2
	s_cbranch_vccz .LBB151_988
; %bb.986:
	v_cmp_lt_u32_e32 vcc_lo, 0x3c7fffff, v2
	s_cbranch_vccz .LBB151_989
; %bb.987:
	s_add_i32 s3, s3, 0x407ffff
	s_delay_alu instid0(SALU_CYCLE_1)
	s_lshr_b32 s3, s3, 20
	s_and_b32 s1, s1, exec_lo
	s_cselect_b32 s1, 0x838, s3
	s_and_b32 s0, s0, exec_lo
	s_cselect_b32 s1, 0x44, s1
	s_mov_b32 s0, 0
	s_branch .LBB151_990
.LBB151_988:
	s_mov_b32 s0, -1
                                        ; implicit-def: $vgpr3
	s_branch .LBB151_993
.LBB151_989:
	s_mov_b32 s0, -1
                                        ; implicit-def: $sgpr1
.LBB151_990:
	v_mov_b32_e32 v3, s1
	s_and_not1_b32 vcc_lo, exec_lo, s0
	s_cbranch_vccnz .LBB151_992
; %bb.991:
	v_add_f32_e32 v3, 0x46800000, v2
.LBB151_992:
	s_mov_b32 s0, 0
.LBB151_993:
	s_delay_alu instid0(SALU_CYCLE_1)
	s_and_not1_b32 vcc_lo, exec_lo, s0
	s_cbranch_vccnz .LBB151_995
; %bb.994:
	v_mov_b32_e32 v3, 0x7f
	v_cmp_lt_u32_e32 vcc_lo, 0x7f800000, v2
	s_delay_alu instid0(VALU_DEP_2)
	v_cndmask_b32_e32 v3, 0x7e, v3, vcc_lo
.LBB151_995:
	global_store_b8 v[0:1], v3, off
.LBB151_996:
	s_mov_b32 s0, 0
.LBB151_997:
	s_delay_alu instid0(SALU_CYCLE_1)
	s_and_not1_b32 vcc_lo, exec_lo, s0
	s_cbranch_vccnz .LBB151_1009
; %bb.998:
	v_and_b32_e64 v2, 0xff, s4
	v_mov_b32_e32 v3, 0x7f800001
	s_and_b32 s0, s4, 0xff
	s_delay_alu instid0(SALU_CYCLE_1) | instskip(NEXT) | instid1(VALU_DEP_2)
	s_lshl_b32 s3, s0, 23
	v_cmp_eq_u16_e64 s1, 0xff, v2
	v_cmp_eq_u16_e64 s0, 0, v2
	s_delay_alu instid0(VALU_DEP_2) | instskip(NEXT) | instid1(VALU_DEP_1)
	v_cndmask_b32_e64 v3, |s3|, v3, s1
	v_cndmask_b32_e64 v2, v3, 0x400000, s0
	s_delay_alu instid0(VALU_DEP_1)
	v_cmp_gt_u32_e32 vcc_lo, 0x47800000, v2
	s_cbranch_vccz .LBB151_1001
; %bb.999:
	v_cmp_lt_u32_e32 vcc_lo, 0x387fffff, v2
	s_cbranch_vccz .LBB151_1002
; %bb.1000:
	s_add_i32 s3, s3, 0x80fffff
	s_delay_alu instid0(SALU_CYCLE_1)
	s_lshr_b32 s3, s3, 21
	s_and_b32 s1, s1, exec_lo
	s_cselect_b32 s1, 0x43c, s3
	s_and_b32 s0, s0, exec_lo
	s_cselect_b32 s1, 0x42, s1
	s_mov_b32 s0, 0
	s_branch .LBB151_1003
.LBB151_1001:
	s_mov_b32 s0, -1
                                        ; implicit-def: $vgpr3
	s_branch .LBB151_1006
.LBB151_1002:
	s_mov_b32 s0, -1
                                        ; implicit-def: $sgpr1
.LBB151_1003:
	v_mov_b32_e32 v3, s1
	s_and_not1_b32 vcc_lo, exec_lo, s0
	s_cbranch_vccnz .LBB151_1005
; %bb.1004:
	v_add_f32_e32 v3, 0x43000000, v2
.LBB151_1005:
	s_mov_b32 s0, 0
.LBB151_1006:
	s_delay_alu instid0(SALU_CYCLE_1)
	s_and_not1_b32 vcc_lo, exec_lo, s0
	s_cbranch_vccnz .LBB151_1008
; %bb.1007:
	v_mov_b32_e32 v3, 0x7f
	v_cmp_lt_u32_e32 vcc_lo, 0x7f800000, v2
	s_delay_alu instid0(VALU_DEP_2)
	v_cndmask_b32_e32 v3, 0x7c, v3, vcc_lo
.LBB151_1008:
	global_store_b8 v[0:1], v3, off
.LBB151_1009:
	s_mov_b32 s0, 0
.LBB151_1010:
	s_delay_alu instid0(SALU_CYCLE_1)
	s_and_not1_b32 vcc_lo, exec_lo, s0
	s_mov_b32 s8, 0
	s_cbranch_vccnz .LBB151_1017
; %bb.1011:
	v_cmp_lt_i16_e32 vcc_lo, 14, v5
	s_mov_b32 s0, -1
	s_cbranch_vccz .LBB151_1015
; %bb.1012:
	v_cmp_eq_u16_e32 vcc_lo, 15, v5
	s_mov_b32 s2, -1
	s_cbranch_vccz .LBB151_1014
; %bb.1013:
	v_and_b32_e64 v2, 0xff, s4
	s_and_b32 s0, s4, 0xff
	s_mov_b32 s2, 0
	s_lshl_b32 s0, s0, 23
	s_delay_alu instid0(SALU_CYCLE_1) | instskip(SKIP_1) | instid1(VALU_DEP_2)
	v_mov_b32_e32 v3, s0
	v_cmp_ne_u16_e32 vcc_lo, 0xff, v2
	v_cndmask_b32_e32 v3, 0x7f800001, v3, vcc_lo
	v_cmp_ne_u16_e32 vcc_lo, 0, v2
	s_delay_alu instid0(VALU_DEP_2) | instskip(NEXT) | instid1(VALU_DEP_1)
	v_cndmask_b32_e32 v2, 0x400000, v3, vcc_lo
	v_add_nc_u32_e32 v3, 0x7fff, v2
	v_cmp_o_f32_e32 vcc_lo, v2, v2
	s_delay_alu instid0(VALU_DEP_2) | instskip(NEXT) | instid1(VALU_DEP_1)
	v_lshrrev_b32_e32 v3, 16, v3
	v_cndmask_b32_e32 v2, 0x7fc0, v3, vcc_lo
	global_store_b16 v[0:1], v2, off
.LBB151_1014:
	s_mov_b32 s0, 0
.LBB151_1015:
	s_delay_alu instid0(SALU_CYCLE_1)
	s_and_b32 vcc_lo, exec_lo, s0
	s_cbranch_vccz .LBB151_1017
; %bb.1016:
	v_cmp_ne_u16_e64 s2, 11, v5
	s_mov_b32 s8, -1
.LBB151_1017:
	s_delay_alu instid0(VALU_DEP_1)
	s_and_b32 vcc_lo, exec_lo, s2
	s_cbranch_vccnz .LBB151_1019
.LBB151_1018:
	s_mov_b32 s0, 0
	s_branch .LBB151_916
.LBB151_1019:
	s_cbranch_execnz .LBB151_1021
; %bb.1020:
	s_mov_b32 s8, 0
	s_or_b32 s5, s5, exec_lo
	s_branch .LBB151_1018
.LBB151_1021:
	s_trap 2
	s_sendmsg_rtn_b32 s0, sendmsg(MSG_RTN_GET_DOORBELL)
	s_mov_b32 ttmp2, m0
	s_waitcnt lgkmcnt(0)
	s_and_b32 s0, s0, 0x3ff
	s_delay_alu instid0(SALU_CYCLE_1) | instskip(NEXT) | instid1(SALU_CYCLE_1)
	s_bitset1_b32 s0, 10
	s_mov_b32 m0, s0
	s_sendmsg sendmsg(MSG_INTERRUPT)
	s_mov_b32 m0, ttmp2
.LBB151_1022:                           ; =>This Inner Loop Header: Depth=1
	s_sethalt 5
	s_branch .LBB151_1022
	.section	.rodata,"a",@progbits
	.p2align	6, 0x0
	.amdhsa_kernel _ZN2at6native32elementwise_kernel_manual_unrollILi128ELi4EZNS0_15gpu_kernel_implINS0_11FillFunctorIN3c1014Float8_e8m0fnuEEEEEvRNS_18TensorIteratorBaseERKT_EUlibE0_EEviT1_
		.amdhsa_group_segment_fixed_size 0
		.amdhsa_private_segment_fixed_size 0
		.amdhsa_kernarg_size 288
		.amdhsa_user_sgpr_count 15
		.amdhsa_user_sgpr_dispatch_ptr 0
		.amdhsa_user_sgpr_queue_ptr 0
		.amdhsa_user_sgpr_kernarg_segment_ptr 1
		.amdhsa_user_sgpr_dispatch_id 0
		.amdhsa_user_sgpr_private_segment_size 0
		.amdhsa_wavefront_size32 1
		.amdhsa_uses_dynamic_stack 0
		.amdhsa_enable_private_segment 0
		.amdhsa_system_sgpr_workgroup_id_x 1
		.amdhsa_system_sgpr_workgroup_id_y 0
		.amdhsa_system_sgpr_workgroup_id_z 0
		.amdhsa_system_sgpr_workgroup_info 0
		.amdhsa_system_vgpr_workitem_id 0
		.amdhsa_next_free_vgpr 30
		.amdhsa_next_free_sgpr 68
		.amdhsa_reserve_vcc 1
		.amdhsa_float_round_mode_32 0
		.amdhsa_float_round_mode_16_64 0
		.amdhsa_float_denorm_mode_32 3
		.amdhsa_float_denorm_mode_16_64 3
		.amdhsa_dx10_clamp 1
		.amdhsa_ieee_mode 1
		.amdhsa_fp16_overflow 0
		.amdhsa_workgroup_processor_mode 1
		.amdhsa_memory_ordered 1
		.amdhsa_forward_progress 0
		.amdhsa_shared_vgpr_count 0
		.amdhsa_exception_fp_ieee_invalid_op 0
		.amdhsa_exception_fp_denorm_src 0
		.amdhsa_exception_fp_ieee_div_zero 0
		.amdhsa_exception_fp_ieee_overflow 0
		.amdhsa_exception_fp_ieee_underflow 0
		.amdhsa_exception_fp_ieee_inexact 0
		.amdhsa_exception_int_div_zero 0
	.end_amdhsa_kernel
	.section	.text._ZN2at6native32elementwise_kernel_manual_unrollILi128ELi4EZNS0_15gpu_kernel_implINS0_11FillFunctorIN3c1014Float8_e8m0fnuEEEEEvRNS_18TensorIteratorBaseERKT_EUlibE0_EEviT1_,"axG",@progbits,_ZN2at6native32elementwise_kernel_manual_unrollILi128ELi4EZNS0_15gpu_kernel_implINS0_11FillFunctorIN3c1014Float8_e8m0fnuEEEEEvRNS_18TensorIteratorBaseERKT_EUlibE0_EEviT1_,comdat
.Lfunc_end151:
	.size	_ZN2at6native32elementwise_kernel_manual_unrollILi128ELi4EZNS0_15gpu_kernel_implINS0_11FillFunctorIN3c1014Float8_e8m0fnuEEEEEvRNS_18TensorIteratorBaseERKT_EUlibE0_EEviT1_, .Lfunc_end151-_ZN2at6native32elementwise_kernel_manual_unrollILi128ELi4EZNS0_15gpu_kernel_implINS0_11FillFunctorIN3c1014Float8_e8m0fnuEEEEEvRNS_18TensorIteratorBaseERKT_EUlibE0_EEviT1_
                                        ; -- End function
	.section	.AMDGPU.csdata,"",@progbits
; Kernel info:
; codeLenInByte = 23044
; NumSgprs: 70
; NumVgprs: 30
; ScratchSize: 0
; MemoryBound: 0
; FloatMode: 240
; IeeeMode: 1
; LDSByteSize: 0 bytes/workgroup (compile time only)
; SGPRBlocks: 8
; VGPRBlocks: 3
; NumSGPRsForWavesPerEU: 70
; NumVGPRsForWavesPerEU: 30
; Occupancy: 16
; WaveLimiterHint : 1
; COMPUTE_PGM_RSRC2:SCRATCH_EN: 0
; COMPUTE_PGM_RSRC2:USER_SGPR: 15
; COMPUTE_PGM_RSRC2:TRAP_HANDLER: 0
; COMPUTE_PGM_RSRC2:TGID_X_EN: 1
; COMPUTE_PGM_RSRC2:TGID_Y_EN: 0
; COMPUTE_PGM_RSRC2:TGID_Z_EN: 0
; COMPUTE_PGM_RSRC2:TIDIG_COMP_CNT: 0
	.section	.text._ZN2at6native29vectorized_elementwise_kernelILi16ENS0_11FillFunctorItEESt5arrayIPcLm1EEEEviT0_T1_,"axG",@progbits,_ZN2at6native29vectorized_elementwise_kernelILi16ENS0_11FillFunctorItEESt5arrayIPcLm1EEEEviT0_T1_,comdat
	.protected	_ZN2at6native29vectorized_elementwise_kernelILi16ENS0_11FillFunctorItEESt5arrayIPcLm1EEEEviT0_T1_ ; -- Begin function _ZN2at6native29vectorized_elementwise_kernelILi16ENS0_11FillFunctorItEESt5arrayIPcLm1EEEEviT0_T1_
	.globl	_ZN2at6native29vectorized_elementwise_kernelILi16ENS0_11FillFunctorItEESt5arrayIPcLm1EEEEviT0_T1_
	.p2align	8
	.type	_ZN2at6native29vectorized_elementwise_kernelILi16ENS0_11FillFunctorItEESt5arrayIPcLm1EEEEviT0_T1_,@function
_ZN2at6native29vectorized_elementwise_kernelILi16ENS0_11FillFunctorItEESt5arrayIPcLm1EEEEviT0_T1_: ; @_ZN2at6native29vectorized_elementwise_kernelILi16ENS0_11FillFunctorItEESt5arrayIPcLm1EEEEviT0_T1_
; %bb.0:
	s_load_b128 s[0:3], s[0:1], 0x0
	s_lshl_b32 s4, s15, 11
	s_mov_b32 s5, -1
	s_waitcnt lgkmcnt(0)
	s_sub_i32 s6, s0, s4
	s_pack_ll_b32_b16 s0, s1, s1
	s_cmpk_gt_i32 s6, 0x7ff
	s_cbranch_scc0 .LBB152_2
; %bb.1:
	s_ashr_i32 s5, s4, 31
	v_dual_mov_b32 v1, s0 :: v_dual_mov_b32 v2, s0
	v_dual_mov_b32 v4, s0 :: v_dual_lshlrev_b32 v5, 4, v0
	s_lshl_b64 s[8:9], s[4:5], 1
	v_mov_b32_e32 v3, s0
	s_add_u32 s8, s2, s8
	s_addc_u32 s9, s3, s9
	s_mov_b32 s5, 0
	global_store_b128 v5, v[1:4], s[8:9]
.LBB152_2:
	s_and_not1_b32 vcc_lo, exec_lo, s5
	s_cbranch_vccnz .LBB152_12
; %bb.3:
	v_or_b32_e32 v5, 0x100, v0
	v_mov_b32_e32 v1, s0
	v_or_b32_e32 v2, 0x300, v0
	v_or_b32_e32 v6, 0x500, v0
	s_and_b32 s5, 0xffff, s1
	v_cmp_gt_i32_e64 s0, s6, v5
	v_or_b32_e32 v7, 0x700, v0
	s_delay_alu instid0(VALU_DEP_2) | instskip(SKIP_1) | instid1(VALU_DEP_1)
	v_cndmask_b32_e64 v4, s1, v1, s0
	v_cmp_gt_i32_e64 s0, s6, v2
	v_cndmask_b32_e64 v3, s5, v1, s0
	v_cmp_gt_i32_e64 s0, s6, v6
	s_delay_alu instid0(VALU_DEP_1) | instskip(SKIP_1) | instid1(VALU_DEP_1)
	v_cndmask_b32_e64 v2, s1, v1, s0
	v_cmp_gt_i32_e64 s0, s6, v7
	v_cndmask_b32_e64 v1, s5, v1, s0
	s_mov_b32 s0, exec_lo
	v_cmpx_gt_i32_e64 s6, v0
	s_cbranch_execnz .LBB152_13
; %bb.4:
	s_or_b32 exec_lo, exec_lo, s0
	s_delay_alu instid0(SALU_CYCLE_1)
	s_mov_b32 s0, exec_lo
	v_cmpx_gt_i32_e64 s6, v0
	s_cbranch_execnz .LBB152_14
.LBB152_5:
	s_or_b32 exec_lo, exec_lo, s0
	s_delay_alu instid0(SALU_CYCLE_1)
	s_mov_b32 s0, exec_lo
	v_cmpx_gt_i32_e64 s6, v0
	s_cbranch_execnz .LBB152_15
.LBB152_6:
	s_or_b32 exec_lo, exec_lo, s0
	s_delay_alu instid0(SALU_CYCLE_1)
	s_mov_b32 s0, exec_lo
	v_cmpx_gt_i32_e64 s6, v0
	s_cbranch_execnz .LBB152_16
.LBB152_7:
	s_or_b32 exec_lo, exec_lo, s0
	s_delay_alu instid0(SALU_CYCLE_1)
	s_mov_b32 s0, exec_lo
	v_cmpx_gt_i32_e64 s6, v0
	s_cbranch_execnz .LBB152_17
.LBB152_8:
	s_or_b32 exec_lo, exec_lo, s0
	s_delay_alu instid0(SALU_CYCLE_1)
	s_mov_b32 s0, exec_lo
	v_cmpx_gt_i32_e64 s6, v0
	s_cbranch_execnz .LBB152_18
.LBB152_9:
	s_or_b32 exec_lo, exec_lo, s0
	s_delay_alu instid0(SALU_CYCLE_1)
	s_mov_b32 s0, exec_lo
	v_cmpx_gt_i32_e64 s6, v0
	s_cbranch_execnz .LBB152_19
.LBB152_10:
	s_or_b32 exec_lo, exec_lo, s0
	s_delay_alu instid0(SALU_CYCLE_1)
	s_mov_b32 s0, exec_lo
	v_cmpx_gt_i32_e64 s6, v0
	s_cbranch_execz .LBB152_12
.LBB152_11:
	v_dual_mov_b32 v3, 0 :: v_dual_add_nc_u32 v2, s4, v0
	s_delay_alu instid0(VALU_DEP_1) | instskip(NEXT) | instid1(VALU_DEP_1)
	v_lshlrev_b64 v[2:3], 1, v[2:3]
	v_add_co_u32 v2, vcc_lo, s2, v2
	s_delay_alu instid0(VALU_DEP_2)
	v_add_co_ci_u32_e32 v3, vcc_lo, s3, v3, vcc_lo
	global_store_d16_hi_b16 v[2:3], v1, off
.LBB152_12:
	s_nop 0
	s_sendmsg sendmsg(MSG_DEALLOC_VGPRS)
	s_endpgm
.LBB152_13:
	v_or_b32_e32 v6, s4, v0
	v_dual_mov_b32 v7, 0 :: v_dual_mov_b32 v0, v5
	s_delay_alu instid0(VALU_DEP_1) | instskip(NEXT) | instid1(VALU_DEP_1)
	v_lshlrev_b64 v[6:7], 1, v[6:7]
	v_add_co_u32 v6, vcc_lo, s2, v6
	s_delay_alu instid0(VALU_DEP_2) | instskip(SKIP_2) | instid1(SALU_CYCLE_1)
	v_add_co_ci_u32_e32 v7, vcc_lo, s3, v7, vcc_lo
	global_store_b16 v[6:7], v4, off
	s_or_b32 exec_lo, exec_lo, s0
	s_mov_b32 s0, exec_lo
	v_cmpx_gt_i32_e64 s6, v0
	s_cbranch_execz .LBB152_5
.LBB152_14:
	v_dual_mov_b32 v6, 0 :: v_dual_add_nc_u32 v5, s4, v0
	v_add_nc_u32_e32 v0, 0x100, v0
	s_delay_alu instid0(VALU_DEP_2) | instskip(NEXT) | instid1(VALU_DEP_1)
	v_lshlrev_b64 v[5:6], 1, v[5:6]
	v_add_co_u32 v5, vcc_lo, s2, v5
	s_delay_alu instid0(VALU_DEP_2) | instskip(SKIP_2) | instid1(SALU_CYCLE_1)
	v_add_co_ci_u32_e32 v6, vcc_lo, s3, v6, vcc_lo
	global_store_d16_hi_b16 v[5:6], v4, off
	s_or_b32 exec_lo, exec_lo, s0
	s_mov_b32 s0, exec_lo
	v_cmpx_gt_i32_e64 s6, v0
	s_cbranch_execz .LBB152_6
.LBB152_15:
	v_dual_mov_b32 v5, 0 :: v_dual_add_nc_u32 v4, s4, v0
	v_add_nc_u32_e32 v0, 0x100, v0
	s_delay_alu instid0(VALU_DEP_2) | instskip(NEXT) | instid1(VALU_DEP_1)
	v_lshlrev_b64 v[4:5], 1, v[4:5]
	v_add_co_u32 v4, vcc_lo, s2, v4
	s_delay_alu instid0(VALU_DEP_2) | instskip(SKIP_2) | instid1(SALU_CYCLE_1)
	v_add_co_ci_u32_e32 v5, vcc_lo, s3, v5, vcc_lo
	global_store_b16 v[4:5], v3, off
	s_or_b32 exec_lo, exec_lo, s0
	s_mov_b32 s0, exec_lo
	v_cmpx_gt_i32_e64 s6, v0
	s_cbranch_execz .LBB152_7
.LBB152_16:
	v_dual_mov_b32 v5, 0 :: v_dual_add_nc_u32 v4, s4, v0
	v_add_nc_u32_e32 v0, 0x100, v0
	s_delay_alu instid0(VALU_DEP_2) | instskip(NEXT) | instid1(VALU_DEP_1)
	v_lshlrev_b64 v[4:5], 1, v[4:5]
	v_add_co_u32 v4, vcc_lo, s2, v4
	s_delay_alu instid0(VALU_DEP_2) | instskip(SKIP_2) | instid1(SALU_CYCLE_1)
	v_add_co_ci_u32_e32 v5, vcc_lo, s3, v5, vcc_lo
	global_store_d16_hi_b16 v[4:5], v3, off
	s_or_b32 exec_lo, exec_lo, s0
	s_mov_b32 s0, exec_lo
	v_cmpx_gt_i32_e64 s6, v0
	s_cbranch_execz .LBB152_8
.LBB152_17:
	v_dual_mov_b32 v4, 0 :: v_dual_add_nc_u32 v3, s4, v0
	v_add_nc_u32_e32 v0, 0x100, v0
	s_delay_alu instid0(VALU_DEP_2) | instskip(NEXT) | instid1(VALU_DEP_1)
	v_lshlrev_b64 v[3:4], 1, v[3:4]
	v_add_co_u32 v3, vcc_lo, s2, v3
	s_delay_alu instid0(VALU_DEP_2) | instskip(SKIP_2) | instid1(SALU_CYCLE_1)
	v_add_co_ci_u32_e32 v4, vcc_lo, s3, v4, vcc_lo
	global_store_b16 v[3:4], v2, off
	s_or_b32 exec_lo, exec_lo, s0
	s_mov_b32 s0, exec_lo
	v_cmpx_gt_i32_e64 s6, v0
	s_cbranch_execz .LBB152_9
.LBB152_18:
	v_dual_mov_b32 v4, 0 :: v_dual_add_nc_u32 v3, s4, v0
	v_add_nc_u32_e32 v0, 0x100, v0
	s_delay_alu instid0(VALU_DEP_2) | instskip(NEXT) | instid1(VALU_DEP_1)
	v_lshlrev_b64 v[3:4], 1, v[3:4]
	v_add_co_u32 v3, vcc_lo, s2, v3
	s_delay_alu instid0(VALU_DEP_2) | instskip(SKIP_2) | instid1(SALU_CYCLE_1)
	v_add_co_ci_u32_e32 v4, vcc_lo, s3, v4, vcc_lo
	global_store_d16_hi_b16 v[3:4], v2, off
	s_or_b32 exec_lo, exec_lo, s0
	s_mov_b32 s0, exec_lo
	v_cmpx_gt_i32_e64 s6, v0
	s_cbranch_execz .LBB152_10
.LBB152_19:
	v_dual_mov_b32 v3, 0 :: v_dual_add_nc_u32 v2, s4, v0
	v_add_nc_u32_e32 v0, 0x100, v0
	s_delay_alu instid0(VALU_DEP_2) | instskip(NEXT) | instid1(VALU_DEP_1)
	v_lshlrev_b64 v[2:3], 1, v[2:3]
	v_add_co_u32 v2, vcc_lo, s2, v2
	s_delay_alu instid0(VALU_DEP_2) | instskip(SKIP_2) | instid1(SALU_CYCLE_1)
	v_add_co_ci_u32_e32 v3, vcc_lo, s3, v3, vcc_lo
	global_store_b16 v[2:3], v1, off
	s_or_b32 exec_lo, exec_lo, s0
	s_mov_b32 s0, exec_lo
	v_cmpx_gt_i32_e64 s6, v0
	s_cbranch_execnz .LBB152_11
	s_branch .LBB152_12
	.section	.rodata,"a",@progbits
	.p2align	6, 0x0
	.amdhsa_kernel _ZN2at6native29vectorized_elementwise_kernelILi16ENS0_11FillFunctorItEESt5arrayIPcLm1EEEEviT0_T1_
		.amdhsa_group_segment_fixed_size 0
		.amdhsa_private_segment_fixed_size 0
		.amdhsa_kernarg_size 16
		.amdhsa_user_sgpr_count 15
		.amdhsa_user_sgpr_dispatch_ptr 0
		.amdhsa_user_sgpr_queue_ptr 0
		.amdhsa_user_sgpr_kernarg_segment_ptr 1
		.amdhsa_user_sgpr_dispatch_id 0
		.amdhsa_user_sgpr_private_segment_size 0
		.amdhsa_wavefront_size32 1
		.amdhsa_uses_dynamic_stack 0
		.amdhsa_enable_private_segment 0
		.amdhsa_system_sgpr_workgroup_id_x 1
		.amdhsa_system_sgpr_workgroup_id_y 0
		.amdhsa_system_sgpr_workgroup_id_z 0
		.amdhsa_system_sgpr_workgroup_info 0
		.amdhsa_system_vgpr_workitem_id 0
		.amdhsa_next_free_vgpr 8
		.amdhsa_next_free_sgpr 16
		.amdhsa_reserve_vcc 1
		.amdhsa_float_round_mode_32 0
		.amdhsa_float_round_mode_16_64 0
		.amdhsa_float_denorm_mode_32 3
		.amdhsa_float_denorm_mode_16_64 3
		.amdhsa_dx10_clamp 1
		.amdhsa_ieee_mode 1
		.amdhsa_fp16_overflow 0
		.amdhsa_workgroup_processor_mode 1
		.amdhsa_memory_ordered 1
		.amdhsa_forward_progress 0
		.amdhsa_shared_vgpr_count 0
		.amdhsa_exception_fp_ieee_invalid_op 0
		.amdhsa_exception_fp_denorm_src 0
		.amdhsa_exception_fp_ieee_div_zero 0
		.amdhsa_exception_fp_ieee_overflow 0
		.amdhsa_exception_fp_ieee_underflow 0
		.amdhsa_exception_fp_ieee_inexact 0
		.amdhsa_exception_int_div_zero 0
	.end_amdhsa_kernel
	.section	.text._ZN2at6native29vectorized_elementwise_kernelILi16ENS0_11FillFunctorItEESt5arrayIPcLm1EEEEviT0_T1_,"axG",@progbits,_ZN2at6native29vectorized_elementwise_kernelILi16ENS0_11FillFunctorItEESt5arrayIPcLm1EEEEviT0_T1_,comdat
.Lfunc_end152:
	.size	_ZN2at6native29vectorized_elementwise_kernelILi16ENS0_11FillFunctorItEESt5arrayIPcLm1EEEEviT0_T1_, .Lfunc_end152-_ZN2at6native29vectorized_elementwise_kernelILi16ENS0_11FillFunctorItEESt5arrayIPcLm1EEEEviT0_T1_
                                        ; -- End function
	.section	.AMDGPU.csdata,"",@progbits
; Kernel info:
; codeLenInByte = 952
; NumSgprs: 18
; NumVgprs: 8
; ScratchSize: 0
; MemoryBound: 0
; FloatMode: 240
; IeeeMode: 1
; LDSByteSize: 0 bytes/workgroup (compile time only)
; SGPRBlocks: 2
; VGPRBlocks: 0
; NumSGPRsForWavesPerEU: 18
; NumVGPRsForWavesPerEU: 8
; Occupancy: 16
; WaveLimiterHint : 0
; COMPUTE_PGM_RSRC2:SCRATCH_EN: 0
; COMPUTE_PGM_RSRC2:USER_SGPR: 15
; COMPUTE_PGM_RSRC2:TRAP_HANDLER: 0
; COMPUTE_PGM_RSRC2:TGID_X_EN: 1
; COMPUTE_PGM_RSRC2:TGID_Y_EN: 0
; COMPUTE_PGM_RSRC2:TGID_Z_EN: 0
; COMPUTE_PGM_RSRC2:TIDIG_COMP_CNT: 0
	.section	.text._ZN2at6native29vectorized_elementwise_kernelILi8ENS0_11FillFunctorItEESt5arrayIPcLm1EEEEviT0_T1_,"axG",@progbits,_ZN2at6native29vectorized_elementwise_kernelILi8ENS0_11FillFunctorItEESt5arrayIPcLm1EEEEviT0_T1_,comdat
	.protected	_ZN2at6native29vectorized_elementwise_kernelILi8ENS0_11FillFunctorItEESt5arrayIPcLm1EEEEviT0_T1_ ; -- Begin function _ZN2at6native29vectorized_elementwise_kernelILi8ENS0_11FillFunctorItEESt5arrayIPcLm1EEEEviT0_T1_
	.globl	_ZN2at6native29vectorized_elementwise_kernelILi8ENS0_11FillFunctorItEESt5arrayIPcLm1EEEEviT0_T1_
	.p2align	8
	.type	_ZN2at6native29vectorized_elementwise_kernelILi8ENS0_11FillFunctorItEESt5arrayIPcLm1EEEEviT0_T1_,@function
_ZN2at6native29vectorized_elementwise_kernelILi8ENS0_11FillFunctorItEESt5arrayIPcLm1EEEEviT0_T1_: ; @_ZN2at6native29vectorized_elementwise_kernelILi8ENS0_11FillFunctorItEESt5arrayIPcLm1EEEEviT0_T1_
; %bb.0:
	s_load_b128 s[0:3], s[0:1], 0x0
	s_lshl_b32 s4, s15, 11
	s_mov_b32 s5, -1
	s_waitcnt lgkmcnt(0)
	s_sub_i32 s6, s0, s4
	s_pack_ll_b32_b16 s0, s1, s1
	s_cmpk_gt_i32 s6, 0x7ff
	s_cbranch_scc0 .LBB153_2
; %bb.1:
	s_ashr_i32 s5, s4, 31
	v_dual_mov_b32 v1, s0 :: v_dual_mov_b32 v2, s0
	v_dual_mov_b32 v4, s0 :: v_dual_lshlrev_b32 v5, 4, v0
	s_lshl_b64 s[8:9], s[4:5], 1
	v_mov_b32_e32 v3, s0
	s_add_u32 s8, s2, s8
	s_addc_u32 s9, s3, s9
	s_mov_b32 s5, 0
	global_store_b128 v5, v[1:4], s[8:9]
.LBB153_2:
	s_and_not1_b32 vcc_lo, exec_lo, s5
	s_cbranch_vccnz .LBB153_12
; %bb.3:
	v_or_b32_e32 v5, 0x100, v0
	v_mov_b32_e32 v1, s0
	v_or_b32_e32 v2, 0x300, v0
	v_or_b32_e32 v6, 0x500, v0
	s_and_b32 s5, 0xffff, s1
	v_cmp_gt_i32_e64 s0, s6, v5
	v_or_b32_e32 v7, 0x700, v0
	s_delay_alu instid0(VALU_DEP_2) | instskip(SKIP_1) | instid1(VALU_DEP_1)
	v_cndmask_b32_e64 v4, s1, v1, s0
	v_cmp_gt_i32_e64 s0, s6, v2
	v_cndmask_b32_e64 v3, s5, v1, s0
	v_cmp_gt_i32_e64 s0, s6, v6
	s_delay_alu instid0(VALU_DEP_1) | instskip(SKIP_1) | instid1(VALU_DEP_1)
	v_cndmask_b32_e64 v2, s1, v1, s0
	v_cmp_gt_i32_e64 s0, s6, v7
	v_cndmask_b32_e64 v1, s5, v1, s0
	s_mov_b32 s0, exec_lo
	v_cmpx_gt_i32_e64 s6, v0
	s_cbranch_execnz .LBB153_13
; %bb.4:
	s_or_b32 exec_lo, exec_lo, s0
	s_delay_alu instid0(SALU_CYCLE_1)
	s_mov_b32 s0, exec_lo
	v_cmpx_gt_i32_e64 s6, v0
	s_cbranch_execnz .LBB153_14
.LBB153_5:
	s_or_b32 exec_lo, exec_lo, s0
	s_delay_alu instid0(SALU_CYCLE_1)
	s_mov_b32 s0, exec_lo
	v_cmpx_gt_i32_e64 s6, v0
	s_cbranch_execnz .LBB153_15
.LBB153_6:
	s_or_b32 exec_lo, exec_lo, s0
	s_delay_alu instid0(SALU_CYCLE_1)
	s_mov_b32 s0, exec_lo
	v_cmpx_gt_i32_e64 s6, v0
	s_cbranch_execnz .LBB153_16
.LBB153_7:
	s_or_b32 exec_lo, exec_lo, s0
	s_delay_alu instid0(SALU_CYCLE_1)
	s_mov_b32 s0, exec_lo
	v_cmpx_gt_i32_e64 s6, v0
	s_cbranch_execnz .LBB153_17
.LBB153_8:
	s_or_b32 exec_lo, exec_lo, s0
	s_delay_alu instid0(SALU_CYCLE_1)
	s_mov_b32 s0, exec_lo
	v_cmpx_gt_i32_e64 s6, v0
	s_cbranch_execnz .LBB153_18
.LBB153_9:
	s_or_b32 exec_lo, exec_lo, s0
	s_delay_alu instid0(SALU_CYCLE_1)
	s_mov_b32 s0, exec_lo
	v_cmpx_gt_i32_e64 s6, v0
	s_cbranch_execnz .LBB153_19
.LBB153_10:
	s_or_b32 exec_lo, exec_lo, s0
	s_delay_alu instid0(SALU_CYCLE_1)
	s_mov_b32 s0, exec_lo
	v_cmpx_gt_i32_e64 s6, v0
	s_cbranch_execz .LBB153_12
.LBB153_11:
	v_dual_mov_b32 v3, 0 :: v_dual_add_nc_u32 v2, s4, v0
	s_delay_alu instid0(VALU_DEP_1) | instskip(NEXT) | instid1(VALU_DEP_1)
	v_lshlrev_b64 v[2:3], 1, v[2:3]
	v_add_co_u32 v2, vcc_lo, s2, v2
	s_delay_alu instid0(VALU_DEP_2)
	v_add_co_ci_u32_e32 v3, vcc_lo, s3, v3, vcc_lo
	global_store_d16_hi_b16 v[2:3], v1, off
.LBB153_12:
	s_nop 0
	s_sendmsg sendmsg(MSG_DEALLOC_VGPRS)
	s_endpgm
.LBB153_13:
	v_or_b32_e32 v6, s4, v0
	v_dual_mov_b32 v7, 0 :: v_dual_mov_b32 v0, v5
	s_delay_alu instid0(VALU_DEP_1) | instskip(NEXT) | instid1(VALU_DEP_1)
	v_lshlrev_b64 v[6:7], 1, v[6:7]
	v_add_co_u32 v6, vcc_lo, s2, v6
	s_delay_alu instid0(VALU_DEP_2) | instskip(SKIP_2) | instid1(SALU_CYCLE_1)
	v_add_co_ci_u32_e32 v7, vcc_lo, s3, v7, vcc_lo
	global_store_b16 v[6:7], v4, off
	s_or_b32 exec_lo, exec_lo, s0
	s_mov_b32 s0, exec_lo
	v_cmpx_gt_i32_e64 s6, v0
	s_cbranch_execz .LBB153_5
.LBB153_14:
	v_dual_mov_b32 v6, 0 :: v_dual_add_nc_u32 v5, s4, v0
	v_add_nc_u32_e32 v0, 0x100, v0
	s_delay_alu instid0(VALU_DEP_2) | instskip(NEXT) | instid1(VALU_DEP_1)
	v_lshlrev_b64 v[5:6], 1, v[5:6]
	v_add_co_u32 v5, vcc_lo, s2, v5
	s_delay_alu instid0(VALU_DEP_2) | instskip(SKIP_2) | instid1(SALU_CYCLE_1)
	v_add_co_ci_u32_e32 v6, vcc_lo, s3, v6, vcc_lo
	global_store_d16_hi_b16 v[5:6], v4, off
	s_or_b32 exec_lo, exec_lo, s0
	s_mov_b32 s0, exec_lo
	v_cmpx_gt_i32_e64 s6, v0
	s_cbranch_execz .LBB153_6
.LBB153_15:
	v_dual_mov_b32 v5, 0 :: v_dual_add_nc_u32 v4, s4, v0
	v_add_nc_u32_e32 v0, 0x100, v0
	s_delay_alu instid0(VALU_DEP_2) | instskip(NEXT) | instid1(VALU_DEP_1)
	v_lshlrev_b64 v[4:5], 1, v[4:5]
	v_add_co_u32 v4, vcc_lo, s2, v4
	s_delay_alu instid0(VALU_DEP_2) | instskip(SKIP_2) | instid1(SALU_CYCLE_1)
	v_add_co_ci_u32_e32 v5, vcc_lo, s3, v5, vcc_lo
	global_store_b16 v[4:5], v3, off
	s_or_b32 exec_lo, exec_lo, s0
	s_mov_b32 s0, exec_lo
	v_cmpx_gt_i32_e64 s6, v0
	s_cbranch_execz .LBB153_7
.LBB153_16:
	v_dual_mov_b32 v5, 0 :: v_dual_add_nc_u32 v4, s4, v0
	v_add_nc_u32_e32 v0, 0x100, v0
	s_delay_alu instid0(VALU_DEP_2) | instskip(NEXT) | instid1(VALU_DEP_1)
	v_lshlrev_b64 v[4:5], 1, v[4:5]
	v_add_co_u32 v4, vcc_lo, s2, v4
	s_delay_alu instid0(VALU_DEP_2) | instskip(SKIP_2) | instid1(SALU_CYCLE_1)
	v_add_co_ci_u32_e32 v5, vcc_lo, s3, v5, vcc_lo
	global_store_d16_hi_b16 v[4:5], v3, off
	s_or_b32 exec_lo, exec_lo, s0
	s_mov_b32 s0, exec_lo
	v_cmpx_gt_i32_e64 s6, v0
	s_cbranch_execz .LBB153_8
.LBB153_17:
	v_dual_mov_b32 v4, 0 :: v_dual_add_nc_u32 v3, s4, v0
	v_add_nc_u32_e32 v0, 0x100, v0
	s_delay_alu instid0(VALU_DEP_2) | instskip(NEXT) | instid1(VALU_DEP_1)
	v_lshlrev_b64 v[3:4], 1, v[3:4]
	v_add_co_u32 v3, vcc_lo, s2, v3
	s_delay_alu instid0(VALU_DEP_2) | instskip(SKIP_2) | instid1(SALU_CYCLE_1)
	v_add_co_ci_u32_e32 v4, vcc_lo, s3, v4, vcc_lo
	global_store_b16 v[3:4], v2, off
	s_or_b32 exec_lo, exec_lo, s0
	s_mov_b32 s0, exec_lo
	v_cmpx_gt_i32_e64 s6, v0
	s_cbranch_execz .LBB153_9
.LBB153_18:
	v_dual_mov_b32 v4, 0 :: v_dual_add_nc_u32 v3, s4, v0
	v_add_nc_u32_e32 v0, 0x100, v0
	s_delay_alu instid0(VALU_DEP_2) | instskip(NEXT) | instid1(VALU_DEP_1)
	v_lshlrev_b64 v[3:4], 1, v[3:4]
	v_add_co_u32 v3, vcc_lo, s2, v3
	s_delay_alu instid0(VALU_DEP_2) | instskip(SKIP_2) | instid1(SALU_CYCLE_1)
	v_add_co_ci_u32_e32 v4, vcc_lo, s3, v4, vcc_lo
	global_store_d16_hi_b16 v[3:4], v2, off
	s_or_b32 exec_lo, exec_lo, s0
	s_mov_b32 s0, exec_lo
	v_cmpx_gt_i32_e64 s6, v0
	s_cbranch_execz .LBB153_10
.LBB153_19:
	v_dual_mov_b32 v3, 0 :: v_dual_add_nc_u32 v2, s4, v0
	v_add_nc_u32_e32 v0, 0x100, v0
	s_delay_alu instid0(VALU_DEP_2) | instskip(NEXT) | instid1(VALU_DEP_1)
	v_lshlrev_b64 v[2:3], 1, v[2:3]
	v_add_co_u32 v2, vcc_lo, s2, v2
	s_delay_alu instid0(VALU_DEP_2) | instskip(SKIP_2) | instid1(SALU_CYCLE_1)
	v_add_co_ci_u32_e32 v3, vcc_lo, s3, v3, vcc_lo
	global_store_b16 v[2:3], v1, off
	s_or_b32 exec_lo, exec_lo, s0
	s_mov_b32 s0, exec_lo
	v_cmpx_gt_i32_e64 s6, v0
	s_cbranch_execnz .LBB153_11
	s_branch .LBB153_12
	.section	.rodata,"a",@progbits
	.p2align	6, 0x0
	.amdhsa_kernel _ZN2at6native29vectorized_elementwise_kernelILi8ENS0_11FillFunctorItEESt5arrayIPcLm1EEEEviT0_T1_
		.amdhsa_group_segment_fixed_size 0
		.amdhsa_private_segment_fixed_size 0
		.amdhsa_kernarg_size 16
		.amdhsa_user_sgpr_count 15
		.amdhsa_user_sgpr_dispatch_ptr 0
		.amdhsa_user_sgpr_queue_ptr 0
		.amdhsa_user_sgpr_kernarg_segment_ptr 1
		.amdhsa_user_sgpr_dispatch_id 0
		.amdhsa_user_sgpr_private_segment_size 0
		.amdhsa_wavefront_size32 1
		.amdhsa_uses_dynamic_stack 0
		.amdhsa_enable_private_segment 0
		.amdhsa_system_sgpr_workgroup_id_x 1
		.amdhsa_system_sgpr_workgroup_id_y 0
		.amdhsa_system_sgpr_workgroup_id_z 0
		.amdhsa_system_sgpr_workgroup_info 0
		.amdhsa_system_vgpr_workitem_id 0
		.amdhsa_next_free_vgpr 8
		.amdhsa_next_free_sgpr 16
		.amdhsa_reserve_vcc 1
		.amdhsa_float_round_mode_32 0
		.amdhsa_float_round_mode_16_64 0
		.amdhsa_float_denorm_mode_32 3
		.amdhsa_float_denorm_mode_16_64 3
		.amdhsa_dx10_clamp 1
		.amdhsa_ieee_mode 1
		.amdhsa_fp16_overflow 0
		.amdhsa_workgroup_processor_mode 1
		.amdhsa_memory_ordered 1
		.amdhsa_forward_progress 0
		.amdhsa_shared_vgpr_count 0
		.amdhsa_exception_fp_ieee_invalid_op 0
		.amdhsa_exception_fp_denorm_src 0
		.amdhsa_exception_fp_ieee_div_zero 0
		.amdhsa_exception_fp_ieee_overflow 0
		.amdhsa_exception_fp_ieee_underflow 0
		.amdhsa_exception_fp_ieee_inexact 0
		.amdhsa_exception_int_div_zero 0
	.end_amdhsa_kernel
	.section	.text._ZN2at6native29vectorized_elementwise_kernelILi8ENS0_11FillFunctorItEESt5arrayIPcLm1EEEEviT0_T1_,"axG",@progbits,_ZN2at6native29vectorized_elementwise_kernelILi8ENS0_11FillFunctorItEESt5arrayIPcLm1EEEEviT0_T1_,comdat
.Lfunc_end153:
	.size	_ZN2at6native29vectorized_elementwise_kernelILi8ENS0_11FillFunctorItEESt5arrayIPcLm1EEEEviT0_T1_, .Lfunc_end153-_ZN2at6native29vectorized_elementwise_kernelILi8ENS0_11FillFunctorItEESt5arrayIPcLm1EEEEviT0_T1_
                                        ; -- End function
	.section	.AMDGPU.csdata,"",@progbits
; Kernel info:
; codeLenInByte = 952
; NumSgprs: 18
; NumVgprs: 8
; ScratchSize: 0
; MemoryBound: 0
; FloatMode: 240
; IeeeMode: 1
; LDSByteSize: 0 bytes/workgroup (compile time only)
; SGPRBlocks: 2
; VGPRBlocks: 0
; NumSGPRsForWavesPerEU: 18
; NumVGPRsForWavesPerEU: 8
; Occupancy: 16
; WaveLimiterHint : 0
; COMPUTE_PGM_RSRC2:SCRATCH_EN: 0
; COMPUTE_PGM_RSRC2:USER_SGPR: 15
; COMPUTE_PGM_RSRC2:TRAP_HANDLER: 0
; COMPUTE_PGM_RSRC2:TGID_X_EN: 1
; COMPUTE_PGM_RSRC2:TGID_Y_EN: 0
; COMPUTE_PGM_RSRC2:TGID_Z_EN: 0
; COMPUTE_PGM_RSRC2:TIDIG_COMP_CNT: 0
	.section	.text._ZN2at6native29vectorized_elementwise_kernelILi4ENS0_11FillFunctorItEESt5arrayIPcLm1EEEEviT0_T1_,"axG",@progbits,_ZN2at6native29vectorized_elementwise_kernelILi4ENS0_11FillFunctorItEESt5arrayIPcLm1EEEEviT0_T1_,comdat
	.protected	_ZN2at6native29vectorized_elementwise_kernelILi4ENS0_11FillFunctorItEESt5arrayIPcLm1EEEEviT0_T1_ ; -- Begin function _ZN2at6native29vectorized_elementwise_kernelILi4ENS0_11FillFunctorItEESt5arrayIPcLm1EEEEviT0_T1_
	.globl	_ZN2at6native29vectorized_elementwise_kernelILi4ENS0_11FillFunctorItEESt5arrayIPcLm1EEEEviT0_T1_
	.p2align	8
	.type	_ZN2at6native29vectorized_elementwise_kernelILi4ENS0_11FillFunctorItEESt5arrayIPcLm1EEEEviT0_T1_,@function
_ZN2at6native29vectorized_elementwise_kernelILi4ENS0_11FillFunctorItEESt5arrayIPcLm1EEEEviT0_T1_: ; @_ZN2at6native29vectorized_elementwise_kernelILi4ENS0_11FillFunctorItEESt5arrayIPcLm1EEEEviT0_T1_
; %bb.0:
	s_load_b128 s[0:3], s[0:1], 0x0
	s_lshl_b32 s4, s15, 11
	s_waitcnt lgkmcnt(0)
	s_sub_i32 s6, s0, s4
	s_mov_b32 s0, -1
	s_cmpk_gt_i32 s6, 0x7ff
	s_cbranch_scc0 .LBB154_2
; %bb.1:
	s_ashr_i32 s5, s4, 31
	s_delay_alu instid0(SALU_CYCLE_1) | instskip(NEXT) | instid1(SALU_CYCLE_1)
	s_lshl_b64 s[8:9], s[4:5], 1
	s_add_u32 s8, s2, s8
	s_addc_u32 s9, s3, s9
	s_and_b32 s0, 0xffff, s1
	s_delay_alu instid0(SALU_CYCLE_1)
	s_mul_i32 s10, s0, 0x10001
	s_mov_b32 s0, 0
	s_mov_b32 s11, s10
	v_mov_b32_e32 v1, s10
	v_dual_mov_b32 v2, s11 :: v_dual_lshlrev_b32 v3, 3, v0
	s_clause 0x1
	global_store_b64 v3, v[1:2], s[8:9]
	global_store_b64 v3, v[1:2], s[8:9] offset:2048
.LBB154_2:
	s_and_not1_b32 vcc_lo, exec_lo, s0
	s_cbranch_vccnz .LBB154_12
; %bb.3:
	v_or_b32_e32 v5, 0x100, v0
	s_pack_ll_b32_b16 s0, s1, s1
	v_or_b32_e32 v2, 0x300, v0
	v_mov_b32_e32 v1, s0
	v_or_b32_e32 v6, 0x500, v0
	v_cmp_gt_i32_e64 s0, s6, v5
	s_and_b32 s5, 0xffff, s1
	v_or_b32_e32 v7, 0x700, v0
	s_delay_alu instid0(VALU_DEP_2) | instskip(SKIP_1) | instid1(VALU_DEP_1)
	v_cndmask_b32_e64 v4, s1, v1, s0
	v_cmp_gt_i32_e64 s0, s6, v2
	v_cndmask_b32_e64 v3, s5, v1, s0
	v_cmp_gt_i32_e64 s0, s6, v6
	s_delay_alu instid0(VALU_DEP_1) | instskip(SKIP_1) | instid1(VALU_DEP_1)
	v_cndmask_b32_e64 v2, s1, v1, s0
	v_cmp_gt_i32_e64 s0, s6, v7
	v_cndmask_b32_e64 v1, s5, v1, s0
	s_mov_b32 s0, exec_lo
	v_cmpx_gt_i32_e64 s6, v0
	s_cbranch_execnz .LBB154_13
; %bb.4:
	s_or_b32 exec_lo, exec_lo, s0
	s_delay_alu instid0(SALU_CYCLE_1)
	s_mov_b32 s0, exec_lo
	v_cmpx_gt_i32_e64 s6, v0
	s_cbranch_execnz .LBB154_14
.LBB154_5:
	s_or_b32 exec_lo, exec_lo, s0
	s_delay_alu instid0(SALU_CYCLE_1)
	s_mov_b32 s0, exec_lo
	v_cmpx_gt_i32_e64 s6, v0
	s_cbranch_execnz .LBB154_15
.LBB154_6:
	s_or_b32 exec_lo, exec_lo, s0
	s_delay_alu instid0(SALU_CYCLE_1)
	s_mov_b32 s0, exec_lo
	v_cmpx_gt_i32_e64 s6, v0
	s_cbranch_execnz .LBB154_16
.LBB154_7:
	s_or_b32 exec_lo, exec_lo, s0
	s_delay_alu instid0(SALU_CYCLE_1)
	s_mov_b32 s0, exec_lo
	v_cmpx_gt_i32_e64 s6, v0
	s_cbranch_execnz .LBB154_17
.LBB154_8:
	s_or_b32 exec_lo, exec_lo, s0
	s_delay_alu instid0(SALU_CYCLE_1)
	s_mov_b32 s0, exec_lo
	v_cmpx_gt_i32_e64 s6, v0
	s_cbranch_execnz .LBB154_18
.LBB154_9:
	s_or_b32 exec_lo, exec_lo, s0
	s_delay_alu instid0(SALU_CYCLE_1)
	s_mov_b32 s0, exec_lo
	v_cmpx_gt_i32_e64 s6, v0
	s_cbranch_execnz .LBB154_19
.LBB154_10:
	s_or_b32 exec_lo, exec_lo, s0
	s_delay_alu instid0(SALU_CYCLE_1)
	s_mov_b32 s0, exec_lo
	v_cmpx_gt_i32_e64 s6, v0
	s_cbranch_execz .LBB154_12
.LBB154_11:
	v_dual_mov_b32 v3, 0 :: v_dual_add_nc_u32 v2, s4, v0
	s_delay_alu instid0(VALU_DEP_1) | instskip(NEXT) | instid1(VALU_DEP_1)
	v_lshlrev_b64 v[2:3], 1, v[2:3]
	v_add_co_u32 v2, vcc_lo, s2, v2
	s_delay_alu instid0(VALU_DEP_2)
	v_add_co_ci_u32_e32 v3, vcc_lo, s3, v3, vcc_lo
	global_store_d16_hi_b16 v[2:3], v1, off
.LBB154_12:
	s_nop 0
	s_sendmsg sendmsg(MSG_DEALLOC_VGPRS)
	s_endpgm
.LBB154_13:
	v_or_b32_e32 v6, s4, v0
	v_dual_mov_b32 v7, 0 :: v_dual_mov_b32 v0, v5
	s_delay_alu instid0(VALU_DEP_1) | instskip(NEXT) | instid1(VALU_DEP_1)
	v_lshlrev_b64 v[6:7], 1, v[6:7]
	v_add_co_u32 v6, vcc_lo, s2, v6
	s_delay_alu instid0(VALU_DEP_2) | instskip(SKIP_2) | instid1(SALU_CYCLE_1)
	v_add_co_ci_u32_e32 v7, vcc_lo, s3, v7, vcc_lo
	global_store_b16 v[6:7], v4, off
	s_or_b32 exec_lo, exec_lo, s0
	s_mov_b32 s0, exec_lo
	v_cmpx_gt_i32_e64 s6, v0
	s_cbranch_execz .LBB154_5
.LBB154_14:
	v_dual_mov_b32 v6, 0 :: v_dual_add_nc_u32 v5, s4, v0
	v_add_nc_u32_e32 v0, 0x100, v0
	s_delay_alu instid0(VALU_DEP_2) | instskip(NEXT) | instid1(VALU_DEP_1)
	v_lshlrev_b64 v[5:6], 1, v[5:6]
	v_add_co_u32 v5, vcc_lo, s2, v5
	s_delay_alu instid0(VALU_DEP_2) | instskip(SKIP_2) | instid1(SALU_CYCLE_1)
	v_add_co_ci_u32_e32 v6, vcc_lo, s3, v6, vcc_lo
	global_store_d16_hi_b16 v[5:6], v4, off
	s_or_b32 exec_lo, exec_lo, s0
	s_mov_b32 s0, exec_lo
	v_cmpx_gt_i32_e64 s6, v0
	s_cbranch_execz .LBB154_6
.LBB154_15:
	v_dual_mov_b32 v5, 0 :: v_dual_add_nc_u32 v4, s4, v0
	v_add_nc_u32_e32 v0, 0x100, v0
	s_delay_alu instid0(VALU_DEP_2) | instskip(NEXT) | instid1(VALU_DEP_1)
	v_lshlrev_b64 v[4:5], 1, v[4:5]
	v_add_co_u32 v4, vcc_lo, s2, v4
	s_delay_alu instid0(VALU_DEP_2) | instskip(SKIP_2) | instid1(SALU_CYCLE_1)
	v_add_co_ci_u32_e32 v5, vcc_lo, s3, v5, vcc_lo
	global_store_b16 v[4:5], v3, off
	s_or_b32 exec_lo, exec_lo, s0
	s_mov_b32 s0, exec_lo
	v_cmpx_gt_i32_e64 s6, v0
	s_cbranch_execz .LBB154_7
.LBB154_16:
	v_dual_mov_b32 v5, 0 :: v_dual_add_nc_u32 v4, s4, v0
	v_add_nc_u32_e32 v0, 0x100, v0
	s_delay_alu instid0(VALU_DEP_2) | instskip(NEXT) | instid1(VALU_DEP_1)
	v_lshlrev_b64 v[4:5], 1, v[4:5]
	v_add_co_u32 v4, vcc_lo, s2, v4
	s_delay_alu instid0(VALU_DEP_2) | instskip(SKIP_2) | instid1(SALU_CYCLE_1)
	v_add_co_ci_u32_e32 v5, vcc_lo, s3, v5, vcc_lo
	global_store_d16_hi_b16 v[4:5], v3, off
	s_or_b32 exec_lo, exec_lo, s0
	s_mov_b32 s0, exec_lo
	v_cmpx_gt_i32_e64 s6, v0
	s_cbranch_execz .LBB154_8
.LBB154_17:
	v_dual_mov_b32 v4, 0 :: v_dual_add_nc_u32 v3, s4, v0
	v_add_nc_u32_e32 v0, 0x100, v0
	s_delay_alu instid0(VALU_DEP_2) | instskip(NEXT) | instid1(VALU_DEP_1)
	v_lshlrev_b64 v[3:4], 1, v[3:4]
	v_add_co_u32 v3, vcc_lo, s2, v3
	s_delay_alu instid0(VALU_DEP_2) | instskip(SKIP_2) | instid1(SALU_CYCLE_1)
	v_add_co_ci_u32_e32 v4, vcc_lo, s3, v4, vcc_lo
	global_store_b16 v[3:4], v2, off
	s_or_b32 exec_lo, exec_lo, s0
	s_mov_b32 s0, exec_lo
	v_cmpx_gt_i32_e64 s6, v0
	s_cbranch_execz .LBB154_9
.LBB154_18:
	v_dual_mov_b32 v4, 0 :: v_dual_add_nc_u32 v3, s4, v0
	v_add_nc_u32_e32 v0, 0x100, v0
	s_delay_alu instid0(VALU_DEP_2) | instskip(NEXT) | instid1(VALU_DEP_1)
	v_lshlrev_b64 v[3:4], 1, v[3:4]
	v_add_co_u32 v3, vcc_lo, s2, v3
	s_delay_alu instid0(VALU_DEP_2) | instskip(SKIP_2) | instid1(SALU_CYCLE_1)
	v_add_co_ci_u32_e32 v4, vcc_lo, s3, v4, vcc_lo
	global_store_d16_hi_b16 v[3:4], v2, off
	s_or_b32 exec_lo, exec_lo, s0
	s_mov_b32 s0, exec_lo
	v_cmpx_gt_i32_e64 s6, v0
	s_cbranch_execz .LBB154_10
.LBB154_19:
	v_dual_mov_b32 v3, 0 :: v_dual_add_nc_u32 v2, s4, v0
	v_add_nc_u32_e32 v0, 0x100, v0
	s_delay_alu instid0(VALU_DEP_2) | instskip(NEXT) | instid1(VALU_DEP_1)
	v_lshlrev_b64 v[2:3], 1, v[2:3]
	v_add_co_u32 v2, vcc_lo, s2, v2
	s_delay_alu instid0(VALU_DEP_2) | instskip(SKIP_2) | instid1(SALU_CYCLE_1)
	v_add_co_ci_u32_e32 v3, vcc_lo, s3, v3, vcc_lo
	global_store_b16 v[2:3], v1, off
	s_or_b32 exec_lo, exec_lo, s0
	s_mov_b32 s0, exec_lo
	v_cmpx_gt_i32_e64 s6, v0
	s_cbranch_execnz .LBB154_11
	s_branch .LBB154_12
	.section	.rodata,"a",@progbits
	.p2align	6, 0x0
	.amdhsa_kernel _ZN2at6native29vectorized_elementwise_kernelILi4ENS0_11FillFunctorItEESt5arrayIPcLm1EEEEviT0_T1_
		.amdhsa_group_segment_fixed_size 0
		.amdhsa_private_segment_fixed_size 0
		.amdhsa_kernarg_size 16
		.amdhsa_user_sgpr_count 15
		.amdhsa_user_sgpr_dispatch_ptr 0
		.amdhsa_user_sgpr_queue_ptr 0
		.amdhsa_user_sgpr_kernarg_segment_ptr 1
		.amdhsa_user_sgpr_dispatch_id 0
		.amdhsa_user_sgpr_private_segment_size 0
		.amdhsa_wavefront_size32 1
		.amdhsa_uses_dynamic_stack 0
		.amdhsa_enable_private_segment 0
		.amdhsa_system_sgpr_workgroup_id_x 1
		.amdhsa_system_sgpr_workgroup_id_y 0
		.amdhsa_system_sgpr_workgroup_id_z 0
		.amdhsa_system_sgpr_workgroup_info 0
		.amdhsa_system_vgpr_workitem_id 0
		.amdhsa_next_free_vgpr 8
		.amdhsa_next_free_sgpr 16
		.amdhsa_reserve_vcc 1
		.amdhsa_float_round_mode_32 0
		.amdhsa_float_round_mode_16_64 0
		.amdhsa_float_denorm_mode_32 3
		.amdhsa_float_denorm_mode_16_64 3
		.amdhsa_dx10_clamp 1
		.amdhsa_ieee_mode 1
		.amdhsa_fp16_overflow 0
		.amdhsa_workgroup_processor_mode 1
		.amdhsa_memory_ordered 1
		.amdhsa_forward_progress 0
		.amdhsa_shared_vgpr_count 0
		.amdhsa_exception_fp_ieee_invalid_op 0
		.amdhsa_exception_fp_denorm_src 0
		.amdhsa_exception_fp_ieee_div_zero 0
		.amdhsa_exception_fp_ieee_overflow 0
		.amdhsa_exception_fp_ieee_underflow 0
		.amdhsa_exception_fp_ieee_inexact 0
		.amdhsa_exception_int_div_zero 0
	.end_amdhsa_kernel
	.section	.text._ZN2at6native29vectorized_elementwise_kernelILi4ENS0_11FillFunctorItEESt5arrayIPcLm1EEEEviT0_T1_,"axG",@progbits,_ZN2at6native29vectorized_elementwise_kernelILi4ENS0_11FillFunctorItEESt5arrayIPcLm1EEEEviT0_T1_,comdat
.Lfunc_end154:
	.size	_ZN2at6native29vectorized_elementwise_kernelILi4ENS0_11FillFunctorItEESt5arrayIPcLm1EEEEviT0_T1_, .Lfunc_end154-_ZN2at6native29vectorized_elementwise_kernelILi4ENS0_11FillFunctorItEESt5arrayIPcLm1EEEEviT0_T1_
                                        ; -- End function
	.section	.AMDGPU.csdata,"",@progbits
; Kernel info:
; codeLenInByte = 984
; NumSgprs: 18
; NumVgprs: 8
; ScratchSize: 0
; MemoryBound: 0
; FloatMode: 240
; IeeeMode: 1
; LDSByteSize: 0 bytes/workgroup (compile time only)
; SGPRBlocks: 2
; VGPRBlocks: 0
; NumSGPRsForWavesPerEU: 18
; NumVGPRsForWavesPerEU: 8
; Occupancy: 16
; WaveLimiterHint : 1
; COMPUTE_PGM_RSRC2:SCRATCH_EN: 0
; COMPUTE_PGM_RSRC2:USER_SGPR: 15
; COMPUTE_PGM_RSRC2:TRAP_HANDLER: 0
; COMPUTE_PGM_RSRC2:TGID_X_EN: 1
; COMPUTE_PGM_RSRC2:TGID_Y_EN: 0
; COMPUTE_PGM_RSRC2:TGID_Z_EN: 0
; COMPUTE_PGM_RSRC2:TIDIG_COMP_CNT: 0
	.section	.text._ZN2at6native29vectorized_elementwise_kernelILi2ENS0_11FillFunctorItEESt5arrayIPcLm1EEEEviT0_T1_,"axG",@progbits,_ZN2at6native29vectorized_elementwise_kernelILi2ENS0_11FillFunctorItEESt5arrayIPcLm1EEEEviT0_T1_,comdat
	.protected	_ZN2at6native29vectorized_elementwise_kernelILi2ENS0_11FillFunctorItEESt5arrayIPcLm1EEEEviT0_T1_ ; -- Begin function _ZN2at6native29vectorized_elementwise_kernelILi2ENS0_11FillFunctorItEESt5arrayIPcLm1EEEEviT0_T1_
	.globl	_ZN2at6native29vectorized_elementwise_kernelILi2ENS0_11FillFunctorItEESt5arrayIPcLm1EEEEviT0_T1_
	.p2align	8
	.type	_ZN2at6native29vectorized_elementwise_kernelILi2ENS0_11FillFunctorItEESt5arrayIPcLm1EEEEviT0_T1_,@function
_ZN2at6native29vectorized_elementwise_kernelILi2ENS0_11FillFunctorItEESt5arrayIPcLm1EEEEviT0_T1_: ; @_ZN2at6native29vectorized_elementwise_kernelILi2ENS0_11FillFunctorItEESt5arrayIPcLm1EEEEviT0_T1_
; %bb.0:
	s_load_b128 s[0:3], s[0:1], 0x0
	s_lshl_b32 s4, s15, 11
	s_waitcnt lgkmcnt(0)
	s_sub_i32 s6, s0, s4
	s_mov_b32 s0, -1
	s_cmpk_gt_i32 s6, 0x7ff
	s_cbranch_scc0 .LBB155_2
; %bb.1:
	s_ashr_i32 s5, s4, 31
	s_delay_alu instid0(SALU_CYCLE_1) | instskip(NEXT) | instid1(SALU_CYCLE_1)
	s_lshl_b64 s[8:9], s[4:5], 1
	s_add_u32 s8, s2, s8
	s_addc_u32 s9, s3, s9
	s_and_b32 s0, 0xffff, s1
	s_delay_alu instid0(SALU_CYCLE_1) | instskip(NEXT) | instid1(SALU_CYCLE_1)
	s_mul_i32 s0, s0, 0x10001
	v_dual_mov_b32 v2, s0 :: v_dual_lshlrev_b32 v1, 2, v0
	s_mov_b32 s0, 0
	s_clause 0x3
	global_store_b32 v1, v2, s[8:9]
	global_store_b32 v1, v2, s[8:9] offset:1024
	global_store_b32 v1, v2, s[8:9] offset:2048
	;; [unrolled: 1-line block ×3, first 2 shown]
.LBB155_2:
	s_and_not1_b32 vcc_lo, exec_lo, s0
	s_cbranch_vccnz .LBB155_12
; %bb.3:
	v_or_b32_e32 v5, 0x100, v0
	s_pack_ll_b32_b16 s0, s1, s1
	v_or_b32_e32 v2, 0x300, v0
	v_mov_b32_e32 v1, s0
	v_or_b32_e32 v6, 0x500, v0
	v_cmp_gt_i32_e64 s0, s6, v5
	s_and_b32 s5, 0xffff, s1
	v_or_b32_e32 v7, 0x700, v0
	s_delay_alu instid0(VALU_DEP_2) | instskip(SKIP_1) | instid1(VALU_DEP_1)
	v_cndmask_b32_e64 v4, s1, v1, s0
	v_cmp_gt_i32_e64 s0, s6, v2
	v_cndmask_b32_e64 v3, s5, v1, s0
	v_cmp_gt_i32_e64 s0, s6, v6
	s_delay_alu instid0(VALU_DEP_1) | instskip(SKIP_1) | instid1(VALU_DEP_1)
	v_cndmask_b32_e64 v2, s1, v1, s0
	v_cmp_gt_i32_e64 s0, s6, v7
	v_cndmask_b32_e64 v1, s5, v1, s0
	s_mov_b32 s0, exec_lo
	v_cmpx_gt_i32_e64 s6, v0
	s_cbranch_execnz .LBB155_13
; %bb.4:
	s_or_b32 exec_lo, exec_lo, s0
	s_delay_alu instid0(SALU_CYCLE_1)
	s_mov_b32 s0, exec_lo
	v_cmpx_gt_i32_e64 s6, v0
	s_cbranch_execnz .LBB155_14
.LBB155_5:
	s_or_b32 exec_lo, exec_lo, s0
	s_delay_alu instid0(SALU_CYCLE_1)
	s_mov_b32 s0, exec_lo
	v_cmpx_gt_i32_e64 s6, v0
	s_cbranch_execnz .LBB155_15
.LBB155_6:
	s_or_b32 exec_lo, exec_lo, s0
	s_delay_alu instid0(SALU_CYCLE_1)
	s_mov_b32 s0, exec_lo
	v_cmpx_gt_i32_e64 s6, v0
	s_cbranch_execnz .LBB155_16
.LBB155_7:
	s_or_b32 exec_lo, exec_lo, s0
	s_delay_alu instid0(SALU_CYCLE_1)
	s_mov_b32 s0, exec_lo
	v_cmpx_gt_i32_e64 s6, v0
	s_cbranch_execnz .LBB155_17
.LBB155_8:
	s_or_b32 exec_lo, exec_lo, s0
	s_delay_alu instid0(SALU_CYCLE_1)
	s_mov_b32 s0, exec_lo
	v_cmpx_gt_i32_e64 s6, v0
	s_cbranch_execnz .LBB155_18
.LBB155_9:
	s_or_b32 exec_lo, exec_lo, s0
	s_delay_alu instid0(SALU_CYCLE_1)
	s_mov_b32 s0, exec_lo
	v_cmpx_gt_i32_e64 s6, v0
	s_cbranch_execnz .LBB155_19
.LBB155_10:
	s_or_b32 exec_lo, exec_lo, s0
	s_delay_alu instid0(SALU_CYCLE_1)
	s_mov_b32 s0, exec_lo
	v_cmpx_gt_i32_e64 s6, v0
	s_cbranch_execz .LBB155_12
.LBB155_11:
	v_dual_mov_b32 v3, 0 :: v_dual_add_nc_u32 v2, s4, v0
	s_delay_alu instid0(VALU_DEP_1) | instskip(NEXT) | instid1(VALU_DEP_1)
	v_lshlrev_b64 v[2:3], 1, v[2:3]
	v_add_co_u32 v2, vcc_lo, s2, v2
	s_delay_alu instid0(VALU_DEP_2)
	v_add_co_ci_u32_e32 v3, vcc_lo, s3, v3, vcc_lo
	global_store_d16_hi_b16 v[2:3], v1, off
.LBB155_12:
	s_nop 0
	s_sendmsg sendmsg(MSG_DEALLOC_VGPRS)
	s_endpgm
.LBB155_13:
	v_or_b32_e32 v6, s4, v0
	v_dual_mov_b32 v7, 0 :: v_dual_mov_b32 v0, v5
	s_delay_alu instid0(VALU_DEP_1) | instskip(NEXT) | instid1(VALU_DEP_1)
	v_lshlrev_b64 v[6:7], 1, v[6:7]
	v_add_co_u32 v6, vcc_lo, s2, v6
	s_delay_alu instid0(VALU_DEP_2) | instskip(SKIP_2) | instid1(SALU_CYCLE_1)
	v_add_co_ci_u32_e32 v7, vcc_lo, s3, v7, vcc_lo
	global_store_b16 v[6:7], v4, off
	s_or_b32 exec_lo, exec_lo, s0
	s_mov_b32 s0, exec_lo
	v_cmpx_gt_i32_e64 s6, v0
	s_cbranch_execz .LBB155_5
.LBB155_14:
	v_dual_mov_b32 v6, 0 :: v_dual_add_nc_u32 v5, s4, v0
	v_add_nc_u32_e32 v0, 0x100, v0
	s_delay_alu instid0(VALU_DEP_2) | instskip(NEXT) | instid1(VALU_DEP_1)
	v_lshlrev_b64 v[5:6], 1, v[5:6]
	v_add_co_u32 v5, vcc_lo, s2, v5
	s_delay_alu instid0(VALU_DEP_2) | instskip(SKIP_2) | instid1(SALU_CYCLE_1)
	v_add_co_ci_u32_e32 v6, vcc_lo, s3, v6, vcc_lo
	global_store_d16_hi_b16 v[5:6], v4, off
	s_or_b32 exec_lo, exec_lo, s0
	s_mov_b32 s0, exec_lo
	v_cmpx_gt_i32_e64 s6, v0
	s_cbranch_execz .LBB155_6
.LBB155_15:
	v_dual_mov_b32 v5, 0 :: v_dual_add_nc_u32 v4, s4, v0
	v_add_nc_u32_e32 v0, 0x100, v0
	s_delay_alu instid0(VALU_DEP_2) | instskip(NEXT) | instid1(VALU_DEP_1)
	v_lshlrev_b64 v[4:5], 1, v[4:5]
	v_add_co_u32 v4, vcc_lo, s2, v4
	s_delay_alu instid0(VALU_DEP_2) | instskip(SKIP_2) | instid1(SALU_CYCLE_1)
	v_add_co_ci_u32_e32 v5, vcc_lo, s3, v5, vcc_lo
	global_store_b16 v[4:5], v3, off
	s_or_b32 exec_lo, exec_lo, s0
	s_mov_b32 s0, exec_lo
	v_cmpx_gt_i32_e64 s6, v0
	s_cbranch_execz .LBB155_7
.LBB155_16:
	v_dual_mov_b32 v5, 0 :: v_dual_add_nc_u32 v4, s4, v0
	v_add_nc_u32_e32 v0, 0x100, v0
	s_delay_alu instid0(VALU_DEP_2) | instskip(NEXT) | instid1(VALU_DEP_1)
	v_lshlrev_b64 v[4:5], 1, v[4:5]
	v_add_co_u32 v4, vcc_lo, s2, v4
	s_delay_alu instid0(VALU_DEP_2) | instskip(SKIP_2) | instid1(SALU_CYCLE_1)
	v_add_co_ci_u32_e32 v5, vcc_lo, s3, v5, vcc_lo
	global_store_d16_hi_b16 v[4:5], v3, off
	s_or_b32 exec_lo, exec_lo, s0
	s_mov_b32 s0, exec_lo
	v_cmpx_gt_i32_e64 s6, v0
	s_cbranch_execz .LBB155_8
.LBB155_17:
	v_dual_mov_b32 v4, 0 :: v_dual_add_nc_u32 v3, s4, v0
	v_add_nc_u32_e32 v0, 0x100, v0
	s_delay_alu instid0(VALU_DEP_2) | instskip(NEXT) | instid1(VALU_DEP_1)
	v_lshlrev_b64 v[3:4], 1, v[3:4]
	v_add_co_u32 v3, vcc_lo, s2, v3
	s_delay_alu instid0(VALU_DEP_2) | instskip(SKIP_2) | instid1(SALU_CYCLE_1)
	v_add_co_ci_u32_e32 v4, vcc_lo, s3, v4, vcc_lo
	global_store_b16 v[3:4], v2, off
	s_or_b32 exec_lo, exec_lo, s0
	s_mov_b32 s0, exec_lo
	v_cmpx_gt_i32_e64 s6, v0
	s_cbranch_execz .LBB155_9
.LBB155_18:
	v_dual_mov_b32 v4, 0 :: v_dual_add_nc_u32 v3, s4, v0
	v_add_nc_u32_e32 v0, 0x100, v0
	s_delay_alu instid0(VALU_DEP_2) | instskip(NEXT) | instid1(VALU_DEP_1)
	v_lshlrev_b64 v[3:4], 1, v[3:4]
	v_add_co_u32 v3, vcc_lo, s2, v3
	s_delay_alu instid0(VALU_DEP_2) | instskip(SKIP_2) | instid1(SALU_CYCLE_1)
	v_add_co_ci_u32_e32 v4, vcc_lo, s3, v4, vcc_lo
	global_store_d16_hi_b16 v[3:4], v2, off
	s_or_b32 exec_lo, exec_lo, s0
	s_mov_b32 s0, exec_lo
	v_cmpx_gt_i32_e64 s6, v0
	s_cbranch_execz .LBB155_10
.LBB155_19:
	v_dual_mov_b32 v3, 0 :: v_dual_add_nc_u32 v2, s4, v0
	v_add_nc_u32_e32 v0, 0x100, v0
	s_delay_alu instid0(VALU_DEP_2) | instskip(NEXT) | instid1(VALU_DEP_1)
	v_lshlrev_b64 v[2:3], 1, v[2:3]
	v_add_co_u32 v2, vcc_lo, s2, v2
	s_delay_alu instid0(VALU_DEP_2) | instskip(SKIP_2) | instid1(SALU_CYCLE_1)
	v_add_co_ci_u32_e32 v3, vcc_lo, s3, v3, vcc_lo
	global_store_b16 v[2:3], v1, off
	s_or_b32 exec_lo, exec_lo, s0
	s_mov_b32 s0, exec_lo
	v_cmpx_gt_i32_e64 s6, v0
	s_cbranch_execnz .LBB155_11
	s_branch .LBB155_12
	.section	.rodata,"a",@progbits
	.p2align	6, 0x0
	.amdhsa_kernel _ZN2at6native29vectorized_elementwise_kernelILi2ENS0_11FillFunctorItEESt5arrayIPcLm1EEEEviT0_T1_
		.amdhsa_group_segment_fixed_size 0
		.amdhsa_private_segment_fixed_size 0
		.amdhsa_kernarg_size 16
		.amdhsa_user_sgpr_count 15
		.amdhsa_user_sgpr_dispatch_ptr 0
		.amdhsa_user_sgpr_queue_ptr 0
		.amdhsa_user_sgpr_kernarg_segment_ptr 1
		.amdhsa_user_sgpr_dispatch_id 0
		.amdhsa_user_sgpr_private_segment_size 0
		.amdhsa_wavefront_size32 1
		.amdhsa_uses_dynamic_stack 0
		.amdhsa_enable_private_segment 0
		.amdhsa_system_sgpr_workgroup_id_x 1
		.amdhsa_system_sgpr_workgroup_id_y 0
		.amdhsa_system_sgpr_workgroup_id_z 0
		.amdhsa_system_sgpr_workgroup_info 0
		.amdhsa_system_vgpr_workitem_id 0
		.amdhsa_next_free_vgpr 8
		.amdhsa_next_free_sgpr 16
		.amdhsa_reserve_vcc 1
		.amdhsa_float_round_mode_32 0
		.amdhsa_float_round_mode_16_64 0
		.amdhsa_float_denorm_mode_32 3
		.amdhsa_float_denorm_mode_16_64 3
		.amdhsa_dx10_clamp 1
		.amdhsa_ieee_mode 1
		.amdhsa_fp16_overflow 0
		.amdhsa_workgroup_processor_mode 1
		.amdhsa_memory_ordered 1
		.amdhsa_forward_progress 0
		.amdhsa_shared_vgpr_count 0
		.amdhsa_exception_fp_ieee_invalid_op 0
		.amdhsa_exception_fp_denorm_src 0
		.amdhsa_exception_fp_ieee_div_zero 0
		.amdhsa_exception_fp_ieee_overflow 0
		.amdhsa_exception_fp_ieee_underflow 0
		.amdhsa_exception_fp_ieee_inexact 0
		.amdhsa_exception_int_div_zero 0
	.end_amdhsa_kernel
	.section	.text._ZN2at6native29vectorized_elementwise_kernelILi2ENS0_11FillFunctorItEESt5arrayIPcLm1EEEEviT0_T1_,"axG",@progbits,_ZN2at6native29vectorized_elementwise_kernelILi2ENS0_11FillFunctorItEESt5arrayIPcLm1EEEEviT0_T1_,comdat
.Lfunc_end155:
	.size	_ZN2at6native29vectorized_elementwise_kernelILi2ENS0_11FillFunctorItEESt5arrayIPcLm1EEEEviT0_T1_, .Lfunc_end155-_ZN2at6native29vectorized_elementwise_kernelILi2ENS0_11FillFunctorItEESt5arrayIPcLm1EEEEviT0_T1_
                                        ; -- End function
	.section	.AMDGPU.csdata,"",@progbits
; Kernel info:
; codeLenInByte = 992
; NumSgprs: 18
; NumVgprs: 8
; ScratchSize: 0
; MemoryBound: 0
; FloatMode: 240
; IeeeMode: 1
; LDSByteSize: 0 bytes/workgroup (compile time only)
; SGPRBlocks: 2
; VGPRBlocks: 0
; NumSGPRsForWavesPerEU: 18
; NumVGPRsForWavesPerEU: 8
; Occupancy: 16
; WaveLimiterHint : 1
; COMPUTE_PGM_RSRC2:SCRATCH_EN: 0
; COMPUTE_PGM_RSRC2:USER_SGPR: 15
; COMPUTE_PGM_RSRC2:TRAP_HANDLER: 0
; COMPUTE_PGM_RSRC2:TGID_X_EN: 1
; COMPUTE_PGM_RSRC2:TGID_Y_EN: 0
; COMPUTE_PGM_RSRC2:TGID_Z_EN: 0
; COMPUTE_PGM_RSRC2:TIDIG_COMP_CNT: 0
	.section	.text._ZN2at6native27unrolled_elementwise_kernelINS0_11FillFunctorItEESt5arrayIPcLm1EELi4E23TrivialOffsetCalculatorILi0EjES7_ILi1EjENS0_6memory15LoadWithoutCastENSA_16StoreWithoutCastEEEviT_T0_T2_T3_T4_T5_,"axG",@progbits,_ZN2at6native27unrolled_elementwise_kernelINS0_11FillFunctorItEESt5arrayIPcLm1EELi4E23TrivialOffsetCalculatorILi0EjES7_ILi1EjENS0_6memory15LoadWithoutCastENSA_16StoreWithoutCastEEEviT_T0_T2_T3_T4_T5_,comdat
	.protected	_ZN2at6native27unrolled_elementwise_kernelINS0_11FillFunctorItEESt5arrayIPcLm1EELi4E23TrivialOffsetCalculatorILi0EjES7_ILi1EjENS0_6memory15LoadWithoutCastENSA_16StoreWithoutCastEEEviT_T0_T2_T3_T4_T5_ ; -- Begin function _ZN2at6native27unrolled_elementwise_kernelINS0_11FillFunctorItEESt5arrayIPcLm1EELi4E23TrivialOffsetCalculatorILi0EjES7_ILi1EjENS0_6memory15LoadWithoutCastENSA_16StoreWithoutCastEEEviT_T0_T2_T3_T4_T5_
	.globl	_ZN2at6native27unrolled_elementwise_kernelINS0_11FillFunctorItEESt5arrayIPcLm1EELi4E23TrivialOffsetCalculatorILi0EjES7_ILi1EjENS0_6memory15LoadWithoutCastENSA_16StoreWithoutCastEEEviT_T0_T2_T3_T4_T5_
	.p2align	8
	.type	_ZN2at6native27unrolled_elementwise_kernelINS0_11FillFunctorItEESt5arrayIPcLm1EELi4E23TrivialOffsetCalculatorILi0EjES7_ILi1EjENS0_6memory15LoadWithoutCastENSA_16StoreWithoutCastEEEviT_T0_T2_T3_T4_T5_,@function
_ZN2at6native27unrolled_elementwise_kernelINS0_11FillFunctorItEESt5arrayIPcLm1EELi4E23TrivialOffsetCalculatorILi0EjES7_ILi1EjENS0_6memory15LoadWithoutCastENSA_16StoreWithoutCastEEEviT_T0_T2_T3_T4_T5_: ; @_ZN2at6native27unrolled_elementwise_kernelINS0_11FillFunctorItEESt5arrayIPcLm1EELi4E23TrivialOffsetCalculatorILi0EjES7_ILi1EjENS0_6memory15LoadWithoutCastENSA_16StoreWithoutCastEEEviT_T0_T2_T3_T4_T5_
; %bb.0:
	s_load_b128 s[0:3], s[0:1], 0x0
	v_or_b32_e32 v3, 0x100, v0
	s_lshl_b32 s4, s15, 10
	v_or_b32_e32 v1, 0x300, v0
	s_waitcnt lgkmcnt(0)
	s_pack_ll_b32_b16 s5, s1, s1
	s_and_b32 s6, 0xffff, s1
	v_mov_b32_e32 v4, s5
	s_sub_i32 s5, s0, s4
	s_delay_alu instid0(SALU_CYCLE_1) | instskip(NEXT) | instid1(VALU_DEP_1)
	v_cmp_gt_i32_e64 s0, s5, v3
	v_cndmask_b32_e64 v2, s1, v4, s0
	v_cmp_gt_i32_e64 s0, s5, v1
	s_delay_alu instid0(VALU_DEP_1)
	v_cndmask_b32_e64 v1, s6, v4, s0
	s_mov_b32 s0, exec_lo
	v_cmpx_gt_i32_e64 s5, v0
	s_cbranch_execnz .LBB156_5
; %bb.1:
	s_or_b32 exec_lo, exec_lo, s0
	s_delay_alu instid0(SALU_CYCLE_1)
	s_mov_b32 s0, exec_lo
	v_cmpx_gt_i32_e64 s5, v0
	s_cbranch_execnz .LBB156_6
.LBB156_2:
	s_or_b32 exec_lo, exec_lo, s0
	s_delay_alu instid0(SALU_CYCLE_1)
	s_mov_b32 s0, exec_lo
	v_cmpx_gt_i32_e64 s5, v0
	s_cbranch_execnz .LBB156_7
.LBB156_3:
	s_or_b32 exec_lo, exec_lo, s0
	s_delay_alu instid0(SALU_CYCLE_1)
	s_mov_b32 s0, exec_lo
	v_cmpx_gt_i32_e64 s5, v0
	s_cbranch_execnz .LBB156_8
.LBB156_4:
	s_nop 0
	s_sendmsg sendmsg(MSG_DEALLOC_VGPRS)
	s_endpgm
.LBB156_5:
	v_or_b32_e32 v4, s4, v0
	v_dual_mov_b32 v5, 0 :: v_dual_mov_b32 v0, v3
	s_delay_alu instid0(VALU_DEP_1) | instskip(NEXT) | instid1(VALU_DEP_1)
	v_lshlrev_b64 v[4:5], 1, v[4:5]
	v_add_co_u32 v4, vcc_lo, s2, v4
	s_delay_alu instid0(VALU_DEP_2) | instskip(SKIP_2) | instid1(SALU_CYCLE_1)
	v_add_co_ci_u32_e32 v5, vcc_lo, s3, v5, vcc_lo
	global_store_b16 v[4:5], v2, off
	s_or_b32 exec_lo, exec_lo, s0
	s_mov_b32 s0, exec_lo
	v_cmpx_gt_i32_e64 s5, v0
	s_cbranch_execz .LBB156_2
.LBB156_6:
	v_dual_mov_b32 v4, 0 :: v_dual_add_nc_u32 v3, s4, v0
	v_add_nc_u32_e32 v0, 0x100, v0
	s_delay_alu instid0(VALU_DEP_2) | instskip(NEXT) | instid1(VALU_DEP_1)
	v_lshlrev_b64 v[3:4], 1, v[3:4]
	v_add_co_u32 v3, vcc_lo, s2, v3
	s_delay_alu instid0(VALU_DEP_2) | instskip(SKIP_2) | instid1(SALU_CYCLE_1)
	v_add_co_ci_u32_e32 v4, vcc_lo, s3, v4, vcc_lo
	global_store_d16_hi_b16 v[3:4], v2, off
	s_or_b32 exec_lo, exec_lo, s0
	s_mov_b32 s0, exec_lo
	v_cmpx_gt_i32_e64 s5, v0
	s_cbranch_execz .LBB156_3
.LBB156_7:
	v_dual_mov_b32 v3, 0 :: v_dual_add_nc_u32 v2, s4, v0
	v_add_nc_u32_e32 v0, 0x100, v0
	s_delay_alu instid0(VALU_DEP_2) | instskip(NEXT) | instid1(VALU_DEP_1)
	v_lshlrev_b64 v[2:3], 1, v[2:3]
	v_add_co_u32 v2, vcc_lo, s2, v2
	s_delay_alu instid0(VALU_DEP_2) | instskip(SKIP_2) | instid1(SALU_CYCLE_1)
	v_add_co_ci_u32_e32 v3, vcc_lo, s3, v3, vcc_lo
	global_store_b16 v[2:3], v1, off
	s_or_b32 exec_lo, exec_lo, s0
	s_mov_b32 s0, exec_lo
	v_cmpx_gt_i32_e64 s5, v0
	s_cbranch_execz .LBB156_4
.LBB156_8:
	v_dual_mov_b32 v3, 0 :: v_dual_add_nc_u32 v2, s4, v0
	s_delay_alu instid0(VALU_DEP_1) | instskip(NEXT) | instid1(VALU_DEP_1)
	v_lshlrev_b64 v[2:3], 1, v[2:3]
	v_add_co_u32 v2, vcc_lo, s2, v2
	s_delay_alu instid0(VALU_DEP_2)
	v_add_co_ci_u32_e32 v3, vcc_lo, s3, v3, vcc_lo
	global_store_d16_hi_b16 v[2:3], v1, off
	s_nop 0
	s_sendmsg sendmsg(MSG_DEALLOC_VGPRS)
	s_endpgm
	.section	.rodata,"a",@progbits
	.p2align	6, 0x0
	.amdhsa_kernel _ZN2at6native27unrolled_elementwise_kernelINS0_11FillFunctorItEESt5arrayIPcLm1EELi4E23TrivialOffsetCalculatorILi0EjES7_ILi1EjENS0_6memory15LoadWithoutCastENSA_16StoreWithoutCastEEEviT_T0_T2_T3_T4_T5_
		.amdhsa_group_segment_fixed_size 0
		.amdhsa_private_segment_fixed_size 0
		.amdhsa_kernarg_size 20
		.amdhsa_user_sgpr_count 15
		.amdhsa_user_sgpr_dispatch_ptr 0
		.amdhsa_user_sgpr_queue_ptr 0
		.amdhsa_user_sgpr_kernarg_segment_ptr 1
		.amdhsa_user_sgpr_dispatch_id 0
		.amdhsa_user_sgpr_private_segment_size 0
		.amdhsa_wavefront_size32 1
		.amdhsa_uses_dynamic_stack 0
		.amdhsa_enable_private_segment 0
		.amdhsa_system_sgpr_workgroup_id_x 1
		.amdhsa_system_sgpr_workgroup_id_y 0
		.amdhsa_system_sgpr_workgroup_id_z 0
		.amdhsa_system_sgpr_workgroup_info 0
		.amdhsa_system_vgpr_workitem_id 0
		.amdhsa_next_free_vgpr 6
		.amdhsa_next_free_sgpr 16
		.amdhsa_reserve_vcc 1
		.amdhsa_float_round_mode_32 0
		.amdhsa_float_round_mode_16_64 0
		.amdhsa_float_denorm_mode_32 3
		.amdhsa_float_denorm_mode_16_64 3
		.amdhsa_dx10_clamp 1
		.amdhsa_ieee_mode 1
		.amdhsa_fp16_overflow 0
		.amdhsa_workgroup_processor_mode 1
		.amdhsa_memory_ordered 1
		.amdhsa_forward_progress 0
		.amdhsa_shared_vgpr_count 0
		.amdhsa_exception_fp_ieee_invalid_op 0
		.amdhsa_exception_fp_denorm_src 0
		.amdhsa_exception_fp_ieee_div_zero 0
		.amdhsa_exception_fp_ieee_overflow 0
		.amdhsa_exception_fp_ieee_underflow 0
		.amdhsa_exception_fp_ieee_inexact 0
		.amdhsa_exception_int_div_zero 0
	.end_amdhsa_kernel
	.section	.text._ZN2at6native27unrolled_elementwise_kernelINS0_11FillFunctorItEESt5arrayIPcLm1EELi4E23TrivialOffsetCalculatorILi0EjES7_ILi1EjENS0_6memory15LoadWithoutCastENSA_16StoreWithoutCastEEEviT_T0_T2_T3_T4_T5_,"axG",@progbits,_ZN2at6native27unrolled_elementwise_kernelINS0_11FillFunctorItEESt5arrayIPcLm1EELi4E23TrivialOffsetCalculatorILi0EjES7_ILi1EjENS0_6memory15LoadWithoutCastENSA_16StoreWithoutCastEEEviT_T0_T2_T3_T4_T5_,comdat
.Lfunc_end156:
	.size	_ZN2at6native27unrolled_elementwise_kernelINS0_11FillFunctorItEESt5arrayIPcLm1EELi4E23TrivialOffsetCalculatorILi0EjES7_ILi1EjENS0_6memory15LoadWithoutCastENSA_16StoreWithoutCastEEEviT_T0_T2_T3_T4_T5_, .Lfunc_end156-_ZN2at6native27unrolled_elementwise_kernelINS0_11FillFunctorItEESt5arrayIPcLm1EELi4E23TrivialOffsetCalculatorILi0EjES7_ILi1EjENS0_6memory15LoadWithoutCastENSA_16StoreWithoutCastEEEviT_T0_T2_T3_T4_T5_
                                        ; -- End function
	.section	.AMDGPU.csdata,"",@progbits
; Kernel info:
; codeLenInByte = 460
; NumSgprs: 18
; NumVgprs: 6
; ScratchSize: 0
; MemoryBound: 0
; FloatMode: 240
; IeeeMode: 1
; LDSByteSize: 0 bytes/workgroup (compile time only)
; SGPRBlocks: 2
; VGPRBlocks: 0
; NumSGPRsForWavesPerEU: 18
; NumVGPRsForWavesPerEU: 6
; Occupancy: 16
; WaveLimiterHint : 0
; COMPUTE_PGM_RSRC2:SCRATCH_EN: 0
; COMPUTE_PGM_RSRC2:USER_SGPR: 15
; COMPUTE_PGM_RSRC2:TRAP_HANDLER: 0
; COMPUTE_PGM_RSRC2:TGID_X_EN: 1
; COMPUTE_PGM_RSRC2:TGID_Y_EN: 0
; COMPUTE_PGM_RSRC2:TGID_Z_EN: 0
; COMPUTE_PGM_RSRC2:TIDIG_COMP_CNT: 0
	.section	.text._ZN2at6native32elementwise_kernel_manual_unrollILi128ELi8EZNS0_22gpu_kernel_impl_nocastINS0_11FillFunctorItEEEEvRNS_18TensorIteratorBaseERKT_EUlibE_EEviT1_,"axG",@progbits,_ZN2at6native32elementwise_kernel_manual_unrollILi128ELi8EZNS0_22gpu_kernel_impl_nocastINS0_11FillFunctorItEEEEvRNS_18TensorIteratorBaseERKT_EUlibE_EEviT1_,comdat
	.protected	_ZN2at6native32elementwise_kernel_manual_unrollILi128ELi8EZNS0_22gpu_kernel_impl_nocastINS0_11FillFunctorItEEEEvRNS_18TensorIteratorBaseERKT_EUlibE_EEviT1_ ; -- Begin function _ZN2at6native32elementwise_kernel_manual_unrollILi128ELi8EZNS0_22gpu_kernel_impl_nocastINS0_11FillFunctorItEEEEvRNS_18TensorIteratorBaseERKT_EUlibE_EEviT1_
	.globl	_ZN2at6native32elementwise_kernel_manual_unrollILi128ELi8EZNS0_22gpu_kernel_impl_nocastINS0_11FillFunctorItEEEEvRNS_18TensorIteratorBaseERKT_EUlibE_EEviT1_
	.p2align	8
	.type	_ZN2at6native32elementwise_kernel_manual_unrollILi128ELi8EZNS0_22gpu_kernel_impl_nocastINS0_11FillFunctorItEEEEvRNS_18TensorIteratorBaseERKT_EUlibE_EEviT1_,@function
_ZN2at6native32elementwise_kernel_manual_unrollILi128ELi8EZNS0_22gpu_kernel_impl_nocastINS0_11FillFunctorItEEEEvRNS_18TensorIteratorBaseERKT_EUlibE_EEviT1_: ; @_ZN2at6native32elementwise_kernel_manual_unrollILi128ELi8EZNS0_22gpu_kernel_impl_nocastINS0_11FillFunctorItEEEEvRNS_18TensorIteratorBaseERKT_EUlibE_EEviT1_
; %bb.0:
	s_clause 0x1
	s_load_b32 s18, s[0:1], 0x8
	s_load_b32 s24, s[0:1], 0x0
	v_lshl_or_b32 v6, s15, 10, v0
	s_or_b32 s0, s0, 8
	s_mov_b32 s2, exec_lo
	s_delay_alu instid0(VALU_DEP_1) | instskip(SKIP_2) | instid1(SALU_CYCLE_1)
	v_or_b32_e32 v8, 0x380, v6
	s_waitcnt lgkmcnt(0)
	s_add_i32 s19, s18, -1
	s_cmp_gt_u32 s19, 1
	s_cselect_b32 s20, -1, 0
	v_cmpx_le_i32_e64 s24, v8
	s_xor_b32 s21, exec_lo, s2
	s_cbranch_execz .LBB157_7
; %bb.1:
	s_clause 0x4
	s_load_b128 s[4:7], s[0:1], 0x4
	s_load_b64 s[10:11], s[0:1], 0x14
	s_load_b64 s[8:9], s[0:1], 0xc4
	;; [unrolled: 1-line block ×3, first 2 shown]
	s_load_b32 s22, s[0:1], 0x110
	s_cmp_lg_u32 s18, 0
	s_mov_b32 s27, exec_lo
	s_cselect_b32 s26, -1, 0
	s_add_u32 s12, s0, 0xc4
	s_addc_u32 s13, s1, 0
	s_min_u32 s25, s19, 15
	s_cmp_gt_u32 s18, 1
	s_cselect_b32 s23, -1, 0
	v_cmpx_gt_i32_e64 s24, v6
	s_cbranch_execz .LBB157_14
; %bb.2:
	s_and_not1_b32 vcc_lo, exec_lo, s20
	s_cbranch_vccnz .LBB157_21
; %bb.3:
	v_mov_b32_e32 v0, 0
	s_and_not1_b32 vcc_lo, exec_lo, s26
	s_cbranch_vccnz .LBB157_125
; %bb.4:
	s_add_i32 s29, s25, 1
	s_cmp_eq_u32 s19, 2
	s_mov_b32 s28, 0
	s_cbranch_scc1 .LBB157_121
; %bb.5:
	v_dual_mov_b32 v0, 0 :: v_dual_mov_b32 v1, v6
	s_and_b32 s28, s29, 28
	s_mov_b32 s30, 0
	s_mov_b64 s[14:15], s[0:1]
	s_mov_b64 s[16:17], s[12:13]
.LBB157_6:                              ; =>This Inner Loop Header: Depth=1
	s_clause 0x1
	s_load_b256 s[36:43], s[14:15], 0x4
	s_load_b128 s[44:47], s[14:15], 0x24
	s_load_b128 s[48:51], s[16:17], 0x0
	s_add_u32 s14, s14, 48
	s_addc_u32 s15, s15, 0
	s_add_i32 s30, s30, 4
	s_add_u32 s16, s16, 16
	s_addc_u32 s17, s17, 0
	s_cmp_lg_u32 s28, s30
	s_waitcnt lgkmcnt(0)
	v_mul_hi_u32 v2, s37, v1
	s_delay_alu instid0(VALU_DEP_1) | instskip(NEXT) | instid1(VALU_DEP_1)
	v_add_nc_u32_e32 v2, v1, v2
	v_lshrrev_b32_e32 v2, s38, v2
	s_delay_alu instid0(VALU_DEP_1) | instskip(SKIP_1) | instid1(VALU_DEP_2)
	v_mul_hi_u32 v3, s40, v2
	v_mul_lo_u32 v7, v2, s36
	v_add_nc_u32_e32 v3, v2, v3
	s_delay_alu instid0(VALU_DEP_2) | instskip(NEXT) | instid1(VALU_DEP_2)
	v_sub_nc_u32_e32 v7, v1, v7
	v_lshrrev_b32_e32 v3, s41, v3
	s_delay_alu instid0(VALU_DEP_2) | instskip(NEXT) | instid1(VALU_DEP_2)
	v_mul_lo_u32 v7, v7, s48
	v_mul_hi_u32 v4, s43, v3
	v_mul_lo_u32 v8, v3, s39
	s_delay_alu instid0(VALU_DEP_2) | instskip(NEXT) | instid1(VALU_DEP_2)
	v_add_nc_u32_e32 v4, v3, v4
	v_sub_nc_u32_e32 v2, v2, v8
	s_delay_alu instid0(VALU_DEP_2) | instskip(NEXT) | instid1(VALU_DEP_2)
	v_lshrrev_b32_e32 v4, s44, v4
	v_mul_lo_u32 v2, v2, s49
	s_delay_alu instid0(VALU_DEP_2) | instskip(NEXT) | instid1(VALU_DEP_2)
	v_mul_hi_u32 v5, s46, v4
	v_add3_u32 v0, v7, v0, v2
	s_delay_alu instid0(VALU_DEP_2) | instskip(NEXT) | instid1(VALU_DEP_1)
	v_add_nc_u32_e32 v5, v4, v5
	v_lshrrev_b32_e32 v1, s47, v5
	v_mul_lo_u32 v5, v4, s42
	s_delay_alu instid0(VALU_DEP_2) | instskip(NEXT) | instid1(VALU_DEP_2)
	v_mul_lo_u32 v9, v1, s45
	v_sub_nc_u32_e32 v3, v3, v5
	s_delay_alu instid0(VALU_DEP_2) | instskip(NEXT) | instid1(VALU_DEP_2)
	v_sub_nc_u32_e32 v4, v4, v9
	v_mul_lo_u32 v3, v3, s50
	s_delay_alu instid0(VALU_DEP_2) | instskip(NEXT) | instid1(VALU_DEP_1)
	v_mul_lo_u32 v4, v4, s51
	v_add3_u32 v0, v3, v0, v4
	s_cbranch_scc1 .LBB157_6
	s_branch .LBB157_122
.LBB157_7:
	s_and_not1_saveexec_b32 s2, s21
	s_cbranch_execz .LBB157_206
.LBB157_8:
	v_cndmask_b32_e64 v7, 0, 1, s20
	s_and_not1_b32 vcc_lo, exec_lo, s20
	s_cbranch_vccnz .LBB157_20
; %bb.9:
	v_mov_b32_e32 v0, 0
	s_cmp_eq_u32 s18, 0
	s_mov_b32 s6, 0
	s_cbranch_scc1 .LBB157_26
; %bb.10:
	s_min_u32 s7, s19, 15
	v_mov_b32_e32 v0, 0
	s_add_i32 s7, s7, 1
	s_cmp_eq_u32 s19, 2
	s_mov_b32 s8, 0
	s_cbranch_scc1 .LBB157_23
; %bb.11:
	v_dual_mov_b32 v0, 0 :: v_dual_mov_b32 v1, v6
	s_add_u32 s2, s0, 0xc4
	s_addc_u32 s3, s1, 0
	s_and_b32 s8, s7, 28
	s_mov_b32 s9, 0
	s_mov_b64 s[4:5], s[0:1]
.LBB157_12:                             ; =>This Inner Loop Header: Depth=1
	s_clause 0x1
	s_load_b256 s[20:27], s[4:5], 0x4
	s_load_b128 s[12:15], s[4:5], 0x24
	s_load_b128 s[28:31], s[2:3], 0x0
	s_add_u32 s4, s4, 48
	s_addc_u32 s5, s5, 0
	s_add_i32 s9, s9, 4
	s_add_u32 s2, s2, 16
	s_addc_u32 s3, s3, 0
	s_cmp_lg_u32 s8, s9
	s_waitcnt lgkmcnt(0)
	v_mul_hi_u32 v2, s21, v1
	s_delay_alu instid0(VALU_DEP_1) | instskip(NEXT) | instid1(VALU_DEP_1)
	v_add_nc_u32_e32 v2, v1, v2
	v_lshrrev_b32_e32 v2, s22, v2
	s_delay_alu instid0(VALU_DEP_1) | instskip(SKIP_1) | instid1(VALU_DEP_2)
	v_mul_hi_u32 v3, s24, v2
	v_mul_lo_u32 v9, v2, s20
	v_add_nc_u32_e32 v3, v2, v3
	s_delay_alu instid0(VALU_DEP_2) | instskip(NEXT) | instid1(VALU_DEP_2)
	v_sub_nc_u32_e32 v9, v1, v9
	v_lshrrev_b32_e32 v3, s25, v3
	s_delay_alu instid0(VALU_DEP_2) | instskip(NEXT) | instid1(VALU_DEP_2)
	v_mul_lo_u32 v9, v9, s28
	v_mul_hi_u32 v4, s27, v3
	v_mul_lo_u32 v10, v3, s23
	s_delay_alu instid0(VALU_DEP_2) | instskip(NEXT) | instid1(VALU_DEP_2)
	v_add_nc_u32_e32 v4, v3, v4
	v_sub_nc_u32_e32 v2, v2, v10
	s_delay_alu instid0(VALU_DEP_2) | instskip(NEXT) | instid1(VALU_DEP_2)
	v_lshrrev_b32_e32 v4, s12, v4
	v_mul_lo_u32 v2, v2, s29
	s_delay_alu instid0(VALU_DEP_2) | instskip(NEXT) | instid1(VALU_DEP_2)
	v_mul_hi_u32 v5, s14, v4
	v_add3_u32 v0, v9, v0, v2
	s_delay_alu instid0(VALU_DEP_2) | instskip(NEXT) | instid1(VALU_DEP_1)
	v_add_nc_u32_e32 v5, v4, v5
	v_lshrrev_b32_e32 v1, s15, v5
	v_mul_lo_u32 v5, v4, s26
	s_delay_alu instid0(VALU_DEP_2) | instskip(NEXT) | instid1(VALU_DEP_2)
	v_mul_lo_u32 v11, v1, s13
	v_sub_nc_u32_e32 v3, v3, v5
	s_delay_alu instid0(VALU_DEP_2) | instskip(NEXT) | instid1(VALU_DEP_2)
	v_sub_nc_u32_e32 v4, v4, v11
	v_mul_lo_u32 v3, v3, s30
	s_delay_alu instid0(VALU_DEP_2) | instskip(NEXT) | instid1(VALU_DEP_1)
	v_mul_lo_u32 v4, v4, s31
	v_add3_u32 v0, v3, v0, v4
	s_cbranch_scc1 .LBB157_12
; %bb.13:
	s_and_b32 s7, s7, 3
	s_delay_alu instid0(SALU_CYCLE_1)
	s_cmp_eq_u32 s7, 0
	s_cbranch_scc0 .LBB157_24
	s_branch .LBB157_26
.LBB157_14:
	s_or_b32 exec_lo, exec_lo, s27
	s_delay_alu instid0(SALU_CYCLE_1)
	s_mov_b32 s27, exec_lo
	v_cmpx_gt_i32_e64 s24, v6
	s_cbranch_execz .LBB157_129
.LBB157_15:
	s_and_not1_b32 vcc_lo, exec_lo, s20
	s_cbranch_vccnz .LBB157_22
; %bb.16:
	v_mov_b32_e32 v0, 0
	s_and_not1_b32 vcc_lo, exec_lo, s26
	s_cbranch_vccnz .LBB157_140
; %bb.17:
	s_add_i32 s29, s25, 1
	s_cmp_eq_u32 s19, 2
	s_mov_b32 s28, 0
	s_cbranch_scc1 .LBB157_136
; %bb.18:
	v_dual_mov_b32 v0, 0 :: v_dual_mov_b32 v1, v6
	s_and_b32 s28, s29, 28
	s_mov_b32 s30, 0
	s_mov_b64 s[14:15], s[0:1]
	s_mov_b64 s[16:17], s[12:13]
.LBB157_19:                             ; =>This Inner Loop Header: Depth=1
	s_clause 0x1
	s_load_b256 s[36:43], s[14:15], 0x4
	s_load_b128 s[44:47], s[14:15], 0x24
	s_load_b128 s[48:51], s[16:17], 0x0
	s_add_u32 s14, s14, 48
	s_addc_u32 s15, s15, 0
	s_add_i32 s30, s30, 4
	s_add_u32 s16, s16, 16
	s_addc_u32 s17, s17, 0
	s_cmp_eq_u32 s28, s30
	s_waitcnt lgkmcnt(0)
	v_mul_hi_u32 v2, s37, v1
	s_delay_alu instid0(VALU_DEP_1) | instskip(NEXT) | instid1(VALU_DEP_1)
	v_add_nc_u32_e32 v2, v1, v2
	v_lshrrev_b32_e32 v2, s38, v2
	s_delay_alu instid0(VALU_DEP_1) | instskip(SKIP_1) | instid1(VALU_DEP_2)
	v_mul_hi_u32 v3, s40, v2
	v_mul_lo_u32 v7, v2, s36
	v_add_nc_u32_e32 v3, v2, v3
	s_delay_alu instid0(VALU_DEP_2) | instskip(NEXT) | instid1(VALU_DEP_2)
	v_sub_nc_u32_e32 v7, v1, v7
	v_lshrrev_b32_e32 v3, s41, v3
	s_delay_alu instid0(VALU_DEP_2) | instskip(NEXT) | instid1(VALU_DEP_2)
	v_mul_lo_u32 v7, v7, s48
	v_mul_hi_u32 v4, s43, v3
	v_mul_lo_u32 v8, v3, s39
	s_delay_alu instid0(VALU_DEP_2) | instskip(NEXT) | instid1(VALU_DEP_2)
	v_add_nc_u32_e32 v4, v3, v4
	v_sub_nc_u32_e32 v2, v2, v8
	s_delay_alu instid0(VALU_DEP_2) | instskip(NEXT) | instid1(VALU_DEP_2)
	v_lshrrev_b32_e32 v4, s44, v4
	v_mul_lo_u32 v2, v2, s49
	s_delay_alu instid0(VALU_DEP_2) | instskip(NEXT) | instid1(VALU_DEP_2)
	v_mul_hi_u32 v5, s46, v4
	v_add3_u32 v0, v7, v0, v2
	s_delay_alu instid0(VALU_DEP_2) | instskip(NEXT) | instid1(VALU_DEP_1)
	v_add_nc_u32_e32 v5, v4, v5
	v_lshrrev_b32_e32 v1, s47, v5
	v_mul_lo_u32 v5, v4, s42
	s_delay_alu instid0(VALU_DEP_2) | instskip(NEXT) | instid1(VALU_DEP_2)
	v_mul_lo_u32 v9, v1, s45
	v_sub_nc_u32_e32 v3, v3, v5
	s_delay_alu instid0(VALU_DEP_2) | instskip(NEXT) | instid1(VALU_DEP_2)
	v_sub_nc_u32_e32 v4, v4, v9
	v_mul_lo_u32 v3, v3, s50
	s_delay_alu instid0(VALU_DEP_2) | instskip(NEXT) | instid1(VALU_DEP_1)
	v_mul_lo_u32 v4, v4, s51
	v_add3_u32 v0, v3, v0, v4
	s_cbranch_scc0 .LBB157_19
	s_branch .LBB157_137
.LBB157_20:
	s_mov_b32 s6, -1
                                        ; implicit-def: $vgpr0
	s_branch .LBB157_26
.LBB157_21:
                                        ; implicit-def: $vgpr0
	s_branch .LBB157_126
.LBB157_22:
                                        ; implicit-def: $vgpr0
	s_branch .LBB157_141
.LBB157_23:
	v_mov_b32_e32 v1, v6
	s_and_b32 s7, s7, 3
	s_delay_alu instid0(SALU_CYCLE_1)
	s_cmp_eq_u32 s7, 0
	s_cbranch_scc1 .LBB157_26
.LBB157_24:
	s_lshl_b32 s2, s8, 2
	s_mul_i32 s4, s8, 12
	s_add_u32 s2, s2, s0
	s_addc_u32 s3, 0, s1
	s_add_u32 s2, s2, 0xc4
	s_addc_u32 s3, s3, 0
	;; [unrolled: 2-line block ×3, first 2 shown]
	.p2align	6
.LBB157_25:                             ; =>This Inner Loop Header: Depth=1
	s_clause 0x1
	s_load_b64 s[8:9], s[4:5], 0x4
	s_load_b32 s10, s[4:5], 0xc
	s_add_u32 s4, s4, 12
	s_addc_u32 s5, s5, 0
	s_waitcnt lgkmcnt(0)
	v_mul_hi_u32 v2, s9, v1
	s_load_b32 s9, s[2:3], 0x0
	s_add_u32 s2, s2, 4
	s_addc_u32 s3, s3, 0
	s_add_i32 s7, s7, -1
	s_delay_alu instid0(SALU_CYCLE_1) | instskip(NEXT) | instid1(VALU_DEP_1)
	s_cmp_lg_u32 s7, 0
	v_add_nc_u32_e32 v2, v1, v2
	s_delay_alu instid0(VALU_DEP_1) | instskip(NEXT) | instid1(VALU_DEP_1)
	v_lshrrev_b32_e32 v4, s10, v2
	v_mul_lo_u32 v2, v4, s8
	s_delay_alu instid0(VALU_DEP_1) | instskip(SKIP_1) | instid1(VALU_DEP_1)
	v_sub_nc_u32_e32 v1, v1, v2
	s_waitcnt lgkmcnt(0)
	v_mad_u64_u32 v[2:3], null, v1, s9, v[0:1]
	s_delay_alu instid0(VALU_DEP_1)
	v_dual_mov_b32 v1, v4 :: v_dual_mov_b32 v0, v2
	s_cbranch_scc1 .LBB157_25
.LBB157_26:
	s_and_not1_b32 vcc_lo, exec_lo, s6
	s_cbranch_vccnz .LBB157_29
; %bb.27:
	s_clause 0x1
	s_load_b128 s[4:7], s[0:1], 0x4
	s_load_b32 s2, s[0:1], 0xc4
	s_cmp_lt_u32 s18, 2
	s_waitcnt lgkmcnt(0)
	v_mul_hi_u32 v0, s5, v6
	s_delay_alu instid0(VALU_DEP_1) | instskip(NEXT) | instid1(VALU_DEP_1)
	v_add_nc_u32_e32 v0, v6, v0
	v_lshrrev_b32_e32 v1, s6, v0
	s_delay_alu instid0(VALU_DEP_1) | instskip(NEXT) | instid1(VALU_DEP_1)
	v_mul_lo_u32 v0, v1, s4
	v_sub_nc_u32_e32 v0, v6, v0
	s_delay_alu instid0(VALU_DEP_1)
	v_mul_lo_u32 v0, v0, s2
	s_cbranch_scc1 .LBB157_29
; %bb.28:
	s_clause 0x1
	s_load_b128 s[4:7], s[0:1], 0x10
	s_load_b32 s2, s[0:1], 0xc8
	s_waitcnt lgkmcnt(0)
	v_mul_hi_u32 v2, s5, v1
	s_delay_alu instid0(VALU_DEP_1) | instskip(NEXT) | instid1(VALU_DEP_1)
	v_add_nc_u32_e32 v2, v1, v2
	v_lshrrev_b32_e32 v2, s6, v2
	s_delay_alu instid0(VALU_DEP_1) | instskip(NEXT) | instid1(VALU_DEP_1)
	v_mul_lo_u32 v2, v2, s4
	v_sub_nc_u32_e32 v3, v1, v2
	s_delay_alu instid0(VALU_DEP_1) | instskip(NEXT) | instid1(VALU_DEP_1)
	v_mad_u64_u32 v[1:2], null, v3, s2, v[0:1]
	v_mov_b32_e32 v0, v1
.LBB157_29:
	v_cmp_ne_u32_e32 vcc_lo, 1, v7
	v_add_nc_u32_e32 v2, 0x80, v6
	s_cbranch_vccnz .LBB157_35
; %bb.30:
	v_mov_b32_e32 v1, 0
	s_cmp_eq_u32 s18, 0
	s_mov_b32 s6, 0
	s_cbranch_scc1 .LBB157_39
; %bb.31:
	s_min_u32 s7, s19, 15
	v_mov_b32_e32 v1, 0
	s_add_i32 s7, s7, 1
	s_cmp_eq_u32 s19, 2
	s_mov_b32 s8, 0
	s_cbranch_scc1 .LBB157_36
; %bb.32:
	v_mov_b32_e32 v1, 0
	v_mov_b32_e32 v3, v2
	s_add_u32 s2, s0, 0xc4
	s_addc_u32 s3, s1, 0
	s_and_b32 s8, s7, 28
	s_mov_b32 s9, 0
	s_mov_b64 s[4:5], s[0:1]
.LBB157_33:                             ; =>This Inner Loop Header: Depth=1
	s_clause 0x1
	s_load_b256 s[20:27], s[4:5], 0x4
	s_load_b128 s[12:15], s[4:5], 0x24
	s_load_b128 s[28:31], s[2:3], 0x0
	s_add_u32 s4, s4, 48
	s_addc_u32 s5, s5, 0
	s_add_i32 s9, s9, 4
	s_add_u32 s2, s2, 16
	s_addc_u32 s3, s3, 0
	s_cmp_lg_u32 s8, s9
	s_waitcnt lgkmcnt(0)
	v_mul_hi_u32 v4, s21, v3
	s_delay_alu instid0(VALU_DEP_1) | instskip(NEXT) | instid1(VALU_DEP_1)
	v_add_nc_u32_e32 v4, v3, v4
	v_lshrrev_b32_e32 v4, s22, v4
	s_delay_alu instid0(VALU_DEP_1) | instskip(SKIP_1) | instid1(VALU_DEP_2)
	v_mul_hi_u32 v5, s24, v4
	v_mul_lo_u32 v11, v4, s20
	v_add_nc_u32_e32 v5, v4, v5
	s_delay_alu instid0(VALU_DEP_2) | instskip(NEXT) | instid1(VALU_DEP_2)
	v_sub_nc_u32_e32 v11, v3, v11
	v_lshrrev_b32_e32 v5, s25, v5
	s_delay_alu instid0(VALU_DEP_2) | instskip(NEXT) | instid1(VALU_DEP_2)
	v_mul_lo_u32 v11, v11, s28
	v_mul_hi_u32 v9, s27, v5
	v_mul_lo_u32 v12, v5, s23
	s_delay_alu instid0(VALU_DEP_2) | instskip(NEXT) | instid1(VALU_DEP_2)
	v_add_nc_u32_e32 v9, v5, v9
	v_sub_nc_u32_e32 v4, v4, v12
	s_delay_alu instid0(VALU_DEP_2) | instskip(NEXT) | instid1(VALU_DEP_2)
	v_lshrrev_b32_e32 v9, s12, v9
	v_mul_lo_u32 v4, v4, s29
	s_delay_alu instid0(VALU_DEP_2) | instskip(NEXT) | instid1(VALU_DEP_2)
	v_mul_hi_u32 v10, s14, v9
	v_add3_u32 v1, v11, v1, v4
	s_delay_alu instid0(VALU_DEP_2) | instskip(NEXT) | instid1(VALU_DEP_1)
	v_add_nc_u32_e32 v10, v9, v10
	v_lshrrev_b32_e32 v3, s15, v10
	v_mul_lo_u32 v10, v9, s26
	s_delay_alu instid0(VALU_DEP_2) | instskip(NEXT) | instid1(VALU_DEP_2)
	v_mul_lo_u32 v13, v3, s13
	v_sub_nc_u32_e32 v5, v5, v10
	s_delay_alu instid0(VALU_DEP_2) | instskip(NEXT) | instid1(VALU_DEP_2)
	v_sub_nc_u32_e32 v9, v9, v13
	v_mul_lo_u32 v5, v5, s30
	s_delay_alu instid0(VALU_DEP_2) | instskip(NEXT) | instid1(VALU_DEP_1)
	v_mul_lo_u32 v9, v9, s31
	v_add3_u32 v1, v5, v1, v9
	s_cbranch_scc1 .LBB157_33
; %bb.34:
	s_and_b32 s7, s7, 3
	s_delay_alu instid0(SALU_CYCLE_1)
	s_cmp_eq_u32 s7, 0
	s_cbranch_scc0 .LBB157_37
	s_branch .LBB157_39
.LBB157_35:
	s_mov_b32 s6, -1
                                        ; implicit-def: $vgpr1
	s_branch .LBB157_39
.LBB157_36:
	v_mov_b32_e32 v3, v2
	s_and_b32 s7, s7, 3
	s_delay_alu instid0(SALU_CYCLE_1)
	s_cmp_eq_u32 s7, 0
	s_cbranch_scc1 .LBB157_39
.LBB157_37:
	s_lshl_b32 s2, s8, 2
	s_mul_i32 s4, s8, 12
	s_add_u32 s2, s2, s0
	s_addc_u32 s3, 0, s1
	s_add_u32 s2, s2, 0xc4
	s_addc_u32 s3, s3, 0
	;; [unrolled: 2-line block ×3, first 2 shown]
	.p2align	6
.LBB157_38:                             ; =>This Inner Loop Header: Depth=1
	s_clause 0x1
	s_load_b64 s[8:9], s[4:5], 0x4
	s_load_b32 s10, s[4:5], 0xc
	s_add_u32 s4, s4, 12
	s_addc_u32 s5, s5, 0
	s_waitcnt lgkmcnt(0)
	v_mul_hi_u32 v4, s9, v3
	s_load_b32 s9, s[2:3], 0x0
	s_add_u32 s2, s2, 4
	s_addc_u32 s3, s3, 0
	s_add_i32 s7, s7, -1
	s_delay_alu instid0(SALU_CYCLE_1) | instskip(NEXT) | instid1(VALU_DEP_1)
	s_cmp_lg_u32 s7, 0
	v_add_nc_u32_e32 v4, v3, v4
	s_delay_alu instid0(VALU_DEP_1) | instskip(NEXT) | instid1(VALU_DEP_1)
	v_lshrrev_b32_e32 v9, s10, v4
	v_mul_lo_u32 v4, v9, s8
	s_delay_alu instid0(VALU_DEP_1) | instskip(SKIP_1) | instid1(VALU_DEP_1)
	v_sub_nc_u32_e32 v3, v3, v4
	s_waitcnt lgkmcnt(0)
	v_mad_u64_u32 v[4:5], null, v3, s9, v[1:2]
	v_mov_b32_e32 v3, v9
	s_delay_alu instid0(VALU_DEP_2)
	v_mov_b32_e32 v1, v4
	s_cbranch_scc1 .LBB157_38
.LBB157_39:
	s_and_not1_b32 vcc_lo, exec_lo, s6
	s_cbranch_vccnz .LBB157_42
; %bb.40:
	s_clause 0x1
	s_load_b128 s[4:7], s[0:1], 0x4
	s_load_b32 s2, s[0:1], 0xc4
	s_cmp_lt_u32 s18, 2
	s_waitcnt lgkmcnt(0)
	v_mul_hi_u32 v1, s5, v2
	s_delay_alu instid0(VALU_DEP_1) | instskip(NEXT) | instid1(VALU_DEP_1)
	v_add_nc_u32_e32 v1, v2, v1
	v_lshrrev_b32_e32 v3, s6, v1
	s_delay_alu instid0(VALU_DEP_1) | instskip(NEXT) | instid1(VALU_DEP_1)
	v_mul_lo_u32 v1, v3, s4
	v_sub_nc_u32_e32 v1, v2, v1
	s_delay_alu instid0(VALU_DEP_1)
	v_mul_lo_u32 v1, v1, s2
	s_cbranch_scc1 .LBB157_42
; %bb.41:
	s_clause 0x1
	s_load_b128 s[4:7], s[0:1], 0x10
	s_load_b32 s2, s[0:1], 0xc8
	s_waitcnt lgkmcnt(0)
	v_mul_hi_u32 v2, s5, v3
	s_delay_alu instid0(VALU_DEP_1) | instskip(NEXT) | instid1(VALU_DEP_1)
	v_add_nc_u32_e32 v2, v3, v2
	v_lshrrev_b32_e32 v2, s6, v2
	s_delay_alu instid0(VALU_DEP_1) | instskip(NEXT) | instid1(VALU_DEP_1)
	v_mul_lo_u32 v2, v2, s4
	v_sub_nc_u32_e32 v4, v3, v2
	s_delay_alu instid0(VALU_DEP_1) | instskip(NEXT) | instid1(VALU_DEP_1)
	v_mad_u64_u32 v[2:3], null, v4, s2, v[1:2]
	v_mov_b32_e32 v1, v2
.LBB157_42:
	v_cmp_ne_u32_e32 vcc_lo, 1, v7
	v_add_nc_u32_e32 v3, 0x100, v6
	s_cbranch_vccnz .LBB157_48
; %bb.43:
	v_mov_b32_e32 v2, 0
	s_cmp_eq_u32 s18, 0
	s_mov_b32 s6, 0
	s_cbranch_scc1 .LBB157_52
; %bb.44:
	s_min_u32 s7, s19, 15
	v_mov_b32_e32 v2, 0
	s_add_i32 s7, s7, 1
	s_cmp_eq_u32 s19, 2
	s_mov_b32 s8, 0
	s_cbranch_scc1 .LBB157_49
; %bb.45:
	v_mov_b32_e32 v2, 0
	v_mov_b32_e32 v4, v3
	s_add_u32 s2, s0, 0xc4
	s_addc_u32 s3, s1, 0
	s_and_b32 s8, s7, 28
	s_mov_b32 s9, 0
	s_mov_b64 s[4:5], s[0:1]
.LBB157_46:                             ; =>This Inner Loop Header: Depth=1
	s_clause 0x1
	s_load_b256 s[20:27], s[4:5], 0x4
	s_load_b128 s[12:15], s[4:5], 0x24
	s_load_b128 s[28:31], s[2:3], 0x0
	s_add_u32 s4, s4, 48
	s_addc_u32 s5, s5, 0
	s_add_i32 s9, s9, 4
	s_add_u32 s2, s2, 16
	s_addc_u32 s3, s3, 0
	s_cmp_lg_u32 s8, s9
	s_waitcnt lgkmcnt(0)
	v_mul_hi_u32 v5, s21, v4
	s_delay_alu instid0(VALU_DEP_1) | instskip(NEXT) | instid1(VALU_DEP_1)
	v_add_nc_u32_e32 v5, v4, v5
	v_lshrrev_b32_e32 v5, s22, v5
	s_delay_alu instid0(VALU_DEP_1) | instskip(SKIP_1) | instid1(VALU_DEP_2)
	v_mul_hi_u32 v9, s24, v5
	v_mul_lo_u32 v12, v5, s20
	v_add_nc_u32_e32 v9, v5, v9
	s_delay_alu instid0(VALU_DEP_2) | instskip(NEXT) | instid1(VALU_DEP_2)
	v_sub_nc_u32_e32 v12, v4, v12
	v_lshrrev_b32_e32 v9, s25, v9
	s_delay_alu instid0(VALU_DEP_2) | instskip(NEXT) | instid1(VALU_DEP_2)
	v_mul_lo_u32 v12, v12, s28
	v_mul_hi_u32 v10, s27, v9
	v_mul_lo_u32 v13, v9, s23
	s_delay_alu instid0(VALU_DEP_2) | instskip(NEXT) | instid1(VALU_DEP_2)
	v_add_nc_u32_e32 v10, v9, v10
	v_sub_nc_u32_e32 v5, v5, v13
	s_delay_alu instid0(VALU_DEP_2) | instskip(NEXT) | instid1(VALU_DEP_2)
	v_lshrrev_b32_e32 v10, s12, v10
	v_mul_lo_u32 v5, v5, s29
	s_delay_alu instid0(VALU_DEP_2) | instskip(NEXT) | instid1(VALU_DEP_2)
	v_mul_hi_u32 v11, s14, v10
	v_add3_u32 v2, v12, v2, v5
	s_delay_alu instid0(VALU_DEP_2) | instskip(NEXT) | instid1(VALU_DEP_1)
	v_add_nc_u32_e32 v11, v10, v11
	v_lshrrev_b32_e32 v4, s15, v11
	v_mul_lo_u32 v11, v10, s26
	s_delay_alu instid0(VALU_DEP_2) | instskip(NEXT) | instid1(VALU_DEP_2)
	v_mul_lo_u32 v14, v4, s13
	v_sub_nc_u32_e32 v9, v9, v11
	s_delay_alu instid0(VALU_DEP_2) | instskip(NEXT) | instid1(VALU_DEP_2)
	v_sub_nc_u32_e32 v10, v10, v14
	v_mul_lo_u32 v9, v9, s30
	s_delay_alu instid0(VALU_DEP_2) | instskip(NEXT) | instid1(VALU_DEP_1)
	v_mul_lo_u32 v10, v10, s31
	v_add3_u32 v2, v9, v2, v10
	s_cbranch_scc1 .LBB157_46
; %bb.47:
	s_and_b32 s7, s7, 3
	s_delay_alu instid0(SALU_CYCLE_1)
	s_cmp_eq_u32 s7, 0
	s_cbranch_scc0 .LBB157_50
	s_branch .LBB157_52
.LBB157_48:
	s_mov_b32 s6, -1
                                        ; implicit-def: $vgpr2
	s_branch .LBB157_52
.LBB157_49:
	v_mov_b32_e32 v4, v3
	s_and_b32 s7, s7, 3
	s_delay_alu instid0(SALU_CYCLE_1)
	s_cmp_eq_u32 s7, 0
	s_cbranch_scc1 .LBB157_52
.LBB157_50:
	s_lshl_b32 s2, s8, 2
	s_mul_i32 s4, s8, 12
	s_add_u32 s2, s2, s0
	s_addc_u32 s3, 0, s1
	s_add_u32 s2, s2, 0xc4
	s_addc_u32 s3, s3, 0
	;; [unrolled: 2-line block ×3, first 2 shown]
	.p2align	6
.LBB157_51:                             ; =>This Inner Loop Header: Depth=1
	s_clause 0x1
	s_load_b64 s[8:9], s[4:5], 0x4
	s_load_b32 s10, s[4:5], 0xc
	s_add_u32 s4, s4, 12
	s_addc_u32 s5, s5, 0
	s_waitcnt lgkmcnt(0)
	v_mul_hi_u32 v5, s9, v4
	s_load_b32 s9, s[2:3], 0x0
	s_add_u32 s2, s2, 4
	s_addc_u32 s3, s3, 0
	s_add_i32 s7, s7, -1
	s_delay_alu instid0(SALU_CYCLE_1) | instskip(NEXT) | instid1(VALU_DEP_1)
	s_cmp_lg_u32 s7, 0
	v_add_nc_u32_e32 v5, v4, v5
	s_delay_alu instid0(VALU_DEP_1) | instskip(NEXT) | instid1(VALU_DEP_1)
	v_lshrrev_b32_e32 v5, s10, v5
	v_mul_lo_u32 v9, v5, s8
	s_delay_alu instid0(VALU_DEP_1) | instskip(SKIP_1) | instid1(VALU_DEP_1)
	v_sub_nc_u32_e32 v4, v4, v9
	s_waitcnt lgkmcnt(0)
	v_mad_u64_u32 v[9:10], null, v4, s9, v[2:3]
	v_mov_b32_e32 v4, v5
	s_delay_alu instid0(VALU_DEP_2)
	v_mov_b32_e32 v2, v9
	s_cbranch_scc1 .LBB157_51
.LBB157_52:
	s_and_not1_b32 vcc_lo, exec_lo, s6
	s_cbranch_vccnz .LBB157_55
; %bb.53:
	s_clause 0x1
	s_load_b128 s[4:7], s[0:1], 0x4
	s_load_b32 s2, s[0:1], 0xc4
	s_cmp_lt_u32 s18, 2
	s_waitcnt lgkmcnt(0)
	v_mul_hi_u32 v2, s5, v3
	s_delay_alu instid0(VALU_DEP_1) | instskip(NEXT) | instid1(VALU_DEP_1)
	v_add_nc_u32_e32 v2, v3, v2
	v_lshrrev_b32_e32 v4, s6, v2
	s_delay_alu instid0(VALU_DEP_1) | instskip(NEXT) | instid1(VALU_DEP_1)
	v_mul_lo_u32 v2, v4, s4
	v_sub_nc_u32_e32 v2, v3, v2
	s_delay_alu instid0(VALU_DEP_1)
	v_mul_lo_u32 v2, v2, s2
	s_cbranch_scc1 .LBB157_55
; %bb.54:
	s_clause 0x1
	s_load_b128 s[4:7], s[0:1], 0x10
	s_load_b32 s2, s[0:1], 0xc8
	s_waitcnt lgkmcnt(0)
	v_mul_hi_u32 v3, s5, v4
	s_delay_alu instid0(VALU_DEP_1) | instskip(NEXT) | instid1(VALU_DEP_1)
	v_add_nc_u32_e32 v3, v4, v3
	v_lshrrev_b32_e32 v3, s6, v3
	s_delay_alu instid0(VALU_DEP_1) | instskip(NEXT) | instid1(VALU_DEP_1)
	v_mul_lo_u32 v3, v3, s4
	v_sub_nc_u32_e32 v5, v4, v3
	s_delay_alu instid0(VALU_DEP_1) | instskip(NEXT) | instid1(VALU_DEP_1)
	v_mad_u64_u32 v[3:4], null, v5, s2, v[2:3]
	v_mov_b32_e32 v2, v3
.LBB157_55:
	v_cmp_ne_u32_e32 vcc_lo, 1, v7
	v_add_nc_u32_e32 v4, 0x180, v6
	s_cbranch_vccnz .LBB157_61
; %bb.56:
	v_mov_b32_e32 v3, 0
	s_cmp_eq_u32 s18, 0
	s_mov_b32 s6, 0
	s_cbranch_scc1 .LBB157_65
; %bb.57:
	s_min_u32 s7, s19, 15
	v_mov_b32_e32 v3, 0
	s_add_i32 s7, s7, 1
	s_cmp_eq_u32 s19, 2
	s_mov_b32 s8, 0
	s_cbranch_scc1 .LBB157_62
; %bb.58:
	v_mov_b32_e32 v3, 0
	v_mov_b32_e32 v5, v4
	s_add_u32 s2, s0, 0xc4
	s_addc_u32 s3, s1, 0
	s_and_b32 s8, s7, 28
	s_mov_b32 s9, 0
	s_mov_b64 s[4:5], s[0:1]
.LBB157_59:                             ; =>This Inner Loop Header: Depth=1
	s_clause 0x1
	s_load_b256 s[20:27], s[4:5], 0x4
	s_load_b128 s[12:15], s[4:5], 0x24
	s_load_b128 s[28:31], s[2:3], 0x0
	s_add_u32 s4, s4, 48
	s_addc_u32 s5, s5, 0
	s_add_i32 s9, s9, 4
	s_add_u32 s2, s2, 16
	s_addc_u32 s3, s3, 0
	s_cmp_lg_u32 s8, s9
	s_waitcnt lgkmcnt(0)
	v_mul_hi_u32 v9, s21, v5
	s_delay_alu instid0(VALU_DEP_1) | instskip(NEXT) | instid1(VALU_DEP_1)
	v_add_nc_u32_e32 v9, v5, v9
	v_lshrrev_b32_e32 v9, s22, v9
	s_delay_alu instid0(VALU_DEP_1) | instskip(SKIP_1) | instid1(VALU_DEP_2)
	v_mul_hi_u32 v10, s24, v9
	v_mul_lo_u32 v13, v9, s20
	v_add_nc_u32_e32 v10, v9, v10
	s_delay_alu instid0(VALU_DEP_2) | instskip(NEXT) | instid1(VALU_DEP_2)
	v_sub_nc_u32_e32 v13, v5, v13
	v_lshrrev_b32_e32 v10, s25, v10
	s_delay_alu instid0(VALU_DEP_2) | instskip(NEXT) | instid1(VALU_DEP_2)
	v_mul_lo_u32 v13, v13, s28
	v_mul_hi_u32 v11, s27, v10
	v_mul_lo_u32 v14, v10, s23
	s_delay_alu instid0(VALU_DEP_2) | instskip(NEXT) | instid1(VALU_DEP_2)
	v_add_nc_u32_e32 v11, v10, v11
	v_sub_nc_u32_e32 v9, v9, v14
	s_delay_alu instid0(VALU_DEP_2) | instskip(NEXT) | instid1(VALU_DEP_2)
	v_lshrrev_b32_e32 v11, s12, v11
	v_mul_lo_u32 v9, v9, s29
	s_delay_alu instid0(VALU_DEP_2) | instskip(NEXT) | instid1(VALU_DEP_2)
	v_mul_hi_u32 v12, s14, v11
	v_add3_u32 v3, v13, v3, v9
	s_delay_alu instid0(VALU_DEP_2) | instskip(NEXT) | instid1(VALU_DEP_1)
	v_add_nc_u32_e32 v12, v11, v12
	v_lshrrev_b32_e32 v5, s15, v12
	v_mul_lo_u32 v12, v11, s26
	s_delay_alu instid0(VALU_DEP_2) | instskip(NEXT) | instid1(VALU_DEP_2)
	v_mul_lo_u32 v15, v5, s13
	v_sub_nc_u32_e32 v10, v10, v12
	s_delay_alu instid0(VALU_DEP_2) | instskip(NEXT) | instid1(VALU_DEP_2)
	v_sub_nc_u32_e32 v11, v11, v15
	v_mul_lo_u32 v10, v10, s30
	s_delay_alu instid0(VALU_DEP_2) | instskip(NEXT) | instid1(VALU_DEP_1)
	v_mul_lo_u32 v11, v11, s31
	v_add3_u32 v3, v10, v3, v11
	s_cbranch_scc1 .LBB157_59
; %bb.60:
	s_and_b32 s7, s7, 3
	s_delay_alu instid0(SALU_CYCLE_1)
	s_cmp_eq_u32 s7, 0
	s_cbranch_scc0 .LBB157_63
	s_branch .LBB157_65
.LBB157_61:
	s_mov_b32 s6, -1
                                        ; implicit-def: $vgpr3
	s_branch .LBB157_65
.LBB157_62:
	v_mov_b32_e32 v5, v4
	s_and_b32 s7, s7, 3
	s_delay_alu instid0(SALU_CYCLE_1)
	s_cmp_eq_u32 s7, 0
	s_cbranch_scc1 .LBB157_65
.LBB157_63:
	s_lshl_b32 s2, s8, 2
	s_mul_i32 s4, s8, 12
	s_add_u32 s2, s2, s0
	s_addc_u32 s3, 0, s1
	s_add_u32 s2, s2, 0xc4
	s_addc_u32 s3, s3, 0
	;; [unrolled: 2-line block ×3, first 2 shown]
	.p2align	6
.LBB157_64:                             ; =>This Inner Loop Header: Depth=1
	s_clause 0x1
	s_load_b64 s[8:9], s[4:5], 0x4
	s_load_b32 s10, s[4:5], 0xc
	s_add_u32 s4, s4, 12
	s_addc_u32 s5, s5, 0
	s_waitcnt lgkmcnt(0)
	v_mul_hi_u32 v9, s9, v5
	s_load_b32 s9, s[2:3], 0x0
	s_add_u32 s2, s2, 4
	s_addc_u32 s3, s3, 0
	s_add_i32 s7, s7, -1
	s_delay_alu instid0(SALU_CYCLE_1) | instskip(NEXT) | instid1(VALU_DEP_1)
	s_cmp_lg_u32 s7, 0
	v_add_nc_u32_e32 v9, v5, v9
	s_delay_alu instid0(VALU_DEP_1) | instskip(NEXT) | instid1(VALU_DEP_1)
	v_lshrrev_b32_e32 v11, s10, v9
	v_mul_lo_u32 v9, v11, s8
	s_delay_alu instid0(VALU_DEP_1) | instskip(SKIP_1) | instid1(VALU_DEP_1)
	v_sub_nc_u32_e32 v5, v5, v9
	s_waitcnt lgkmcnt(0)
	v_mad_u64_u32 v[9:10], null, v5, s9, v[3:4]
	v_mov_b32_e32 v5, v11
	s_delay_alu instid0(VALU_DEP_2)
	v_mov_b32_e32 v3, v9
	s_cbranch_scc1 .LBB157_64
.LBB157_65:
	s_and_not1_b32 vcc_lo, exec_lo, s6
	s_cbranch_vccnz .LBB157_68
; %bb.66:
	s_clause 0x1
	s_load_b128 s[4:7], s[0:1], 0x4
	s_load_b32 s2, s[0:1], 0xc4
	s_cmp_lt_u32 s18, 2
	s_waitcnt lgkmcnt(0)
	v_mul_hi_u32 v3, s5, v4
	s_delay_alu instid0(VALU_DEP_1) | instskip(NEXT) | instid1(VALU_DEP_1)
	v_add_nc_u32_e32 v3, v4, v3
	v_lshrrev_b32_e32 v5, s6, v3
	s_delay_alu instid0(VALU_DEP_1) | instskip(NEXT) | instid1(VALU_DEP_1)
	v_mul_lo_u32 v3, v5, s4
	v_sub_nc_u32_e32 v3, v4, v3
	s_delay_alu instid0(VALU_DEP_1)
	v_mul_lo_u32 v3, v3, s2
	s_cbranch_scc1 .LBB157_68
; %bb.67:
	s_clause 0x1
	s_load_b128 s[4:7], s[0:1], 0x10
	s_load_b32 s2, s[0:1], 0xc8
	s_waitcnt lgkmcnt(0)
	v_mul_hi_u32 v4, s5, v5
	s_delay_alu instid0(VALU_DEP_1) | instskip(NEXT) | instid1(VALU_DEP_1)
	v_add_nc_u32_e32 v4, v5, v4
	v_lshrrev_b32_e32 v4, s6, v4
	s_delay_alu instid0(VALU_DEP_1) | instskip(NEXT) | instid1(VALU_DEP_1)
	v_mul_lo_u32 v4, v4, s4
	v_sub_nc_u32_e32 v9, v5, v4
	s_delay_alu instid0(VALU_DEP_1) | instskip(NEXT) | instid1(VALU_DEP_1)
	v_mad_u64_u32 v[4:5], null, v9, s2, v[3:4]
	v_mov_b32_e32 v3, v4
.LBB157_68:
	v_cmp_ne_u32_e32 vcc_lo, 1, v7
	v_add_nc_u32_e32 v5, 0x200, v6
	s_cbranch_vccnz .LBB157_74
; %bb.69:
	v_mov_b32_e32 v4, 0
	s_cmp_eq_u32 s18, 0
	s_mov_b32 s6, 0
	s_cbranch_scc1 .LBB157_78
; %bb.70:
	s_min_u32 s7, s19, 15
	v_mov_b32_e32 v4, 0
	s_add_i32 s7, s7, 1
	s_cmp_eq_u32 s19, 2
	s_mov_b32 s8, 0
	s_cbranch_scc1 .LBB157_75
; %bb.71:
	v_dual_mov_b32 v4, 0 :: v_dual_mov_b32 v9, v5
	s_add_u32 s2, s0, 0xc4
	s_addc_u32 s3, s1, 0
	s_and_b32 s8, s7, 28
	s_mov_b32 s9, 0
	s_mov_b64 s[4:5], s[0:1]
.LBB157_72:                             ; =>This Inner Loop Header: Depth=1
	s_clause 0x1
	s_load_b256 s[20:27], s[4:5], 0x4
	s_load_b128 s[12:15], s[4:5], 0x24
	s_load_b128 s[28:31], s[2:3], 0x0
	s_add_u32 s4, s4, 48
	s_addc_u32 s5, s5, 0
	s_add_i32 s9, s9, 4
	s_add_u32 s2, s2, 16
	s_addc_u32 s3, s3, 0
	s_cmp_lg_u32 s8, s9
	s_waitcnt lgkmcnt(0)
	v_mul_hi_u32 v10, s21, v9
	s_delay_alu instid0(VALU_DEP_1) | instskip(NEXT) | instid1(VALU_DEP_1)
	v_add_nc_u32_e32 v10, v9, v10
	v_lshrrev_b32_e32 v10, s22, v10
	s_delay_alu instid0(VALU_DEP_1) | instskip(SKIP_1) | instid1(VALU_DEP_2)
	v_mul_hi_u32 v11, s24, v10
	v_mul_lo_u32 v14, v10, s20
	v_add_nc_u32_e32 v11, v10, v11
	s_delay_alu instid0(VALU_DEP_2) | instskip(NEXT) | instid1(VALU_DEP_2)
	v_sub_nc_u32_e32 v14, v9, v14
	v_lshrrev_b32_e32 v11, s25, v11
	s_delay_alu instid0(VALU_DEP_2) | instskip(NEXT) | instid1(VALU_DEP_2)
	v_mul_lo_u32 v14, v14, s28
	v_mul_hi_u32 v12, s27, v11
	v_mul_lo_u32 v15, v11, s23
	s_delay_alu instid0(VALU_DEP_2) | instskip(NEXT) | instid1(VALU_DEP_2)
	v_add_nc_u32_e32 v12, v11, v12
	v_sub_nc_u32_e32 v10, v10, v15
	s_delay_alu instid0(VALU_DEP_2) | instskip(NEXT) | instid1(VALU_DEP_2)
	v_lshrrev_b32_e32 v12, s12, v12
	v_mul_lo_u32 v10, v10, s29
	s_delay_alu instid0(VALU_DEP_2) | instskip(NEXT) | instid1(VALU_DEP_2)
	v_mul_hi_u32 v13, s14, v12
	v_add3_u32 v4, v14, v4, v10
	s_delay_alu instid0(VALU_DEP_2) | instskip(NEXT) | instid1(VALU_DEP_1)
	v_add_nc_u32_e32 v13, v12, v13
	v_lshrrev_b32_e32 v9, s15, v13
	v_mul_lo_u32 v13, v12, s26
	s_delay_alu instid0(VALU_DEP_2) | instskip(NEXT) | instid1(VALU_DEP_2)
	v_mul_lo_u32 v16, v9, s13
	v_sub_nc_u32_e32 v11, v11, v13
	s_delay_alu instid0(VALU_DEP_2) | instskip(NEXT) | instid1(VALU_DEP_2)
	v_sub_nc_u32_e32 v12, v12, v16
	v_mul_lo_u32 v11, v11, s30
	s_delay_alu instid0(VALU_DEP_2) | instskip(NEXT) | instid1(VALU_DEP_1)
	v_mul_lo_u32 v12, v12, s31
	v_add3_u32 v4, v11, v4, v12
	s_cbranch_scc1 .LBB157_72
; %bb.73:
	s_and_b32 s7, s7, 3
	s_delay_alu instid0(SALU_CYCLE_1)
	s_cmp_eq_u32 s7, 0
	s_cbranch_scc0 .LBB157_76
	s_branch .LBB157_78
.LBB157_74:
	s_mov_b32 s6, -1
                                        ; implicit-def: $vgpr4
	s_branch .LBB157_78
.LBB157_75:
	v_mov_b32_e32 v9, v5
	s_and_b32 s7, s7, 3
	s_delay_alu instid0(SALU_CYCLE_1)
	s_cmp_eq_u32 s7, 0
	s_cbranch_scc1 .LBB157_78
.LBB157_76:
	s_lshl_b32 s2, s8, 2
	s_mul_i32 s4, s8, 12
	s_add_u32 s2, s2, s0
	s_addc_u32 s3, 0, s1
	s_add_u32 s2, s2, 0xc4
	s_addc_u32 s3, s3, 0
	;; [unrolled: 2-line block ×3, first 2 shown]
	.p2align	6
.LBB157_77:                             ; =>This Inner Loop Header: Depth=1
	s_clause 0x1
	s_load_b64 s[8:9], s[4:5], 0x4
	s_load_b32 s10, s[4:5], 0xc
	s_add_u32 s4, s4, 12
	s_addc_u32 s5, s5, 0
	s_waitcnt lgkmcnt(0)
	v_mul_hi_u32 v10, s9, v9
	s_load_b32 s9, s[2:3], 0x0
	s_add_u32 s2, s2, 4
	s_addc_u32 s3, s3, 0
	s_add_i32 s7, s7, -1
	s_delay_alu instid0(SALU_CYCLE_1) | instskip(NEXT) | instid1(VALU_DEP_1)
	s_cmp_lg_u32 s7, 0
	v_add_nc_u32_e32 v10, v9, v10
	s_delay_alu instid0(VALU_DEP_1) | instskip(NEXT) | instid1(VALU_DEP_1)
	v_lshrrev_b32_e32 v12, s10, v10
	v_mul_lo_u32 v10, v12, s8
	s_delay_alu instid0(VALU_DEP_1) | instskip(SKIP_1) | instid1(VALU_DEP_1)
	v_sub_nc_u32_e32 v9, v9, v10
	s_waitcnt lgkmcnt(0)
	v_mad_u64_u32 v[10:11], null, v9, s9, v[4:5]
	s_delay_alu instid0(VALU_DEP_1)
	v_dual_mov_b32 v9, v12 :: v_dual_mov_b32 v4, v10
	s_cbranch_scc1 .LBB157_77
.LBB157_78:
	s_and_not1_b32 vcc_lo, exec_lo, s6
	s_cbranch_vccnz .LBB157_81
; %bb.79:
	s_clause 0x1
	s_load_b128 s[4:7], s[0:1], 0x4
	s_load_b32 s2, s[0:1], 0xc4
	s_cmp_lt_u32 s18, 2
	s_waitcnt lgkmcnt(0)
	v_mul_hi_u32 v4, s5, v5
	s_delay_alu instid0(VALU_DEP_1) | instskip(NEXT) | instid1(VALU_DEP_1)
	v_add_nc_u32_e32 v4, v5, v4
	v_lshrrev_b32_e32 v9, s6, v4
	s_delay_alu instid0(VALU_DEP_1) | instskip(NEXT) | instid1(VALU_DEP_1)
	v_mul_lo_u32 v4, v9, s4
	v_sub_nc_u32_e32 v4, v5, v4
	s_delay_alu instid0(VALU_DEP_1)
	v_mul_lo_u32 v4, v4, s2
	s_cbranch_scc1 .LBB157_81
; %bb.80:
	s_clause 0x1
	s_load_b128 s[4:7], s[0:1], 0x10
	s_load_b32 s2, s[0:1], 0xc8
	s_waitcnt lgkmcnt(0)
	v_mul_hi_u32 v5, s5, v9
	s_delay_alu instid0(VALU_DEP_1) | instskip(NEXT) | instid1(VALU_DEP_1)
	v_add_nc_u32_e32 v5, v9, v5
	v_lshrrev_b32_e32 v5, s6, v5
	s_delay_alu instid0(VALU_DEP_1) | instskip(NEXT) | instid1(VALU_DEP_1)
	v_mul_lo_u32 v5, v5, s4
	v_sub_nc_u32_e32 v5, v9, v5
	s_delay_alu instid0(VALU_DEP_1) | instskip(NEXT) | instid1(VALU_DEP_1)
	v_mad_u64_u32 v[9:10], null, v5, s2, v[4:5]
	v_mov_b32_e32 v4, v9
.LBB157_81:
	v_cmp_ne_u32_e32 vcc_lo, 1, v7
	v_add_nc_u32_e32 v9, 0x280, v6
	s_cbranch_vccnz .LBB157_87
; %bb.82:
	v_mov_b32_e32 v5, 0
	s_cmp_eq_u32 s18, 0
	s_mov_b32 s6, 0
	s_cbranch_scc1 .LBB157_91
; %bb.83:
	s_min_u32 s7, s19, 15
	v_mov_b32_e32 v5, 0
	s_add_i32 s7, s7, 1
	s_cmp_eq_u32 s19, 2
	s_mov_b32 s8, 0
	s_cbranch_scc1 .LBB157_88
; %bb.84:
	v_dual_mov_b32 v5, 0 :: v_dual_mov_b32 v10, v9
	s_add_u32 s2, s0, 0xc4
	s_addc_u32 s3, s1, 0
	s_and_b32 s8, s7, 28
	s_mov_b32 s9, 0
	s_mov_b64 s[4:5], s[0:1]
.LBB157_85:                             ; =>This Inner Loop Header: Depth=1
	s_clause 0x1
	s_load_b256 s[20:27], s[4:5], 0x4
	s_load_b128 s[12:15], s[4:5], 0x24
	s_load_b128 s[28:31], s[2:3], 0x0
	s_add_u32 s4, s4, 48
	s_addc_u32 s5, s5, 0
	s_add_i32 s9, s9, 4
	s_add_u32 s2, s2, 16
	s_addc_u32 s3, s3, 0
	s_cmp_lg_u32 s8, s9
	s_waitcnt lgkmcnt(0)
	v_mul_hi_u32 v11, s21, v10
	s_delay_alu instid0(VALU_DEP_1) | instskip(NEXT) | instid1(VALU_DEP_1)
	v_add_nc_u32_e32 v11, v10, v11
	v_lshrrev_b32_e32 v11, s22, v11
	s_delay_alu instid0(VALU_DEP_1) | instskip(SKIP_1) | instid1(VALU_DEP_2)
	v_mul_hi_u32 v12, s24, v11
	v_mul_lo_u32 v15, v11, s20
	v_add_nc_u32_e32 v12, v11, v12
	s_delay_alu instid0(VALU_DEP_2) | instskip(NEXT) | instid1(VALU_DEP_2)
	v_sub_nc_u32_e32 v15, v10, v15
	v_lshrrev_b32_e32 v12, s25, v12
	s_delay_alu instid0(VALU_DEP_2) | instskip(NEXT) | instid1(VALU_DEP_2)
	v_mul_lo_u32 v15, v15, s28
	v_mul_hi_u32 v13, s27, v12
	v_mul_lo_u32 v16, v12, s23
	s_delay_alu instid0(VALU_DEP_2) | instskip(NEXT) | instid1(VALU_DEP_2)
	v_add_nc_u32_e32 v13, v12, v13
	v_sub_nc_u32_e32 v11, v11, v16
	s_delay_alu instid0(VALU_DEP_2) | instskip(NEXT) | instid1(VALU_DEP_2)
	v_lshrrev_b32_e32 v13, s12, v13
	v_mul_lo_u32 v11, v11, s29
	s_delay_alu instid0(VALU_DEP_2) | instskip(NEXT) | instid1(VALU_DEP_2)
	v_mul_hi_u32 v14, s14, v13
	v_add3_u32 v5, v15, v5, v11
	s_delay_alu instid0(VALU_DEP_2) | instskip(NEXT) | instid1(VALU_DEP_1)
	v_add_nc_u32_e32 v14, v13, v14
	v_lshrrev_b32_e32 v10, s15, v14
	v_mul_lo_u32 v14, v13, s26
	s_delay_alu instid0(VALU_DEP_2) | instskip(NEXT) | instid1(VALU_DEP_2)
	v_mul_lo_u32 v17, v10, s13
	v_sub_nc_u32_e32 v12, v12, v14
	s_delay_alu instid0(VALU_DEP_2) | instskip(NEXT) | instid1(VALU_DEP_2)
	v_sub_nc_u32_e32 v13, v13, v17
	v_mul_lo_u32 v12, v12, s30
	s_delay_alu instid0(VALU_DEP_2) | instskip(NEXT) | instid1(VALU_DEP_1)
	v_mul_lo_u32 v13, v13, s31
	v_add3_u32 v5, v12, v5, v13
	s_cbranch_scc1 .LBB157_85
; %bb.86:
	s_and_b32 s7, s7, 3
	s_delay_alu instid0(SALU_CYCLE_1)
	s_cmp_eq_u32 s7, 0
	s_cbranch_scc0 .LBB157_89
	s_branch .LBB157_91
.LBB157_87:
	s_mov_b32 s6, -1
                                        ; implicit-def: $vgpr5
	s_branch .LBB157_91
.LBB157_88:
	v_mov_b32_e32 v10, v9
	s_and_b32 s7, s7, 3
	s_delay_alu instid0(SALU_CYCLE_1)
	s_cmp_eq_u32 s7, 0
	s_cbranch_scc1 .LBB157_91
.LBB157_89:
	s_lshl_b32 s2, s8, 2
	s_mul_i32 s4, s8, 12
	s_add_u32 s2, s2, s0
	s_addc_u32 s3, 0, s1
	s_add_u32 s2, s2, 0xc4
	s_addc_u32 s3, s3, 0
	;; [unrolled: 2-line block ×3, first 2 shown]
	.p2align	6
.LBB157_90:                             ; =>This Inner Loop Header: Depth=1
	s_clause 0x1
	s_load_b64 s[8:9], s[4:5], 0x4
	s_load_b32 s10, s[4:5], 0xc
	s_add_u32 s4, s4, 12
	s_addc_u32 s5, s5, 0
	s_waitcnt lgkmcnt(0)
	v_mul_hi_u32 v11, s9, v10
	s_load_b32 s9, s[2:3], 0x0
	s_add_u32 s2, s2, 4
	s_addc_u32 s3, s3, 0
	s_add_i32 s7, s7, -1
	s_delay_alu instid0(SALU_CYCLE_1) | instskip(NEXT) | instid1(VALU_DEP_1)
	s_cmp_lg_u32 s7, 0
	v_add_nc_u32_e32 v11, v10, v11
	s_delay_alu instid0(VALU_DEP_1) | instskip(NEXT) | instid1(VALU_DEP_1)
	v_lshrrev_b32_e32 v13, s10, v11
	v_mul_lo_u32 v11, v13, s8
	s_delay_alu instid0(VALU_DEP_1) | instskip(SKIP_1) | instid1(VALU_DEP_1)
	v_sub_nc_u32_e32 v10, v10, v11
	s_waitcnt lgkmcnt(0)
	v_mad_u64_u32 v[11:12], null, v10, s9, v[5:6]
	s_delay_alu instid0(VALU_DEP_1)
	v_dual_mov_b32 v10, v13 :: v_dual_mov_b32 v5, v11
	s_cbranch_scc1 .LBB157_90
.LBB157_91:
	s_and_not1_b32 vcc_lo, exec_lo, s6
	s_cbranch_vccnz .LBB157_94
; %bb.92:
	s_clause 0x1
	s_load_b128 s[4:7], s[0:1], 0x4
	s_load_b32 s2, s[0:1], 0xc4
	s_cmp_lt_u32 s18, 2
	s_waitcnt lgkmcnt(0)
	v_mul_hi_u32 v5, s5, v9
	s_delay_alu instid0(VALU_DEP_1) | instskip(NEXT) | instid1(VALU_DEP_1)
	v_add_nc_u32_e32 v5, v9, v5
	v_lshrrev_b32_e32 v10, s6, v5
	s_delay_alu instid0(VALU_DEP_1) | instskip(NEXT) | instid1(VALU_DEP_1)
	v_mul_lo_u32 v5, v10, s4
	v_sub_nc_u32_e32 v5, v9, v5
	s_delay_alu instid0(VALU_DEP_1)
	v_mul_lo_u32 v5, v5, s2
	s_cbranch_scc1 .LBB157_94
; %bb.93:
	s_clause 0x1
	s_load_b128 s[4:7], s[0:1], 0x10
	s_load_b32 s2, s[0:1], 0xc8
	s_waitcnt lgkmcnt(0)
	v_mul_hi_u32 v9, s5, v10
	s_delay_alu instid0(VALU_DEP_1) | instskip(NEXT) | instid1(VALU_DEP_1)
	v_add_nc_u32_e32 v9, v10, v9
	v_lshrrev_b32_e32 v9, s6, v9
	s_delay_alu instid0(VALU_DEP_1) | instskip(NEXT) | instid1(VALU_DEP_1)
	v_mul_lo_u32 v9, v9, s4
	v_sub_nc_u32_e32 v11, v10, v9
	s_delay_alu instid0(VALU_DEP_1) | instskip(NEXT) | instid1(VALU_DEP_1)
	v_mad_u64_u32 v[9:10], null, v11, s2, v[5:6]
	v_mov_b32_e32 v5, v9
.LBB157_94:
	v_cmp_ne_u32_e32 vcc_lo, 1, v7
	v_add_nc_u32_e32 v9, 0x300, v6
	s_cbranch_vccnz .LBB157_100
; %bb.95:
	v_mov_b32_e32 v6, 0
	s_cmp_eq_u32 s18, 0
	s_mov_b32 s6, 0
	s_cbranch_scc1 .LBB157_104
; %bb.96:
	s_min_u32 s7, s19, 15
	v_mov_b32_e32 v6, 0
	s_add_i32 s7, s7, 1
	s_cmp_eq_u32 s19, 2
	s_mov_b32 s8, 0
	s_cbranch_scc1 .LBB157_101
; %bb.97:
	v_mov_b32_e32 v6, 0
	v_mov_b32_e32 v10, v9
	s_add_u32 s2, s0, 0xc4
	s_addc_u32 s3, s1, 0
	s_and_b32 s8, s7, 28
	s_mov_b32 s9, 0
	s_mov_b64 s[4:5], s[0:1]
.LBB157_98:                             ; =>This Inner Loop Header: Depth=1
	s_clause 0x1
	s_load_b256 s[20:27], s[4:5], 0x4
	s_load_b128 s[12:15], s[4:5], 0x24
	s_load_b128 s[28:31], s[2:3], 0x0
	s_add_u32 s4, s4, 48
	s_addc_u32 s5, s5, 0
	s_add_i32 s9, s9, 4
	s_add_u32 s2, s2, 16
	s_addc_u32 s3, s3, 0
	s_cmp_lg_u32 s8, s9
	s_waitcnt lgkmcnt(0)
	v_mul_hi_u32 v11, s21, v10
	s_delay_alu instid0(VALU_DEP_1) | instskip(NEXT) | instid1(VALU_DEP_1)
	v_add_nc_u32_e32 v11, v10, v11
	v_lshrrev_b32_e32 v11, s22, v11
	s_delay_alu instid0(VALU_DEP_1) | instskip(SKIP_1) | instid1(VALU_DEP_2)
	v_mul_hi_u32 v12, s24, v11
	v_mul_lo_u32 v15, v11, s20
	v_add_nc_u32_e32 v12, v11, v12
	s_delay_alu instid0(VALU_DEP_2) | instskip(NEXT) | instid1(VALU_DEP_2)
	v_sub_nc_u32_e32 v15, v10, v15
	v_lshrrev_b32_e32 v12, s25, v12
	s_delay_alu instid0(VALU_DEP_2) | instskip(NEXT) | instid1(VALU_DEP_2)
	v_mul_lo_u32 v15, v15, s28
	v_mul_hi_u32 v13, s27, v12
	v_mul_lo_u32 v16, v12, s23
	s_delay_alu instid0(VALU_DEP_2) | instskip(NEXT) | instid1(VALU_DEP_2)
	v_add_nc_u32_e32 v13, v12, v13
	v_sub_nc_u32_e32 v11, v11, v16
	s_delay_alu instid0(VALU_DEP_2) | instskip(NEXT) | instid1(VALU_DEP_2)
	v_lshrrev_b32_e32 v13, s12, v13
	v_mul_lo_u32 v11, v11, s29
	s_delay_alu instid0(VALU_DEP_2) | instskip(NEXT) | instid1(VALU_DEP_2)
	v_mul_hi_u32 v14, s14, v13
	v_add3_u32 v6, v15, v6, v11
	s_delay_alu instid0(VALU_DEP_2) | instskip(NEXT) | instid1(VALU_DEP_1)
	v_add_nc_u32_e32 v14, v13, v14
	v_lshrrev_b32_e32 v10, s15, v14
	v_mul_lo_u32 v14, v13, s26
	s_delay_alu instid0(VALU_DEP_2) | instskip(NEXT) | instid1(VALU_DEP_2)
	v_mul_lo_u32 v17, v10, s13
	v_sub_nc_u32_e32 v12, v12, v14
	s_delay_alu instid0(VALU_DEP_2) | instskip(NEXT) | instid1(VALU_DEP_2)
	v_sub_nc_u32_e32 v13, v13, v17
	v_mul_lo_u32 v12, v12, s30
	s_delay_alu instid0(VALU_DEP_2) | instskip(NEXT) | instid1(VALU_DEP_1)
	v_mul_lo_u32 v13, v13, s31
	v_add3_u32 v6, v12, v6, v13
	s_cbranch_scc1 .LBB157_98
; %bb.99:
	s_and_b32 s7, s7, 3
	s_delay_alu instid0(SALU_CYCLE_1)
	s_cmp_eq_u32 s7, 0
	s_cbranch_scc0 .LBB157_102
	s_branch .LBB157_104
.LBB157_100:
	s_mov_b32 s6, -1
                                        ; implicit-def: $vgpr6
	s_branch .LBB157_104
.LBB157_101:
	v_mov_b32_e32 v10, v9
	s_and_b32 s7, s7, 3
	s_delay_alu instid0(SALU_CYCLE_1)
	s_cmp_eq_u32 s7, 0
	s_cbranch_scc1 .LBB157_104
.LBB157_102:
	s_lshl_b32 s2, s8, 2
	s_mul_i32 s4, s8, 12
	s_add_u32 s2, s2, s0
	s_addc_u32 s3, 0, s1
	s_add_u32 s2, s2, 0xc4
	s_addc_u32 s3, s3, 0
	;; [unrolled: 2-line block ×3, first 2 shown]
	.p2align	6
.LBB157_103:                            ; =>This Inner Loop Header: Depth=1
	s_clause 0x1
	s_load_b64 s[8:9], s[4:5], 0x4
	s_load_b32 s10, s[4:5], 0xc
	s_add_u32 s4, s4, 12
	s_addc_u32 s5, s5, 0
	s_waitcnt lgkmcnt(0)
	v_mul_hi_u32 v11, s9, v10
	s_load_b32 s9, s[2:3], 0x0
	s_add_u32 s2, s2, 4
	s_addc_u32 s3, s3, 0
	s_add_i32 s7, s7, -1
	s_delay_alu instid0(SALU_CYCLE_1) | instskip(NEXT) | instid1(VALU_DEP_1)
	s_cmp_lg_u32 s7, 0
	v_add_nc_u32_e32 v11, v10, v11
	s_delay_alu instid0(VALU_DEP_1) | instskip(NEXT) | instid1(VALU_DEP_1)
	v_lshrrev_b32_e32 v13, s10, v11
	v_mul_lo_u32 v11, v13, s8
	s_delay_alu instid0(VALU_DEP_1) | instskip(SKIP_1) | instid1(VALU_DEP_1)
	v_sub_nc_u32_e32 v10, v10, v11
	s_waitcnt lgkmcnt(0)
	v_mad_u64_u32 v[11:12], null, v10, s9, v[6:7]
	v_mov_b32_e32 v10, v13
	s_delay_alu instid0(VALU_DEP_2)
	v_mov_b32_e32 v6, v11
	s_cbranch_scc1 .LBB157_103
.LBB157_104:
	s_and_not1_b32 vcc_lo, exec_lo, s6
	s_cbranch_vccnz .LBB157_107
; %bb.105:
	s_clause 0x1
	s_load_b128 s[4:7], s[0:1], 0x4
	s_load_b32 s2, s[0:1], 0xc4
	s_cmp_lt_u32 s18, 2
	s_waitcnt lgkmcnt(0)
	v_mul_hi_u32 v6, s5, v9
	s_delay_alu instid0(VALU_DEP_1) | instskip(NEXT) | instid1(VALU_DEP_1)
	v_add_nc_u32_e32 v6, v9, v6
	v_lshrrev_b32_e32 v10, s6, v6
	s_delay_alu instid0(VALU_DEP_1) | instskip(NEXT) | instid1(VALU_DEP_1)
	v_mul_lo_u32 v6, v10, s4
	v_sub_nc_u32_e32 v6, v9, v6
	s_delay_alu instid0(VALU_DEP_1)
	v_mul_lo_u32 v6, v6, s2
	s_cbranch_scc1 .LBB157_107
; %bb.106:
	s_clause 0x1
	s_load_b128 s[4:7], s[0:1], 0x10
	s_load_b32 s2, s[0:1], 0xc8
	s_waitcnt lgkmcnt(0)
	v_mul_hi_u32 v9, s5, v10
	s_delay_alu instid0(VALU_DEP_1) | instskip(NEXT) | instid1(VALU_DEP_1)
	v_add_nc_u32_e32 v9, v10, v9
	v_lshrrev_b32_e32 v9, s6, v9
	s_delay_alu instid0(VALU_DEP_1) | instskip(NEXT) | instid1(VALU_DEP_1)
	v_mul_lo_u32 v9, v9, s4
	v_sub_nc_u32_e32 v11, v10, v9
	s_delay_alu instid0(VALU_DEP_1) | instskip(NEXT) | instid1(VALU_DEP_1)
	v_mad_u64_u32 v[9:10], null, v11, s2, v[6:7]
	v_mov_b32_e32 v6, v9
.LBB157_107:
	v_cmp_ne_u32_e32 vcc_lo, 1, v7
	s_cbranch_vccnz .LBB157_113
; %bb.108:
	v_mov_b32_e32 v7, 0
	s_cmp_eq_u32 s18, 0
	s_mov_b32 s6, 0
	s_cbranch_scc1 .LBB157_117
; %bb.109:
	s_min_u32 s7, s19, 15
	v_mov_b32_e32 v7, 0
	s_add_i32 s7, s7, 1
	s_cmp_eq_u32 s19, 2
	s_mov_b32 s8, 0
	s_cbranch_scc1 .LBB157_114
; %bb.110:
	v_mov_b32_e32 v7, 0
	v_mov_b32_e32 v9, v8
	s_add_u32 s2, s0, 0xc4
	s_addc_u32 s3, s1, 0
	s_and_b32 s8, s7, 28
	s_mov_b32 s9, 0
	s_mov_b64 s[4:5], s[0:1]
.LBB157_111:                            ; =>This Inner Loop Header: Depth=1
	s_clause 0x1
	s_load_b256 s[20:27], s[4:5], 0x4
	s_load_b128 s[12:15], s[4:5], 0x24
	s_load_b128 s[28:31], s[2:3], 0x0
	s_add_u32 s4, s4, 48
	s_addc_u32 s5, s5, 0
	s_add_i32 s9, s9, 4
	s_add_u32 s2, s2, 16
	s_addc_u32 s3, s3, 0
	s_cmp_lg_u32 s8, s9
	s_waitcnt lgkmcnt(0)
	v_mul_hi_u32 v10, s21, v9
	s_delay_alu instid0(VALU_DEP_1) | instskip(NEXT) | instid1(VALU_DEP_1)
	v_add_nc_u32_e32 v10, v9, v10
	v_lshrrev_b32_e32 v10, s22, v10
	s_delay_alu instid0(VALU_DEP_1) | instskip(SKIP_1) | instid1(VALU_DEP_2)
	v_mul_hi_u32 v11, s24, v10
	v_mul_lo_u32 v14, v10, s20
	v_add_nc_u32_e32 v11, v10, v11
	s_delay_alu instid0(VALU_DEP_2) | instskip(NEXT) | instid1(VALU_DEP_2)
	v_sub_nc_u32_e32 v14, v9, v14
	v_lshrrev_b32_e32 v11, s25, v11
	s_delay_alu instid0(VALU_DEP_2) | instskip(NEXT) | instid1(VALU_DEP_2)
	v_mul_lo_u32 v14, v14, s28
	v_mul_hi_u32 v12, s27, v11
	v_mul_lo_u32 v15, v11, s23
	s_delay_alu instid0(VALU_DEP_2) | instskip(NEXT) | instid1(VALU_DEP_2)
	v_add_nc_u32_e32 v12, v11, v12
	v_sub_nc_u32_e32 v10, v10, v15
	s_delay_alu instid0(VALU_DEP_2) | instskip(NEXT) | instid1(VALU_DEP_2)
	v_lshrrev_b32_e32 v12, s12, v12
	v_mul_lo_u32 v10, v10, s29
	s_delay_alu instid0(VALU_DEP_2) | instskip(NEXT) | instid1(VALU_DEP_2)
	v_mul_hi_u32 v13, s14, v12
	v_add3_u32 v7, v14, v7, v10
	s_delay_alu instid0(VALU_DEP_2) | instskip(NEXT) | instid1(VALU_DEP_1)
	v_add_nc_u32_e32 v13, v12, v13
	v_lshrrev_b32_e32 v9, s15, v13
	v_mul_lo_u32 v13, v12, s26
	s_delay_alu instid0(VALU_DEP_2) | instskip(NEXT) | instid1(VALU_DEP_2)
	v_mul_lo_u32 v16, v9, s13
	v_sub_nc_u32_e32 v11, v11, v13
	s_delay_alu instid0(VALU_DEP_2) | instskip(NEXT) | instid1(VALU_DEP_2)
	v_sub_nc_u32_e32 v12, v12, v16
	v_mul_lo_u32 v11, v11, s30
	s_delay_alu instid0(VALU_DEP_2) | instskip(NEXT) | instid1(VALU_DEP_1)
	v_mul_lo_u32 v12, v12, s31
	v_add3_u32 v7, v11, v7, v12
	s_cbranch_scc1 .LBB157_111
; %bb.112:
	s_and_b32 s7, s7, 3
	s_delay_alu instid0(SALU_CYCLE_1)
	s_cmp_eq_u32 s7, 0
	s_cbranch_scc0 .LBB157_115
	s_branch .LBB157_117
.LBB157_113:
	s_mov_b32 s6, -1
                                        ; implicit-def: $vgpr7
	s_branch .LBB157_117
.LBB157_114:
	v_mov_b32_e32 v9, v8
	s_and_b32 s7, s7, 3
	s_delay_alu instid0(SALU_CYCLE_1)
	s_cmp_eq_u32 s7, 0
	s_cbranch_scc1 .LBB157_117
.LBB157_115:
	s_lshl_b32 s2, s8, 2
	s_mul_i32 s4, s8, 12
	s_add_u32 s2, s2, s0
	s_addc_u32 s3, 0, s1
	s_add_u32 s2, s2, 0xc4
	s_addc_u32 s3, s3, 0
	;; [unrolled: 2-line block ×3, first 2 shown]
	.p2align	6
.LBB157_116:                            ; =>This Inner Loop Header: Depth=1
	s_clause 0x1
	s_load_b64 s[8:9], s[4:5], 0x4
	s_load_b32 s10, s[4:5], 0xc
	s_add_u32 s4, s4, 12
	s_addc_u32 s5, s5, 0
	s_waitcnt lgkmcnt(0)
	v_mul_hi_u32 v10, s9, v9
	s_load_b32 s9, s[2:3], 0x0
	s_add_u32 s2, s2, 4
	s_addc_u32 s3, s3, 0
	s_add_i32 s7, s7, -1
	s_delay_alu instid0(SALU_CYCLE_1) | instskip(NEXT) | instid1(VALU_DEP_1)
	s_cmp_lg_u32 s7, 0
	v_add_nc_u32_e32 v10, v9, v10
	s_delay_alu instid0(VALU_DEP_1) | instskip(NEXT) | instid1(VALU_DEP_1)
	v_lshrrev_b32_e32 v12, s10, v10
	v_mul_lo_u32 v10, v12, s8
	s_delay_alu instid0(VALU_DEP_1) | instskip(SKIP_1) | instid1(VALU_DEP_1)
	v_sub_nc_u32_e32 v9, v9, v10
	s_waitcnt lgkmcnt(0)
	v_mad_u64_u32 v[10:11], null, v9, s9, v[7:8]
	v_mov_b32_e32 v9, v12
	s_delay_alu instid0(VALU_DEP_2)
	v_mov_b32_e32 v7, v10
	s_cbranch_scc1 .LBB157_116
.LBB157_117:
	s_and_not1_b32 vcc_lo, exec_lo, s6
	s_cbranch_vccnz .LBB157_120
; %bb.118:
	s_clause 0x1
	s_load_b128 s[4:7], s[0:1], 0x4
	s_load_b32 s2, s[0:1], 0xc4
	s_cmp_lt_u32 s18, 2
	s_waitcnt lgkmcnt(0)
	v_mul_hi_u32 v7, s5, v8
	s_delay_alu instid0(VALU_DEP_1) | instskip(NEXT) | instid1(VALU_DEP_1)
	v_add_nc_u32_e32 v7, v8, v7
	v_lshrrev_b32_e32 v9, s6, v7
	s_delay_alu instid0(VALU_DEP_1) | instskip(NEXT) | instid1(VALU_DEP_1)
	v_mul_lo_u32 v7, v9, s4
	v_sub_nc_u32_e32 v7, v8, v7
	s_delay_alu instid0(VALU_DEP_1)
	v_mul_lo_u32 v7, v7, s2
	s_cbranch_scc1 .LBB157_120
; %bb.119:
	s_clause 0x1
	s_load_b128 s[4:7], s[0:1], 0x10
	s_load_b32 s2, s[0:1], 0xc8
	s_waitcnt lgkmcnt(0)
	v_mul_hi_u32 v8, s5, v9
	s_delay_alu instid0(VALU_DEP_1) | instskip(NEXT) | instid1(VALU_DEP_1)
	v_add_nc_u32_e32 v8, v9, v8
	v_lshrrev_b32_e32 v8, s6, v8
	s_delay_alu instid0(VALU_DEP_1) | instskip(NEXT) | instid1(VALU_DEP_1)
	v_mul_lo_u32 v8, v8, s4
	v_sub_nc_u32_e32 v10, v9, v8
	s_delay_alu instid0(VALU_DEP_1) | instskip(NEXT) | instid1(VALU_DEP_1)
	v_mad_u64_u32 v[8:9], null, v10, s2, v[7:8]
	v_mov_b32_e32 v7, v8
.LBB157_120:
	s_clause 0x1
	s_load_b32 s2, s[0:1], 0x110
	s_load_b64 s[0:1], s[0:1], 0x108
	s_waitcnt lgkmcnt(0)
	v_mov_b32_e32 v8, s2
	s_clause 0x7
	global_store_b16 v0, v8, s[0:1]
	global_store_b16 v1, v8, s[0:1]
	;; [unrolled: 1-line block ×8, first 2 shown]
	s_nop 0
	s_sendmsg sendmsg(MSG_DEALLOC_VGPRS)
	s_endpgm
.LBB157_121:
	v_mov_b32_e32 v1, v6
.LBB157_122:
	s_and_b32 s29, s29, 3
	s_delay_alu instid0(SALU_CYCLE_1)
	s_cmp_eq_u32 s29, 0
	s_cbranch_scc1 .LBB157_125
; %bb.123:
	s_lshl_b32 s14, s28, 2
	s_mul_i32 s16, s28, 12
	s_add_u32 s14, s14, s0
	s_addc_u32 s15, s1, 0
	s_add_u32 s14, s14, 0xc4
	s_addc_u32 s15, s15, 0
	;; [unrolled: 2-line block ×3, first 2 shown]
	.p2align	6
.LBB157_124:                            ; =>This Inner Loop Header: Depth=1
	s_clause 0x1
	s_load_b64 s[30:31], s[16:17], 0x4
	s_load_b32 s28, s[16:17], 0xc
	s_add_u32 s16, s16, 12
	s_addc_u32 s17, s17, 0
	s_waitcnt lgkmcnt(0)
	v_mul_hi_u32 v2, s31, v1
	s_load_b32 s31, s[14:15], 0x0
	s_add_u32 s14, s14, 4
	s_addc_u32 s15, s15, 0
	s_add_i32 s29, s29, -1
	s_delay_alu instid0(SALU_CYCLE_1) | instskip(NEXT) | instid1(VALU_DEP_1)
	s_cmp_lg_u32 s29, 0
	v_add_nc_u32_e32 v2, v1, v2
	s_delay_alu instid0(VALU_DEP_1) | instskip(NEXT) | instid1(VALU_DEP_1)
	v_lshrrev_b32_e32 v4, s28, v2
	v_mul_lo_u32 v2, v4, s30
	s_delay_alu instid0(VALU_DEP_1) | instskip(SKIP_1) | instid1(VALU_DEP_1)
	v_sub_nc_u32_e32 v1, v1, v2
	s_waitcnt lgkmcnt(0)
	v_mad_u64_u32 v[2:3], null, v1, s31, v[0:1]
	s_delay_alu instid0(VALU_DEP_1)
	v_dual_mov_b32 v1, v4 :: v_dual_mov_b32 v0, v2
	s_cbranch_scc1 .LBB157_124
.LBB157_125:
	s_cbranch_execnz .LBB157_128
.LBB157_126:
	s_waitcnt lgkmcnt(0)
	v_mul_hi_u32 v0, s5, v6
	s_and_not1_b32 vcc_lo, exec_lo, s23
	s_delay_alu instid0(VALU_DEP_1) | instskip(NEXT) | instid1(VALU_DEP_1)
	v_add_nc_u32_e32 v0, v6, v0
	v_lshrrev_b32_e32 v1, s6, v0
	s_delay_alu instid0(VALU_DEP_1) | instskip(NEXT) | instid1(VALU_DEP_1)
	v_mul_lo_u32 v0, v1, s4
	v_sub_nc_u32_e32 v0, v6, v0
	s_delay_alu instid0(VALU_DEP_1)
	v_mul_lo_u32 v0, v0, s8
	s_cbranch_vccnz .LBB157_128
; %bb.127:
	v_mul_hi_u32 v2, s10, v1
	s_delay_alu instid0(VALU_DEP_1) | instskip(NEXT) | instid1(VALU_DEP_1)
	v_add_nc_u32_e32 v2, v1, v2
	v_lshrrev_b32_e32 v2, s11, v2
	s_delay_alu instid0(VALU_DEP_1) | instskip(NEXT) | instid1(VALU_DEP_1)
	v_mul_lo_u32 v2, v2, s7
	v_sub_nc_u32_e32 v3, v1, v2
	s_delay_alu instid0(VALU_DEP_1) | instskip(NEXT) | instid1(VALU_DEP_1)
	v_mad_u64_u32 v[1:2], null, v3, s9, v[0:1]
	v_mov_b32_e32 v0, v1
.LBB157_128:
	s_waitcnt lgkmcnt(0)
	v_dual_mov_b32 v1, s22 :: v_dual_add_nc_u32 v6, 0x80, v6
	global_store_b16 v0, v1, s[2:3]
	s_or_b32 exec_lo, exec_lo, s27
	s_delay_alu instid0(SALU_CYCLE_1)
	s_mov_b32 s27, exec_lo
	v_cmpx_gt_i32_e64 s24, v6
	s_cbranch_execnz .LBB157_15
.LBB157_129:
	s_or_b32 exec_lo, exec_lo, s27
	s_delay_alu instid0(SALU_CYCLE_1)
	s_mov_b32 s27, exec_lo
	v_cmpx_gt_i32_e64 s24, v6
	s_cbranch_execz .LBB157_144
.LBB157_130:
	s_and_not1_b32 vcc_lo, exec_lo, s20
	s_cbranch_vccnz .LBB157_135
; %bb.131:
	v_mov_b32_e32 v0, 0
	s_and_not1_b32 vcc_lo, exec_lo, s26
	s_cbranch_vccnz .LBB157_155
; %bb.132:
	s_add_i32 s29, s25, 1
	s_cmp_eq_u32 s19, 2
	s_mov_b32 s28, 0
	s_cbranch_scc1 .LBB157_151
; %bb.133:
	v_dual_mov_b32 v0, 0 :: v_dual_mov_b32 v1, v6
	s_and_b32 s28, s29, 28
	s_mov_b32 s30, 0
	s_mov_b64 s[14:15], s[0:1]
	s_mov_b64 s[16:17], s[12:13]
.LBB157_134:                            ; =>This Inner Loop Header: Depth=1
	s_clause 0x1
	s_load_b256 s[36:43], s[14:15], 0x4
	s_load_b128 s[44:47], s[14:15], 0x24
	s_load_b128 s[48:51], s[16:17], 0x0
	s_add_u32 s14, s14, 48
	s_addc_u32 s15, s15, 0
	s_add_i32 s30, s30, 4
	s_add_u32 s16, s16, 16
	s_addc_u32 s17, s17, 0
	s_cmp_eq_u32 s28, s30
	s_waitcnt lgkmcnt(0)
	v_mul_hi_u32 v2, s37, v1
	s_delay_alu instid0(VALU_DEP_1) | instskip(NEXT) | instid1(VALU_DEP_1)
	v_add_nc_u32_e32 v2, v1, v2
	v_lshrrev_b32_e32 v2, s38, v2
	s_delay_alu instid0(VALU_DEP_1) | instskip(SKIP_1) | instid1(VALU_DEP_2)
	v_mul_hi_u32 v3, s40, v2
	v_mul_lo_u32 v7, v2, s36
	v_add_nc_u32_e32 v3, v2, v3
	s_delay_alu instid0(VALU_DEP_2) | instskip(NEXT) | instid1(VALU_DEP_2)
	v_sub_nc_u32_e32 v7, v1, v7
	v_lshrrev_b32_e32 v3, s41, v3
	s_delay_alu instid0(VALU_DEP_2) | instskip(NEXT) | instid1(VALU_DEP_2)
	v_mul_lo_u32 v7, v7, s48
	v_mul_hi_u32 v4, s43, v3
	v_mul_lo_u32 v8, v3, s39
	s_delay_alu instid0(VALU_DEP_2) | instskip(NEXT) | instid1(VALU_DEP_2)
	v_add_nc_u32_e32 v4, v3, v4
	v_sub_nc_u32_e32 v2, v2, v8
	s_delay_alu instid0(VALU_DEP_2) | instskip(NEXT) | instid1(VALU_DEP_2)
	v_lshrrev_b32_e32 v4, s44, v4
	v_mul_lo_u32 v2, v2, s49
	s_delay_alu instid0(VALU_DEP_2) | instskip(NEXT) | instid1(VALU_DEP_2)
	v_mul_hi_u32 v5, s46, v4
	v_add3_u32 v0, v7, v0, v2
	s_delay_alu instid0(VALU_DEP_2) | instskip(NEXT) | instid1(VALU_DEP_1)
	v_add_nc_u32_e32 v5, v4, v5
	v_lshrrev_b32_e32 v1, s47, v5
	v_mul_lo_u32 v5, v4, s42
	s_delay_alu instid0(VALU_DEP_2) | instskip(NEXT) | instid1(VALU_DEP_2)
	v_mul_lo_u32 v9, v1, s45
	v_sub_nc_u32_e32 v3, v3, v5
	s_delay_alu instid0(VALU_DEP_2) | instskip(NEXT) | instid1(VALU_DEP_2)
	v_sub_nc_u32_e32 v4, v4, v9
	v_mul_lo_u32 v3, v3, s50
	s_delay_alu instid0(VALU_DEP_2) | instskip(NEXT) | instid1(VALU_DEP_1)
	v_mul_lo_u32 v4, v4, s51
	v_add3_u32 v0, v3, v0, v4
	s_cbranch_scc0 .LBB157_134
	s_branch .LBB157_152
.LBB157_135:
                                        ; implicit-def: $vgpr0
	s_branch .LBB157_156
.LBB157_136:
	v_mov_b32_e32 v1, v6
.LBB157_137:
	s_and_b32 s29, s29, 3
	s_delay_alu instid0(SALU_CYCLE_1)
	s_cmp_eq_u32 s29, 0
	s_cbranch_scc1 .LBB157_140
; %bb.138:
	s_lshl_b32 s14, s28, 2
	s_mul_i32 s16, s28, 12
	s_add_u32 s14, s14, s0
	s_addc_u32 s15, s1, 0
	s_add_u32 s14, s14, 0xc4
	s_addc_u32 s15, s15, 0
	;; [unrolled: 2-line block ×3, first 2 shown]
	.p2align	6
.LBB157_139:                            ; =>This Inner Loop Header: Depth=1
	s_clause 0x1
	s_load_b64 s[30:31], s[16:17], 0x4
	s_load_b32 s28, s[16:17], 0xc
	s_add_u32 s16, s16, 12
	s_addc_u32 s17, s17, 0
	s_waitcnt lgkmcnt(0)
	v_mul_hi_u32 v2, s31, v1
	s_load_b32 s31, s[14:15], 0x0
	s_add_u32 s14, s14, 4
	s_addc_u32 s15, s15, 0
	s_add_i32 s29, s29, -1
	s_delay_alu instid0(SALU_CYCLE_1) | instskip(NEXT) | instid1(VALU_DEP_1)
	s_cmp_lg_u32 s29, 0
	v_add_nc_u32_e32 v2, v1, v2
	s_delay_alu instid0(VALU_DEP_1) | instskip(NEXT) | instid1(VALU_DEP_1)
	v_lshrrev_b32_e32 v4, s28, v2
	v_mul_lo_u32 v2, v4, s30
	s_delay_alu instid0(VALU_DEP_1) | instskip(SKIP_1) | instid1(VALU_DEP_1)
	v_sub_nc_u32_e32 v1, v1, v2
	s_waitcnt lgkmcnt(0)
	v_mad_u64_u32 v[2:3], null, v1, s31, v[0:1]
	s_delay_alu instid0(VALU_DEP_1)
	v_dual_mov_b32 v1, v4 :: v_dual_mov_b32 v0, v2
	s_cbranch_scc1 .LBB157_139
.LBB157_140:
	s_cbranch_execnz .LBB157_143
.LBB157_141:
	s_waitcnt lgkmcnt(0)
	v_mul_hi_u32 v0, s5, v6
	s_and_not1_b32 vcc_lo, exec_lo, s23
	s_delay_alu instid0(VALU_DEP_1) | instskip(NEXT) | instid1(VALU_DEP_1)
	v_add_nc_u32_e32 v0, v6, v0
	v_lshrrev_b32_e32 v1, s6, v0
	s_delay_alu instid0(VALU_DEP_1) | instskip(NEXT) | instid1(VALU_DEP_1)
	v_mul_lo_u32 v0, v1, s4
	v_sub_nc_u32_e32 v0, v6, v0
	s_delay_alu instid0(VALU_DEP_1)
	v_mul_lo_u32 v0, v0, s8
	s_cbranch_vccnz .LBB157_143
; %bb.142:
	v_mul_hi_u32 v2, s10, v1
	s_delay_alu instid0(VALU_DEP_1) | instskip(NEXT) | instid1(VALU_DEP_1)
	v_add_nc_u32_e32 v2, v1, v2
	v_lshrrev_b32_e32 v2, s11, v2
	s_delay_alu instid0(VALU_DEP_1) | instskip(NEXT) | instid1(VALU_DEP_1)
	v_mul_lo_u32 v2, v2, s7
	v_sub_nc_u32_e32 v3, v1, v2
	s_delay_alu instid0(VALU_DEP_1) | instskip(NEXT) | instid1(VALU_DEP_1)
	v_mad_u64_u32 v[1:2], null, v3, s9, v[0:1]
	v_mov_b32_e32 v0, v1
.LBB157_143:
	s_waitcnt lgkmcnt(0)
	v_dual_mov_b32 v1, s22 :: v_dual_add_nc_u32 v6, 0x80, v6
	global_store_b16 v0, v1, s[2:3]
	s_or_b32 exec_lo, exec_lo, s27
	s_delay_alu instid0(SALU_CYCLE_1)
	s_mov_b32 s27, exec_lo
	v_cmpx_gt_i32_e64 s24, v6
	s_cbranch_execnz .LBB157_130
.LBB157_144:
	s_or_b32 exec_lo, exec_lo, s27
	s_delay_alu instid0(SALU_CYCLE_1)
	s_mov_b32 s27, exec_lo
	v_cmpx_gt_i32_e64 s24, v6
	s_cbranch_execz .LBB157_159
.LBB157_145:
	s_and_not1_b32 vcc_lo, exec_lo, s20
	s_cbranch_vccnz .LBB157_150
; %bb.146:
	v_mov_b32_e32 v0, 0
	s_and_not1_b32 vcc_lo, exec_lo, s26
	s_cbranch_vccnz .LBB157_170
; %bb.147:
	s_add_i32 s29, s25, 1
	s_cmp_eq_u32 s19, 2
	s_mov_b32 s28, 0
	s_cbranch_scc1 .LBB157_166
; %bb.148:
	v_dual_mov_b32 v0, 0 :: v_dual_mov_b32 v1, v6
	s_and_b32 s28, s29, 28
	s_mov_b32 s30, 0
	s_mov_b64 s[14:15], s[0:1]
	s_mov_b64 s[16:17], s[12:13]
.LBB157_149:                            ; =>This Inner Loop Header: Depth=1
	s_clause 0x1
	s_load_b256 s[36:43], s[14:15], 0x4
	s_load_b128 s[44:47], s[14:15], 0x24
	s_load_b128 s[48:51], s[16:17], 0x0
	s_add_u32 s14, s14, 48
	s_addc_u32 s15, s15, 0
	s_add_i32 s30, s30, 4
	s_add_u32 s16, s16, 16
	s_addc_u32 s17, s17, 0
	s_cmp_eq_u32 s28, s30
	s_waitcnt lgkmcnt(0)
	v_mul_hi_u32 v2, s37, v1
	s_delay_alu instid0(VALU_DEP_1) | instskip(NEXT) | instid1(VALU_DEP_1)
	v_add_nc_u32_e32 v2, v1, v2
	v_lshrrev_b32_e32 v2, s38, v2
	s_delay_alu instid0(VALU_DEP_1) | instskip(SKIP_1) | instid1(VALU_DEP_2)
	v_mul_hi_u32 v3, s40, v2
	v_mul_lo_u32 v7, v2, s36
	v_add_nc_u32_e32 v3, v2, v3
	s_delay_alu instid0(VALU_DEP_2) | instskip(NEXT) | instid1(VALU_DEP_2)
	v_sub_nc_u32_e32 v7, v1, v7
	v_lshrrev_b32_e32 v3, s41, v3
	s_delay_alu instid0(VALU_DEP_2) | instskip(NEXT) | instid1(VALU_DEP_2)
	v_mul_lo_u32 v7, v7, s48
	v_mul_hi_u32 v4, s43, v3
	v_mul_lo_u32 v8, v3, s39
	s_delay_alu instid0(VALU_DEP_2) | instskip(NEXT) | instid1(VALU_DEP_2)
	v_add_nc_u32_e32 v4, v3, v4
	v_sub_nc_u32_e32 v2, v2, v8
	s_delay_alu instid0(VALU_DEP_2) | instskip(NEXT) | instid1(VALU_DEP_2)
	v_lshrrev_b32_e32 v4, s44, v4
	v_mul_lo_u32 v2, v2, s49
	s_delay_alu instid0(VALU_DEP_2) | instskip(NEXT) | instid1(VALU_DEP_2)
	v_mul_hi_u32 v5, s46, v4
	v_add3_u32 v0, v7, v0, v2
	s_delay_alu instid0(VALU_DEP_2) | instskip(NEXT) | instid1(VALU_DEP_1)
	v_add_nc_u32_e32 v5, v4, v5
	v_lshrrev_b32_e32 v1, s47, v5
	v_mul_lo_u32 v5, v4, s42
	s_delay_alu instid0(VALU_DEP_2) | instskip(NEXT) | instid1(VALU_DEP_2)
	v_mul_lo_u32 v9, v1, s45
	v_sub_nc_u32_e32 v3, v3, v5
	s_delay_alu instid0(VALU_DEP_2) | instskip(NEXT) | instid1(VALU_DEP_2)
	v_sub_nc_u32_e32 v4, v4, v9
	v_mul_lo_u32 v3, v3, s50
	s_delay_alu instid0(VALU_DEP_2) | instskip(NEXT) | instid1(VALU_DEP_1)
	v_mul_lo_u32 v4, v4, s51
	v_add3_u32 v0, v3, v0, v4
	s_cbranch_scc0 .LBB157_149
	s_branch .LBB157_167
.LBB157_150:
                                        ; implicit-def: $vgpr0
	s_branch .LBB157_171
.LBB157_151:
	v_mov_b32_e32 v1, v6
.LBB157_152:
	s_and_b32 s29, s29, 3
	s_delay_alu instid0(SALU_CYCLE_1)
	s_cmp_eq_u32 s29, 0
	s_cbranch_scc1 .LBB157_155
; %bb.153:
	s_lshl_b32 s14, s28, 2
	s_mul_i32 s16, s28, 12
	s_add_u32 s14, s14, s0
	s_addc_u32 s15, s1, 0
	s_add_u32 s14, s14, 0xc4
	s_addc_u32 s15, s15, 0
	;; [unrolled: 2-line block ×3, first 2 shown]
	.p2align	6
.LBB157_154:                            ; =>This Inner Loop Header: Depth=1
	s_clause 0x1
	s_load_b64 s[30:31], s[16:17], 0x4
	s_load_b32 s28, s[16:17], 0xc
	s_add_u32 s16, s16, 12
	s_addc_u32 s17, s17, 0
	s_waitcnt lgkmcnt(0)
	v_mul_hi_u32 v2, s31, v1
	s_load_b32 s31, s[14:15], 0x0
	s_add_u32 s14, s14, 4
	s_addc_u32 s15, s15, 0
	s_add_i32 s29, s29, -1
	s_delay_alu instid0(SALU_CYCLE_1) | instskip(NEXT) | instid1(VALU_DEP_1)
	s_cmp_lg_u32 s29, 0
	v_add_nc_u32_e32 v2, v1, v2
	s_delay_alu instid0(VALU_DEP_1) | instskip(NEXT) | instid1(VALU_DEP_1)
	v_lshrrev_b32_e32 v4, s28, v2
	v_mul_lo_u32 v2, v4, s30
	s_delay_alu instid0(VALU_DEP_1) | instskip(SKIP_1) | instid1(VALU_DEP_1)
	v_sub_nc_u32_e32 v1, v1, v2
	s_waitcnt lgkmcnt(0)
	v_mad_u64_u32 v[2:3], null, v1, s31, v[0:1]
	s_delay_alu instid0(VALU_DEP_1)
	v_dual_mov_b32 v1, v4 :: v_dual_mov_b32 v0, v2
	s_cbranch_scc1 .LBB157_154
.LBB157_155:
	s_cbranch_execnz .LBB157_158
.LBB157_156:
	s_waitcnt lgkmcnt(0)
	v_mul_hi_u32 v0, s5, v6
	s_and_not1_b32 vcc_lo, exec_lo, s23
	s_delay_alu instid0(VALU_DEP_1) | instskip(NEXT) | instid1(VALU_DEP_1)
	v_add_nc_u32_e32 v0, v6, v0
	v_lshrrev_b32_e32 v1, s6, v0
	s_delay_alu instid0(VALU_DEP_1) | instskip(NEXT) | instid1(VALU_DEP_1)
	v_mul_lo_u32 v0, v1, s4
	v_sub_nc_u32_e32 v0, v6, v0
	s_delay_alu instid0(VALU_DEP_1)
	v_mul_lo_u32 v0, v0, s8
	s_cbranch_vccnz .LBB157_158
; %bb.157:
	v_mul_hi_u32 v2, s10, v1
	s_delay_alu instid0(VALU_DEP_1) | instskip(NEXT) | instid1(VALU_DEP_1)
	v_add_nc_u32_e32 v2, v1, v2
	v_lshrrev_b32_e32 v2, s11, v2
	s_delay_alu instid0(VALU_DEP_1) | instskip(NEXT) | instid1(VALU_DEP_1)
	v_mul_lo_u32 v2, v2, s7
	v_sub_nc_u32_e32 v3, v1, v2
	s_delay_alu instid0(VALU_DEP_1) | instskip(NEXT) | instid1(VALU_DEP_1)
	v_mad_u64_u32 v[1:2], null, v3, s9, v[0:1]
	v_mov_b32_e32 v0, v1
.LBB157_158:
	s_waitcnt lgkmcnt(0)
	v_dual_mov_b32 v1, s22 :: v_dual_add_nc_u32 v6, 0x80, v6
	global_store_b16 v0, v1, s[2:3]
	s_or_b32 exec_lo, exec_lo, s27
	s_delay_alu instid0(SALU_CYCLE_1)
	s_mov_b32 s27, exec_lo
	v_cmpx_gt_i32_e64 s24, v6
	s_cbranch_execnz .LBB157_145
.LBB157_159:
	s_or_b32 exec_lo, exec_lo, s27
	s_delay_alu instid0(SALU_CYCLE_1)
	s_mov_b32 s27, exec_lo
	v_cmpx_gt_i32_e64 s24, v6
	s_cbranch_execz .LBB157_174
.LBB157_160:
	s_and_not1_b32 vcc_lo, exec_lo, s20
	s_cbranch_vccnz .LBB157_165
; %bb.161:
	v_mov_b32_e32 v0, 0
	s_and_not1_b32 vcc_lo, exec_lo, s26
	s_cbranch_vccnz .LBB157_185
; %bb.162:
	s_add_i32 s29, s25, 1
	s_cmp_eq_u32 s19, 2
	s_mov_b32 s28, 0
	s_cbranch_scc1 .LBB157_181
; %bb.163:
	v_dual_mov_b32 v0, 0 :: v_dual_mov_b32 v1, v6
	s_and_b32 s28, s29, 28
	s_mov_b32 s30, 0
	s_mov_b64 s[14:15], s[0:1]
	s_mov_b64 s[16:17], s[12:13]
.LBB157_164:                            ; =>This Inner Loop Header: Depth=1
	s_clause 0x1
	s_load_b256 s[36:43], s[14:15], 0x4
	s_load_b128 s[44:47], s[14:15], 0x24
	s_load_b128 s[48:51], s[16:17], 0x0
	s_add_u32 s14, s14, 48
	s_addc_u32 s15, s15, 0
	s_add_i32 s30, s30, 4
	s_add_u32 s16, s16, 16
	s_addc_u32 s17, s17, 0
	s_cmp_eq_u32 s28, s30
	s_waitcnt lgkmcnt(0)
	v_mul_hi_u32 v2, s37, v1
	s_delay_alu instid0(VALU_DEP_1) | instskip(NEXT) | instid1(VALU_DEP_1)
	v_add_nc_u32_e32 v2, v1, v2
	v_lshrrev_b32_e32 v2, s38, v2
	s_delay_alu instid0(VALU_DEP_1) | instskip(SKIP_1) | instid1(VALU_DEP_2)
	v_mul_hi_u32 v3, s40, v2
	v_mul_lo_u32 v7, v2, s36
	v_add_nc_u32_e32 v3, v2, v3
	s_delay_alu instid0(VALU_DEP_2) | instskip(NEXT) | instid1(VALU_DEP_2)
	v_sub_nc_u32_e32 v7, v1, v7
	v_lshrrev_b32_e32 v3, s41, v3
	s_delay_alu instid0(VALU_DEP_2) | instskip(NEXT) | instid1(VALU_DEP_2)
	v_mul_lo_u32 v7, v7, s48
	v_mul_hi_u32 v4, s43, v3
	v_mul_lo_u32 v8, v3, s39
	s_delay_alu instid0(VALU_DEP_2) | instskip(NEXT) | instid1(VALU_DEP_2)
	v_add_nc_u32_e32 v4, v3, v4
	v_sub_nc_u32_e32 v2, v2, v8
	s_delay_alu instid0(VALU_DEP_2) | instskip(NEXT) | instid1(VALU_DEP_2)
	v_lshrrev_b32_e32 v4, s44, v4
	v_mul_lo_u32 v2, v2, s49
	s_delay_alu instid0(VALU_DEP_2) | instskip(NEXT) | instid1(VALU_DEP_2)
	v_mul_hi_u32 v5, s46, v4
	v_add3_u32 v0, v7, v0, v2
	s_delay_alu instid0(VALU_DEP_2) | instskip(NEXT) | instid1(VALU_DEP_1)
	v_add_nc_u32_e32 v5, v4, v5
	v_lshrrev_b32_e32 v1, s47, v5
	v_mul_lo_u32 v5, v4, s42
	s_delay_alu instid0(VALU_DEP_2) | instskip(NEXT) | instid1(VALU_DEP_2)
	v_mul_lo_u32 v9, v1, s45
	v_sub_nc_u32_e32 v3, v3, v5
	s_delay_alu instid0(VALU_DEP_2) | instskip(NEXT) | instid1(VALU_DEP_2)
	v_sub_nc_u32_e32 v4, v4, v9
	v_mul_lo_u32 v3, v3, s50
	s_delay_alu instid0(VALU_DEP_2) | instskip(NEXT) | instid1(VALU_DEP_1)
	v_mul_lo_u32 v4, v4, s51
	v_add3_u32 v0, v3, v0, v4
	s_cbranch_scc0 .LBB157_164
	s_branch .LBB157_182
.LBB157_165:
                                        ; implicit-def: $vgpr0
	s_branch .LBB157_186
.LBB157_166:
	v_mov_b32_e32 v1, v6
.LBB157_167:
	s_and_b32 s29, s29, 3
	s_delay_alu instid0(SALU_CYCLE_1)
	s_cmp_eq_u32 s29, 0
	s_cbranch_scc1 .LBB157_170
; %bb.168:
	s_lshl_b32 s14, s28, 2
	s_mul_i32 s16, s28, 12
	s_add_u32 s14, s14, s0
	s_addc_u32 s15, s1, 0
	s_add_u32 s14, s14, 0xc4
	s_addc_u32 s15, s15, 0
	;; [unrolled: 2-line block ×3, first 2 shown]
	.p2align	6
.LBB157_169:                            ; =>This Inner Loop Header: Depth=1
	s_clause 0x1
	s_load_b64 s[30:31], s[16:17], 0x4
	s_load_b32 s28, s[16:17], 0xc
	s_add_u32 s16, s16, 12
	s_addc_u32 s17, s17, 0
	s_waitcnt lgkmcnt(0)
	v_mul_hi_u32 v2, s31, v1
	s_load_b32 s31, s[14:15], 0x0
	s_add_u32 s14, s14, 4
	s_addc_u32 s15, s15, 0
	s_add_i32 s29, s29, -1
	s_delay_alu instid0(SALU_CYCLE_1) | instskip(NEXT) | instid1(VALU_DEP_1)
	s_cmp_lg_u32 s29, 0
	v_add_nc_u32_e32 v2, v1, v2
	s_delay_alu instid0(VALU_DEP_1) | instskip(NEXT) | instid1(VALU_DEP_1)
	v_lshrrev_b32_e32 v4, s28, v2
	v_mul_lo_u32 v2, v4, s30
	s_delay_alu instid0(VALU_DEP_1) | instskip(SKIP_1) | instid1(VALU_DEP_1)
	v_sub_nc_u32_e32 v1, v1, v2
	s_waitcnt lgkmcnt(0)
	v_mad_u64_u32 v[2:3], null, v1, s31, v[0:1]
	s_delay_alu instid0(VALU_DEP_1)
	v_dual_mov_b32 v1, v4 :: v_dual_mov_b32 v0, v2
	s_cbranch_scc1 .LBB157_169
.LBB157_170:
	s_cbranch_execnz .LBB157_173
.LBB157_171:
	s_waitcnt lgkmcnt(0)
	v_mul_hi_u32 v0, s5, v6
	s_and_not1_b32 vcc_lo, exec_lo, s23
	s_delay_alu instid0(VALU_DEP_1) | instskip(NEXT) | instid1(VALU_DEP_1)
	v_add_nc_u32_e32 v0, v6, v0
	v_lshrrev_b32_e32 v1, s6, v0
	s_delay_alu instid0(VALU_DEP_1) | instskip(NEXT) | instid1(VALU_DEP_1)
	v_mul_lo_u32 v0, v1, s4
	v_sub_nc_u32_e32 v0, v6, v0
	s_delay_alu instid0(VALU_DEP_1)
	v_mul_lo_u32 v0, v0, s8
	s_cbranch_vccnz .LBB157_173
; %bb.172:
	v_mul_hi_u32 v2, s10, v1
	s_delay_alu instid0(VALU_DEP_1) | instskip(NEXT) | instid1(VALU_DEP_1)
	v_add_nc_u32_e32 v2, v1, v2
	v_lshrrev_b32_e32 v2, s11, v2
	s_delay_alu instid0(VALU_DEP_1) | instskip(NEXT) | instid1(VALU_DEP_1)
	v_mul_lo_u32 v2, v2, s7
	v_sub_nc_u32_e32 v3, v1, v2
	s_delay_alu instid0(VALU_DEP_1) | instskip(NEXT) | instid1(VALU_DEP_1)
	v_mad_u64_u32 v[1:2], null, v3, s9, v[0:1]
	v_mov_b32_e32 v0, v1
.LBB157_173:
	s_waitcnt lgkmcnt(0)
	v_dual_mov_b32 v1, s22 :: v_dual_add_nc_u32 v6, 0x80, v6
	global_store_b16 v0, v1, s[2:3]
	s_or_b32 exec_lo, exec_lo, s27
	s_delay_alu instid0(SALU_CYCLE_1)
	s_mov_b32 s27, exec_lo
	v_cmpx_gt_i32_e64 s24, v6
	s_cbranch_execnz .LBB157_160
.LBB157_174:
	s_or_b32 exec_lo, exec_lo, s27
	s_delay_alu instid0(SALU_CYCLE_1)
	s_mov_b32 s27, exec_lo
	v_cmpx_gt_i32_e64 s24, v6
	s_cbranch_execz .LBB157_189
.LBB157_175:
	s_and_not1_b32 vcc_lo, exec_lo, s20
	s_cbranch_vccnz .LBB157_180
; %bb.176:
	v_mov_b32_e32 v0, 0
	s_and_not1_b32 vcc_lo, exec_lo, s26
	s_cbranch_vccnz .LBB157_200
; %bb.177:
	s_add_i32 s29, s25, 1
	s_cmp_eq_u32 s19, 2
	s_mov_b32 s28, 0
	s_cbranch_scc1 .LBB157_196
; %bb.178:
	v_dual_mov_b32 v0, 0 :: v_dual_mov_b32 v1, v6
	s_and_b32 s28, s29, 28
	s_mov_b32 s30, 0
	s_mov_b64 s[14:15], s[0:1]
	s_mov_b64 s[16:17], s[12:13]
.LBB157_179:                            ; =>This Inner Loop Header: Depth=1
	s_clause 0x1
	s_load_b256 s[36:43], s[14:15], 0x4
	s_load_b128 s[44:47], s[14:15], 0x24
	s_load_b128 s[48:51], s[16:17], 0x0
	s_add_u32 s14, s14, 48
	s_addc_u32 s15, s15, 0
	s_add_i32 s30, s30, 4
	s_add_u32 s16, s16, 16
	s_addc_u32 s17, s17, 0
	s_cmp_eq_u32 s28, s30
	s_waitcnt lgkmcnt(0)
	v_mul_hi_u32 v2, s37, v1
	s_delay_alu instid0(VALU_DEP_1) | instskip(NEXT) | instid1(VALU_DEP_1)
	v_add_nc_u32_e32 v2, v1, v2
	v_lshrrev_b32_e32 v2, s38, v2
	s_delay_alu instid0(VALU_DEP_1) | instskip(SKIP_1) | instid1(VALU_DEP_2)
	v_mul_hi_u32 v3, s40, v2
	v_mul_lo_u32 v7, v2, s36
	v_add_nc_u32_e32 v3, v2, v3
	s_delay_alu instid0(VALU_DEP_2) | instskip(NEXT) | instid1(VALU_DEP_2)
	v_sub_nc_u32_e32 v7, v1, v7
	v_lshrrev_b32_e32 v3, s41, v3
	s_delay_alu instid0(VALU_DEP_2) | instskip(NEXT) | instid1(VALU_DEP_2)
	v_mul_lo_u32 v7, v7, s48
	v_mul_hi_u32 v4, s43, v3
	v_mul_lo_u32 v8, v3, s39
	s_delay_alu instid0(VALU_DEP_2) | instskip(NEXT) | instid1(VALU_DEP_2)
	v_add_nc_u32_e32 v4, v3, v4
	v_sub_nc_u32_e32 v2, v2, v8
	s_delay_alu instid0(VALU_DEP_2) | instskip(NEXT) | instid1(VALU_DEP_2)
	v_lshrrev_b32_e32 v4, s44, v4
	v_mul_lo_u32 v2, v2, s49
	s_delay_alu instid0(VALU_DEP_2) | instskip(NEXT) | instid1(VALU_DEP_2)
	v_mul_hi_u32 v5, s46, v4
	v_add3_u32 v0, v7, v0, v2
	s_delay_alu instid0(VALU_DEP_2) | instskip(NEXT) | instid1(VALU_DEP_1)
	v_add_nc_u32_e32 v5, v4, v5
	v_lshrrev_b32_e32 v1, s47, v5
	v_mul_lo_u32 v5, v4, s42
	s_delay_alu instid0(VALU_DEP_2) | instskip(NEXT) | instid1(VALU_DEP_2)
	v_mul_lo_u32 v9, v1, s45
	v_sub_nc_u32_e32 v3, v3, v5
	s_delay_alu instid0(VALU_DEP_2) | instskip(NEXT) | instid1(VALU_DEP_2)
	v_sub_nc_u32_e32 v4, v4, v9
	v_mul_lo_u32 v3, v3, s50
	s_delay_alu instid0(VALU_DEP_2) | instskip(NEXT) | instid1(VALU_DEP_1)
	v_mul_lo_u32 v4, v4, s51
	v_add3_u32 v0, v3, v0, v4
	s_cbranch_scc0 .LBB157_179
	s_branch .LBB157_197
.LBB157_180:
                                        ; implicit-def: $vgpr0
	s_branch .LBB157_201
.LBB157_181:
	v_mov_b32_e32 v1, v6
.LBB157_182:
	s_and_b32 s29, s29, 3
	s_delay_alu instid0(SALU_CYCLE_1)
	s_cmp_eq_u32 s29, 0
	s_cbranch_scc1 .LBB157_185
; %bb.183:
	s_lshl_b32 s14, s28, 2
	s_mul_i32 s16, s28, 12
	s_add_u32 s14, s14, s0
	s_addc_u32 s15, s1, 0
	s_add_u32 s14, s14, 0xc4
	s_addc_u32 s15, s15, 0
	;; [unrolled: 2-line block ×3, first 2 shown]
	.p2align	6
.LBB157_184:                            ; =>This Inner Loop Header: Depth=1
	s_clause 0x1
	s_load_b64 s[30:31], s[16:17], 0x4
	s_load_b32 s28, s[16:17], 0xc
	s_add_u32 s16, s16, 12
	s_addc_u32 s17, s17, 0
	s_waitcnt lgkmcnt(0)
	v_mul_hi_u32 v2, s31, v1
	s_load_b32 s31, s[14:15], 0x0
	s_add_u32 s14, s14, 4
	s_addc_u32 s15, s15, 0
	s_add_i32 s29, s29, -1
	s_delay_alu instid0(SALU_CYCLE_1) | instskip(NEXT) | instid1(VALU_DEP_1)
	s_cmp_lg_u32 s29, 0
	v_add_nc_u32_e32 v2, v1, v2
	s_delay_alu instid0(VALU_DEP_1) | instskip(NEXT) | instid1(VALU_DEP_1)
	v_lshrrev_b32_e32 v4, s28, v2
	v_mul_lo_u32 v2, v4, s30
	s_delay_alu instid0(VALU_DEP_1) | instskip(SKIP_1) | instid1(VALU_DEP_1)
	v_sub_nc_u32_e32 v1, v1, v2
	s_waitcnt lgkmcnt(0)
	v_mad_u64_u32 v[2:3], null, v1, s31, v[0:1]
	s_delay_alu instid0(VALU_DEP_1)
	v_dual_mov_b32 v1, v4 :: v_dual_mov_b32 v0, v2
	s_cbranch_scc1 .LBB157_184
.LBB157_185:
	s_cbranch_execnz .LBB157_188
.LBB157_186:
	s_waitcnt lgkmcnt(0)
	v_mul_hi_u32 v0, s5, v6
	s_and_not1_b32 vcc_lo, exec_lo, s23
	s_delay_alu instid0(VALU_DEP_1) | instskip(NEXT) | instid1(VALU_DEP_1)
	v_add_nc_u32_e32 v0, v6, v0
	v_lshrrev_b32_e32 v1, s6, v0
	s_delay_alu instid0(VALU_DEP_1) | instskip(NEXT) | instid1(VALU_DEP_1)
	v_mul_lo_u32 v0, v1, s4
	v_sub_nc_u32_e32 v0, v6, v0
	s_delay_alu instid0(VALU_DEP_1)
	v_mul_lo_u32 v0, v0, s8
	s_cbranch_vccnz .LBB157_188
; %bb.187:
	v_mul_hi_u32 v2, s10, v1
	s_delay_alu instid0(VALU_DEP_1) | instskip(NEXT) | instid1(VALU_DEP_1)
	v_add_nc_u32_e32 v2, v1, v2
	v_lshrrev_b32_e32 v2, s11, v2
	s_delay_alu instid0(VALU_DEP_1) | instskip(NEXT) | instid1(VALU_DEP_1)
	v_mul_lo_u32 v2, v2, s7
	v_sub_nc_u32_e32 v3, v1, v2
	s_delay_alu instid0(VALU_DEP_1) | instskip(NEXT) | instid1(VALU_DEP_1)
	v_mad_u64_u32 v[1:2], null, v3, s9, v[0:1]
	v_mov_b32_e32 v0, v1
.LBB157_188:
	s_waitcnt lgkmcnt(0)
	v_dual_mov_b32 v1, s22 :: v_dual_add_nc_u32 v6, 0x80, v6
	global_store_b16 v0, v1, s[2:3]
	s_or_b32 exec_lo, exec_lo, s27
	s_delay_alu instid0(SALU_CYCLE_1)
	s_mov_b32 s27, exec_lo
	v_cmpx_gt_i32_e64 s24, v6
	s_cbranch_execnz .LBB157_175
.LBB157_189:
	s_or_b32 exec_lo, exec_lo, s27
	s_delay_alu instid0(SALU_CYCLE_1)
	s_mov_b32 s27, exec_lo
	v_cmpx_gt_i32_e64 s24, v6
	s_cbranch_execz .LBB157_204
.LBB157_190:
	s_and_not1_b32 vcc_lo, exec_lo, s20
	s_cbranch_vccnz .LBB157_195
; %bb.191:
	v_mov_b32_e32 v0, 0
	s_and_not1_b32 vcc_lo, exec_lo, s26
	s_cbranch_vccnz .LBB157_211
; %bb.192:
	s_add_i32 s29, s25, 1
	s_cmp_eq_u32 s19, 2
	s_mov_b32 s28, 0
	s_cbranch_scc1 .LBB157_207
; %bb.193:
	v_dual_mov_b32 v0, 0 :: v_dual_mov_b32 v1, v6
	s_and_b32 s28, s29, 28
	s_mov_b32 s30, 0
	s_mov_b64 s[14:15], s[0:1]
	s_mov_b64 s[16:17], s[12:13]
.LBB157_194:                            ; =>This Inner Loop Header: Depth=1
	s_clause 0x1
	s_load_b256 s[36:43], s[14:15], 0x4
	s_load_b128 s[44:47], s[14:15], 0x24
	s_load_b128 s[48:51], s[16:17], 0x0
	s_add_u32 s14, s14, 48
	s_addc_u32 s15, s15, 0
	s_add_i32 s30, s30, 4
	s_add_u32 s16, s16, 16
	s_addc_u32 s17, s17, 0
	s_cmp_eq_u32 s28, s30
	s_waitcnt lgkmcnt(0)
	v_mul_hi_u32 v2, s37, v1
	s_delay_alu instid0(VALU_DEP_1) | instskip(NEXT) | instid1(VALU_DEP_1)
	v_add_nc_u32_e32 v2, v1, v2
	v_lshrrev_b32_e32 v2, s38, v2
	s_delay_alu instid0(VALU_DEP_1) | instskip(SKIP_1) | instid1(VALU_DEP_2)
	v_mul_hi_u32 v3, s40, v2
	v_mul_lo_u32 v7, v2, s36
	v_add_nc_u32_e32 v3, v2, v3
	s_delay_alu instid0(VALU_DEP_2) | instskip(NEXT) | instid1(VALU_DEP_2)
	v_sub_nc_u32_e32 v7, v1, v7
	v_lshrrev_b32_e32 v3, s41, v3
	s_delay_alu instid0(VALU_DEP_2) | instskip(NEXT) | instid1(VALU_DEP_2)
	v_mul_lo_u32 v7, v7, s48
	v_mul_hi_u32 v4, s43, v3
	v_mul_lo_u32 v8, v3, s39
	s_delay_alu instid0(VALU_DEP_2) | instskip(NEXT) | instid1(VALU_DEP_2)
	v_add_nc_u32_e32 v4, v3, v4
	v_sub_nc_u32_e32 v2, v2, v8
	s_delay_alu instid0(VALU_DEP_2) | instskip(NEXT) | instid1(VALU_DEP_2)
	v_lshrrev_b32_e32 v4, s44, v4
	v_mul_lo_u32 v2, v2, s49
	s_delay_alu instid0(VALU_DEP_2) | instskip(NEXT) | instid1(VALU_DEP_2)
	v_mul_hi_u32 v5, s46, v4
	v_add3_u32 v0, v7, v0, v2
	s_delay_alu instid0(VALU_DEP_2) | instskip(NEXT) | instid1(VALU_DEP_1)
	v_add_nc_u32_e32 v5, v4, v5
	v_lshrrev_b32_e32 v1, s47, v5
	v_mul_lo_u32 v5, v4, s42
	s_delay_alu instid0(VALU_DEP_2) | instskip(NEXT) | instid1(VALU_DEP_2)
	v_mul_lo_u32 v9, v1, s45
	v_sub_nc_u32_e32 v3, v3, v5
	s_delay_alu instid0(VALU_DEP_2) | instskip(NEXT) | instid1(VALU_DEP_2)
	v_sub_nc_u32_e32 v4, v4, v9
	v_mul_lo_u32 v3, v3, s50
	s_delay_alu instid0(VALU_DEP_2) | instskip(NEXT) | instid1(VALU_DEP_1)
	v_mul_lo_u32 v4, v4, s51
	v_add3_u32 v0, v3, v0, v4
	s_cbranch_scc0 .LBB157_194
	s_branch .LBB157_208
.LBB157_195:
                                        ; implicit-def: $vgpr0
	s_branch .LBB157_212
.LBB157_196:
	v_mov_b32_e32 v1, v6
.LBB157_197:
	s_and_b32 s29, s29, 3
	s_delay_alu instid0(SALU_CYCLE_1)
	s_cmp_eq_u32 s29, 0
	s_cbranch_scc1 .LBB157_200
; %bb.198:
	s_lshl_b32 s14, s28, 2
	s_mul_i32 s16, s28, 12
	s_add_u32 s14, s14, s0
	s_addc_u32 s15, s1, 0
	s_add_u32 s14, s14, 0xc4
	s_addc_u32 s15, s15, 0
	;; [unrolled: 2-line block ×3, first 2 shown]
	.p2align	6
.LBB157_199:                            ; =>This Inner Loop Header: Depth=1
	s_clause 0x1
	s_load_b64 s[30:31], s[16:17], 0x4
	s_load_b32 s28, s[16:17], 0xc
	s_add_u32 s16, s16, 12
	s_addc_u32 s17, s17, 0
	s_waitcnt lgkmcnt(0)
	v_mul_hi_u32 v2, s31, v1
	s_load_b32 s31, s[14:15], 0x0
	s_add_u32 s14, s14, 4
	s_addc_u32 s15, s15, 0
	s_add_i32 s29, s29, -1
	s_delay_alu instid0(SALU_CYCLE_1) | instskip(NEXT) | instid1(VALU_DEP_1)
	s_cmp_lg_u32 s29, 0
	v_add_nc_u32_e32 v2, v1, v2
	s_delay_alu instid0(VALU_DEP_1) | instskip(NEXT) | instid1(VALU_DEP_1)
	v_lshrrev_b32_e32 v4, s28, v2
	v_mul_lo_u32 v2, v4, s30
	s_delay_alu instid0(VALU_DEP_1) | instskip(SKIP_1) | instid1(VALU_DEP_1)
	v_sub_nc_u32_e32 v1, v1, v2
	s_waitcnt lgkmcnt(0)
	v_mad_u64_u32 v[2:3], null, v1, s31, v[0:1]
	s_delay_alu instid0(VALU_DEP_1)
	v_dual_mov_b32 v1, v4 :: v_dual_mov_b32 v0, v2
	s_cbranch_scc1 .LBB157_199
.LBB157_200:
	s_cbranch_execnz .LBB157_203
.LBB157_201:
	s_waitcnt lgkmcnt(0)
	v_mul_hi_u32 v0, s5, v6
	s_and_not1_b32 vcc_lo, exec_lo, s23
	s_delay_alu instid0(VALU_DEP_1) | instskip(NEXT) | instid1(VALU_DEP_1)
	v_add_nc_u32_e32 v0, v6, v0
	v_lshrrev_b32_e32 v1, s6, v0
	s_delay_alu instid0(VALU_DEP_1) | instskip(NEXT) | instid1(VALU_DEP_1)
	v_mul_lo_u32 v0, v1, s4
	v_sub_nc_u32_e32 v0, v6, v0
	s_delay_alu instid0(VALU_DEP_1)
	v_mul_lo_u32 v0, v0, s8
	s_cbranch_vccnz .LBB157_203
; %bb.202:
	v_mul_hi_u32 v2, s10, v1
	s_delay_alu instid0(VALU_DEP_1) | instskip(NEXT) | instid1(VALU_DEP_1)
	v_add_nc_u32_e32 v2, v1, v2
	v_lshrrev_b32_e32 v2, s11, v2
	s_delay_alu instid0(VALU_DEP_1) | instskip(NEXT) | instid1(VALU_DEP_1)
	v_mul_lo_u32 v2, v2, s7
	v_sub_nc_u32_e32 v3, v1, v2
	s_delay_alu instid0(VALU_DEP_1) | instskip(NEXT) | instid1(VALU_DEP_1)
	v_mad_u64_u32 v[1:2], null, v3, s9, v[0:1]
	v_mov_b32_e32 v0, v1
.LBB157_203:
	s_waitcnt lgkmcnt(0)
	v_dual_mov_b32 v1, s22 :: v_dual_add_nc_u32 v6, 0x80, v6
	global_store_b16 v0, v1, s[2:3]
	s_or_b32 exec_lo, exec_lo, s27
	s_delay_alu instid0(SALU_CYCLE_1)
	s_mov_b32 s27, exec_lo
	v_cmpx_gt_i32_e64 s24, v6
	s_cbranch_execnz .LBB157_190
.LBB157_204:
	s_or_b32 exec_lo, exec_lo, s27
	s_delay_alu instid0(SALU_CYCLE_1)
	s_mov_b32 s16, exec_lo
	v_cmpx_gt_i32_e64 s24, v6
	s_cbranch_execnz .LBB157_215
.LBB157_205:
	s_or_b32 exec_lo, exec_lo, s16
                                        ; implicit-def: $vgpr8
                                        ; implicit-def: $vgpr6
	s_waitcnt lgkmcnt(0)
	s_and_not1_saveexec_b32 s2, s21
	s_cbranch_execnz .LBB157_8
.LBB157_206:
	s_nop 0
	s_sendmsg sendmsg(MSG_DEALLOC_VGPRS)
	s_endpgm
.LBB157_207:
	v_mov_b32_e32 v1, v6
.LBB157_208:
	s_and_b32 s29, s29, 3
	s_delay_alu instid0(SALU_CYCLE_1)
	s_cmp_eq_u32 s29, 0
	s_cbranch_scc1 .LBB157_211
; %bb.209:
	s_lshl_b32 s14, s28, 2
	s_mul_i32 s16, s28, 12
	s_add_u32 s14, s14, s0
	s_addc_u32 s15, s1, 0
	s_add_u32 s14, s14, 0xc4
	s_addc_u32 s15, s15, 0
	;; [unrolled: 2-line block ×3, first 2 shown]
	.p2align	6
.LBB157_210:                            ; =>This Inner Loop Header: Depth=1
	s_clause 0x1
	s_load_b64 s[30:31], s[16:17], 0x4
	s_load_b32 s28, s[16:17], 0xc
	s_add_u32 s16, s16, 12
	s_addc_u32 s17, s17, 0
	s_waitcnt lgkmcnt(0)
	v_mul_hi_u32 v2, s31, v1
	s_load_b32 s31, s[14:15], 0x0
	s_add_u32 s14, s14, 4
	s_addc_u32 s15, s15, 0
	s_add_i32 s29, s29, -1
	s_delay_alu instid0(SALU_CYCLE_1) | instskip(NEXT) | instid1(VALU_DEP_1)
	s_cmp_lg_u32 s29, 0
	v_add_nc_u32_e32 v2, v1, v2
	s_delay_alu instid0(VALU_DEP_1) | instskip(NEXT) | instid1(VALU_DEP_1)
	v_lshrrev_b32_e32 v4, s28, v2
	v_mul_lo_u32 v2, v4, s30
	s_delay_alu instid0(VALU_DEP_1) | instskip(SKIP_1) | instid1(VALU_DEP_1)
	v_sub_nc_u32_e32 v1, v1, v2
	s_waitcnt lgkmcnt(0)
	v_mad_u64_u32 v[2:3], null, v1, s31, v[0:1]
	s_delay_alu instid0(VALU_DEP_1)
	v_dual_mov_b32 v1, v4 :: v_dual_mov_b32 v0, v2
	s_cbranch_scc1 .LBB157_210
.LBB157_211:
	s_cbranch_execnz .LBB157_214
.LBB157_212:
	s_waitcnt lgkmcnt(0)
	v_mul_hi_u32 v0, s5, v6
	s_and_not1_b32 vcc_lo, exec_lo, s23
	s_delay_alu instid0(VALU_DEP_1) | instskip(NEXT) | instid1(VALU_DEP_1)
	v_add_nc_u32_e32 v0, v6, v0
	v_lshrrev_b32_e32 v1, s6, v0
	s_delay_alu instid0(VALU_DEP_1) | instskip(NEXT) | instid1(VALU_DEP_1)
	v_mul_lo_u32 v0, v1, s4
	v_sub_nc_u32_e32 v0, v6, v0
	s_delay_alu instid0(VALU_DEP_1)
	v_mul_lo_u32 v0, v0, s8
	s_cbranch_vccnz .LBB157_214
; %bb.213:
	v_mul_hi_u32 v2, s10, v1
	s_delay_alu instid0(VALU_DEP_1) | instskip(NEXT) | instid1(VALU_DEP_1)
	v_add_nc_u32_e32 v2, v1, v2
	v_lshrrev_b32_e32 v2, s11, v2
	s_delay_alu instid0(VALU_DEP_1) | instskip(NEXT) | instid1(VALU_DEP_1)
	v_mul_lo_u32 v2, v2, s7
	v_sub_nc_u32_e32 v3, v1, v2
	s_delay_alu instid0(VALU_DEP_1) | instskip(NEXT) | instid1(VALU_DEP_1)
	v_mad_u64_u32 v[1:2], null, v3, s9, v[0:1]
	v_mov_b32_e32 v0, v1
.LBB157_214:
	s_waitcnt lgkmcnt(0)
	v_dual_mov_b32 v1, s22 :: v_dual_add_nc_u32 v6, 0x80, v6
	global_store_b16 v0, v1, s[2:3]
	s_or_b32 exec_lo, exec_lo, s27
	s_delay_alu instid0(SALU_CYCLE_1)
	s_mov_b32 s16, exec_lo
	v_cmpx_gt_i32_e64 s24, v6
	s_cbranch_execz .LBB157_205
.LBB157_215:
	s_and_not1_b32 vcc_lo, exec_lo, s20
	s_cbranch_vccnz .LBB157_220
; %bb.216:
	v_mov_b32_e32 v0, 0
	s_and_not1_b32 vcc_lo, exec_lo, s26
	s_cbranch_vccnz .LBB157_225
; %bb.217:
	s_add_i32 s25, s25, 1
	s_cmp_eq_u32 s19, 2
	s_mov_b32 s17, 0
	s_cbranch_scc1 .LBB157_221
; %bb.218:
	v_dual_mov_b32 v0, 0 :: v_dual_mov_b32 v1, v6
	s_and_b32 s17, s25, 28
	s_mov_b32 s24, 0
	s_mov_b64 s[14:15], s[0:1]
.LBB157_219:                            ; =>This Inner Loop Header: Depth=1
	s_clause 0x1
	s_load_b256 s[36:43], s[14:15], 0x4
	s_load_b128 s[28:31], s[14:15], 0x24
	s_load_b128 s[44:47], s[12:13], 0x0
	s_add_u32 s14, s14, 48
	s_addc_u32 s15, s15, 0
	s_add_i32 s24, s24, 4
	s_add_u32 s12, s12, 16
	s_addc_u32 s13, s13, 0
	s_cmp_eq_u32 s17, s24
	s_waitcnt lgkmcnt(0)
	v_mul_hi_u32 v2, s37, v1
	s_delay_alu instid0(VALU_DEP_1) | instskip(NEXT) | instid1(VALU_DEP_1)
	v_add_nc_u32_e32 v2, v1, v2
	v_lshrrev_b32_e32 v2, s38, v2
	s_delay_alu instid0(VALU_DEP_1) | instskip(SKIP_1) | instid1(VALU_DEP_2)
	v_mul_hi_u32 v3, s40, v2
	v_mul_lo_u32 v7, v2, s36
	v_add_nc_u32_e32 v3, v2, v3
	s_delay_alu instid0(VALU_DEP_2) | instskip(NEXT) | instid1(VALU_DEP_2)
	v_sub_nc_u32_e32 v7, v1, v7
	v_lshrrev_b32_e32 v3, s41, v3
	s_delay_alu instid0(VALU_DEP_2) | instskip(NEXT) | instid1(VALU_DEP_2)
	v_mul_lo_u32 v7, v7, s44
	v_mul_hi_u32 v4, s43, v3
	v_mul_lo_u32 v8, v3, s39
	s_delay_alu instid0(VALU_DEP_2) | instskip(NEXT) | instid1(VALU_DEP_2)
	v_add_nc_u32_e32 v4, v3, v4
	v_sub_nc_u32_e32 v2, v2, v8
	s_delay_alu instid0(VALU_DEP_2) | instskip(NEXT) | instid1(VALU_DEP_2)
	v_lshrrev_b32_e32 v4, s28, v4
	v_mul_lo_u32 v2, v2, s45
	s_delay_alu instid0(VALU_DEP_2) | instskip(NEXT) | instid1(VALU_DEP_2)
	v_mul_hi_u32 v5, s30, v4
	v_add3_u32 v0, v7, v0, v2
	s_delay_alu instid0(VALU_DEP_2) | instskip(NEXT) | instid1(VALU_DEP_1)
	v_add_nc_u32_e32 v5, v4, v5
	v_lshrrev_b32_e32 v1, s31, v5
	v_mul_lo_u32 v5, v4, s42
	s_delay_alu instid0(VALU_DEP_2) | instskip(NEXT) | instid1(VALU_DEP_2)
	v_mul_lo_u32 v9, v1, s29
	v_sub_nc_u32_e32 v3, v3, v5
	s_delay_alu instid0(VALU_DEP_2) | instskip(NEXT) | instid1(VALU_DEP_2)
	v_sub_nc_u32_e32 v4, v4, v9
	v_mul_lo_u32 v3, v3, s46
	s_delay_alu instid0(VALU_DEP_2) | instskip(NEXT) | instid1(VALU_DEP_1)
	v_mul_lo_u32 v4, v4, s47
	v_add3_u32 v0, v3, v0, v4
	s_cbranch_scc0 .LBB157_219
	s_branch .LBB157_222
.LBB157_220:
                                        ; implicit-def: $vgpr0
	s_branch .LBB157_226
.LBB157_221:
	v_mov_b32_e32 v1, v6
.LBB157_222:
	s_and_b32 s24, s25, 3
	s_delay_alu instid0(SALU_CYCLE_1)
	s_cmp_eq_u32 s24, 0
	s_cbranch_scc1 .LBB157_225
; %bb.223:
	s_lshl_b32 s12, s17, 2
	s_mul_i32 s14, s17, 12
	s_add_u32 s12, s12, s0
	s_addc_u32 s13, s1, 0
	s_add_u32 s12, s12, 0xc4
	s_addc_u32 s13, s13, 0
	;; [unrolled: 2-line block ×3, first 2 shown]
	.p2align	6
.LBB157_224:                            ; =>This Inner Loop Header: Depth=1
	s_clause 0x1
	s_load_b64 s[26:27], s[14:15], 0x4
	s_load_b32 s17, s[14:15], 0xc
	s_load_b32 s25, s[12:13], 0x0
	s_add_u32 s14, s14, 12
	s_addc_u32 s15, s15, 0
	s_add_u32 s12, s12, 4
	s_addc_u32 s13, s13, 0
	s_add_i32 s24, s24, -1
	s_delay_alu instid0(SALU_CYCLE_1) | instskip(SKIP_2) | instid1(VALU_DEP_1)
	s_cmp_lg_u32 s24, 0
	s_waitcnt lgkmcnt(0)
	v_mul_hi_u32 v2, s27, v1
	v_add_nc_u32_e32 v2, v1, v2
	s_delay_alu instid0(VALU_DEP_1) | instskip(NEXT) | instid1(VALU_DEP_1)
	v_lshrrev_b32_e32 v4, s17, v2
	v_mul_lo_u32 v2, v4, s26
	s_delay_alu instid0(VALU_DEP_1) | instskip(NEXT) | instid1(VALU_DEP_1)
	v_sub_nc_u32_e32 v1, v1, v2
	v_mad_u64_u32 v[2:3], null, v1, s25, v[0:1]
	s_delay_alu instid0(VALU_DEP_1)
	v_dual_mov_b32 v1, v4 :: v_dual_mov_b32 v0, v2
	s_cbranch_scc1 .LBB157_224
.LBB157_225:
	s_cbranch_execnz .LBB157_228
.LBB157_226:
	s_waitcnt lgkmcnt(0)
	v_mul_hi_u32 v0, s5, v6
	s_and_not1_b32 vcc_lo, exec_lo, s23
	s_delay_alu instid0(VALU_DEP_1) | instskip(NEXT) | instid1(VALU_DEP_1)
	v_add_nc_u32_e32 v0, v6, v0
	v_lshrrev_b32_e32 v1, s6, v0
	s_delay_alu instid0(VALU_DEP_1) | instskip(NEXT) | instid1(VALU_DEP_1)
	v_mul_lo_u32 v0, v1, s4
	v_sub_nc_u32_e32 v0, v6, v0
	s_delay_alu instid0(VALU_DEP_1)
	v_mul_lo_u32 v0, v0, s8
	s_cbranch_vccnz .LBB157_228
; %bb.227:
	v_mul_hi_u32 v2, s10, v1
	s_delay_alu instid0(VALU_DEP_1) | instskip(NEXT) | instid1(VALU_DEP_1)
	v_add_nc_u32_e32 v2, v1, v2
	v_lshrrev_b32_e32 v2, s11, v2
	s_delay_alu instid0(VALU_DEP_1) | instskip(NEXT) | instid1(VALU_DEP_1)
	v_mul_lo_u32 v2, v2, s7
	v_sub_nc_u32_e32 v3, v1, v2
	s_delay_alu instid0(VALU_DEP_1) | instskip(NEXT) | instid1(VALU_DEP_1)
	v_mad_u64_u32 v[1:2], null, v3, s9, v[0:1]
	v_mov_b32_e32 v0, v1
.LBB157_228:
	s_waitcnt lgkmcnt(0)
	v_mov_b32_e32 v1, s22
	global_store_b16 v0, v1, s[2:3]
	s_or_b32 exec_lo, exec_lo, s16
                                        ; implicit-def: $vgpr8
                                        ; implicit-def: $vgpr6
	s_and_not1_saveexec_b32 s2, s21
	s_cbranch_execz .LBB157_206
	s_branch .LBB157_8
	.section	.rodata,"a",@progbits
	.p2align	6, 0x0
	.amdhsa_kernel _ZN2at6native32elementwise_kernel_manual_unrollILi128ELi8EZNS0_22gpu_kernel_impl_nocastINS0_11FillFunctorItEEEEvRNS_18TensorIteratorBaseERKT_EUlibE_EEviT1_
		.amdhsa_group_segment_fixed_size 0
		.amdhsa_private_segment_fixed_size 0
		.amdhsa_kernarg_size 288
		.amdhsa_user_sgpr_count 15
		.amdhsa_user_sgpr_dispatch_ptr 0
		.amdhsa_user_sgpr_queue_ptr 0
		.amdhsa_user_sgpr_kernarg_segment_ptr 1
		.amdhsa_user_sgpr_dispatch_id 0
		.amdhsa_user_sgpr_private_segment_size 0
		.amdhsa_wavefront_size32 1
		.amdhsa_uses_dynamic_stack 0
		.amdhsa_enable_private_segment 0
		.amdhsa_system_sgpr_workgroup_id_x 1
		.amdhsa_system_sgpr_workgroup_id_y 0
		.amdhsa_system_sgpr_workgroup_id_z 0
		.amdhsa_system_sgpr_workgroup_info 0
		.amdhsa_system_vgpr_workitem_id 0
		.amdhsa_next_free_vgpr 18
		.amdhsa_next_free_sgpr 52
		.amdhsa_reserve_vcc 1
		.amdhsa_float_round_mode_32 0
		.amdhsa_float_round_mode_16_64 0
		.amdhsa_float_denorm_mode_32 3
		.amdhsa_float_denorm_mode_16_64 3
		.amdhsa_dx10_clamp 1
		.amdhsa_ieee_mode 1
		.amdhsa_fp16_overflow 0
		.amdhsa_workgroup_processor_mode 1
		.amdhsa_memory_ordered 1
		.amdhsa_forward_progress 0
		.amdhsa_shared_vgpr_count 0
		.amdhsa_exception_fp_ieee_invalid_op 0
		.amdhsa_exception_fp_denorm_src 0
		.amdhsa_exception_fp_ieee_div_zero 0
		.amdhsa_exception_fp_ieee_overflow 0
		.amdhsa_exception_fp_ieee_underflow 0
		.amdhsa_exception_fp_ieee_inexact 0
		.amdhsa_exception_int_div_zero 0
	.end_amdhsa_kernel
	.section	.text._ZN2at6native32elementwise_kernel_manual_unrollILi128ELi8EZNS0_22gpu_kernel_impl_nocastINS0_11FillFunctorItEEEEvRNS_18TensorIteratorBaseERKT_EUlibE_EEviT1_,"axG",@progbits,_ZN2at6native32elementwise_kernel_manual_unrollILi128ELi8EZNS0_22gpu_kernel_impl_nocastINS0_11FillFunctorItEEEEvRNS_18TensorIteratorBaseERKT_EUlibE_EEviT1_,comdat
.Lfunc_end157:
	.size	_ZN2at6native32elementwise_kernel_manual_unrollILi128ELi8EZNS0_22gpu_kernel_impl_nocastINS0_11FillFunctorItEEEEvRNS_18TensorIteratorBaseERKT_EUlibE_EEviT1_, .Lfunc_end157-_ZN2at6native32elementwise_kernel_manual_unrollILi128ELi8EZNS0_22gpu_kernel_impl_nocastINS0_11FillFunctorItEEEEvRNS_18TensorIteratorBaseERKT_EUlibE_EEviT1_
                                        ; -- End function
	.section	.AMDGPU.csdata,"",@progbits
; Kernel info:
; codeLenInByte = 11652
; NumSgprs: 54
; NumVgprs: 18
; ScratchSize: 0
; MemoryBound: 0
; FloatMode: 240
; IeeeMode: 1
; LDSByteSize: 0 bytes/workgroup (compile time only)
; SGPRBlocks: 6
; VGPRBlocks: 2
; NumSGPRsForWavesPerEU: 54
; NumVGPRsForWavesPerEU: 18
; Occupancy: 16
; WaveLimiterHint : 1
; COMPUTE_PGM_RSRC2:SCRATCH_EN: 0
; COMPUTE_PGM_RSRC2:USER_SGPR: 15
; COMPUTE_PGM_RSRC2:TRAP_HANDLER: 0
; COMPUTE_PGM_RSRC2:TGID_X_EN: 1
; COMPUTE_PGM_RSRC2:TGID_Y_EN: 0
; COMPUTE_PGM_RSRC2:TGID_Z_EN: 0
; COMPUTE_PGM_RSRC2:TIDIG_COMP_CNT: 0
	.section	.text._ZN2at6native32elementwise_kernel_manual_unrollILi128ELi4EZNS0_15gpu_kernel_implINS0_11FillFunctorItEEEEvRNS_18TensorIteratorBaseERKT_EUlibE_EEviT1_,"axG",@progbits,_ZN2at6native32elementwise_kernel_manual_unrollILi128ELi4EZNS0_15gpu_kernel_implINS0_11FillFunctorItEEEEvRNS_18TensorIteratorBaseERKT_EUlibE_EEviT1_,comdat
	.protected	_ZN2at6native32elementwise_kernel_manual_unrollILi128ELi4EZNS0_15gpu_kernel_implINS0_11FillFunctorItEEEEvRNS_18TensorIteratorBaseERKT_EUlibE_EEviT1_ ; -- Begin function _ZN2at6native32elementwise_kernel_manual_unrollILi128ELi4EZNS0_15gpu_kernel_implINS0_11FillFunctorItEEEEvRNS_18TensorIteratorBaseERKT_EUlibE_EEviT1_
	.globl	_ZN2at6native32elementwise_kernel_manual_unrollILi128ELi4EZNS0_15gpu_kernel_implINS0_11FillFunctorItEEEEvRNS_18TensorIteratorBaseERKT_EUlibE_EEviT1_
	.p2align	8
	.type	_ZN2at6native32elementwise_kernel_manual_unrollILi128ELi4EZNS0_15gpu_kernel_implINS0_11FillFunctorItEEEEvRNS_18TensorIteratorBaseERKT_EUlibE_EEviT1_,@function
_ZN2at6native32elementwise_kernel_manual_unrollILi128ELi4EZNS0_15gpu_kernel_implINS0_11FillFunctorItEEEEvRNS_18TensorIteratorBaseERKT_EUlibE_EEviT1_: ; @_ZN2at6native32elementwise_kernel_manual_unrollILi128ELi4EZNS0_15gpu_kernel_implINS0_11FillFunctorItEEEEvRNS_18TensorIteratorBaseERKT_EUlibE_EEviT1_
; %bb.0:
	s_clause 0x1
	s_load_b32 s21, s[0:1], 0x0
	s_load_b128 s[16:19], s[0:1], 0x8
	v_lshl_or_b32 v23, s15, 9, v0
	s_mov_b32 s12, 0
	s_mov_b32 s1, 0
	s_mov_b32 s0, exec_lo
	s_delay_alu instid0(VALU_DEP_1) | instskip(SKIP_2) | instid1(VALU_DEP_1)
	v_or_b32_e32 v0, 0x180, v23
	s_waitcnt lgkmcnt(0)
	s_lshr_b32 s13, s19, 16
	v_cmpx_le_i32_e64 s21, v0
	s_xor_b32 s14, exec_lo, s0
	s_cbranch_execz .LBB158_151
; %bb.1:
	s_and_b32 s10, 0xffff, s19
	v_cvt_f16_u16_e32 v8, s19
	v_cvt_f32_u32_e32 v4, s10
	v_cmp_ne_u16_e64 s9, s19, 0
	s_mov_b32 s24, 0
	s_mov_b32 s25, -1
	v_and_b32_e32 v9, 0xffff, v8
	v_lshrrev_b32_e32 v0, 23, v4
	v_and_b32_e32 v2, 0x3fffff, v4
	v_and_b32_e32 v1, 0x400000, v4
	v_bfe_u32 v3, v4, 20, 1
	v_add_f32_e32 v20, 0x46000000, v4
	v_bfe_u32 v5, v4, 21, 1
	v_or_b32_e32 v2, v0, v2
	v_cmp_ne_u32_e32 vcc_lo, 0, v1
	v_add_nc_u32_e32 v3, v4, v3
	v_cmp_eq_u32_e64 s8, 0xff, v0
	v_dual_add_f32 v12, 0x42800000, v4 :: v_dual_add_nc_u32 v5, v4, v5
	v_cmp_ne_u32_e64 s0, 0, v2
	s_delay_alu instid0(VALU_DEP_4)
	v_add_nc_u32_e32 v1, 0x487ffff, v3
	v_add_nc_u32_e32 v3, 0x407ffff, v3
	v_bfe_u32 v6, v4, 16, 1
	v_readfirstlane_b32 s1, v20
	s_and_b32 s0, vcc_lo, s0
	v_lshrrev_b32_e32 v21, 20, v1
	v_cndmask_b32_e64 v2, 0, 1, s0
	v_cmp_gt_u32_e64 s7, 0x43800000, v4
	s_and_b32 s1, s1, 0xff
	v_cmp_lt_u32_e64 s5, 0x3bffffff, v4
	s_cmp_lg_u32 s1, 0
	v_dual_add_f32 v17, 0x46800000, v4 :: v_dual_add_nc_u32 v22, v0, v2
	v_cvt_f64_u32_e32 v[0:1], s10
	v_add_nc_u32_e32 v2, 0x88fffff, v5
	v_readfirstlane_b32 s1, v12
	s_cselect_b32 s20, -1, 0
	v_cmp_lt_u32_e64 s0, 0x477fffff, v4
	v_cmp_gt_u32_e64 s6, 0x47800000, v4
	v_lshrrev_b32_e32 v19, 21, v2
	v_and_b32_e32 v2, 0xff00000, v3
	v_lshrrev_b32_e32 v3, 20, v3
	s_and_b32 s1, s1, 0xff
	v_cmp_lt_u32_e64 s4, 0x37ffffff, v4
	s_cmp_lg_u32 s1, 0
	v_cmp_ne_u32_e32 vcc_lo, 0x7f00000, v2
	v_add_nc_u32_e32 v2, 0x80fffff, v5
	v_mov_b32_e32 v5, 0x7f
	v_cmp_lt_u32_e64 s2, 0x43efffff, v4
	v_cmp_gt_u32_e64 s3, 0x3c800000, v4
	v_dual_cndmask_b32 v16, 0x7e, v3 :: v_dual_add_nc_u32 v3, v4, v6
	v_lshrrev_b32_e32 v13, 21, v2
	v_cmp_lt_u32_e32 vcc_lo, 0x7f800000, v4
	v_cmp_gt_u32_e64 s1, 0x38800000, v4
	v_add_f32_e32 v14, 0x43000000, v4
	v_add_nc_u32_e32 v2, 0x7fff, v3
	v_cndmask_b32_e64 v10, 0, 1, s9
	v_cndmask_b32_e32 v18, 0x7e, v5, vcc_lo
	v_cndmask_b32_e32 v15, 0x7c, v5, vcc_lo
	s_mov_b32 s11, s24
	v_lshrrev_b32_e32 v11, 16, v2
	s_cselect_b32 s15, -1, 0
	s_mov_b32 s22, 0
	s_mov_b32 s23, exec_lo
	v_cmpx_gt_i32_e64 s21, v23
	s_cbranch_execz .LBB158_100
; %bb.2:
	v_mul_lo_u32 v2, v23, s18
	v_and_b32_e64 v24, 0xff, s13
	s_delay_alu instid0(VALU_DEP_1) | instskip(NEXT) | instid1(VALU_DEP_3)
	v_cmp_gt_i16_e32 vcc_lo, 11, v24
	v_ashrrev_i32_e32 v3, 31, v2
	v_add_co_u32 v6, s9, s16, v2
	s_delay_alu instid0(VALU_DEP_1)
	v_add_co_ci_u32_e64 v7, s9, s17, v3, s9
	s_cbranch_vccnz .LBB158_9
; %bb.3:
	v_cmp_lt_i16_e32 vcc_lo, 25, v24
	s_cbranch_vccz .LBB158_12
; %bb.4:
	v_cmp_lt_i16_e32 vcc_lo, 28, v24
	s_cbranch_vccz .LBB158_13
	;; [unrolled: 3-line block ×4, first 2 shown]
; %bb.7:
	v_cmp_eq_u16_e32 vcc_lo, 46, v24
	s_mov_b32 s25, 0
	s_mov_b32 s9, -1
	s_cbranch_vccz .LBB158_16
; %bb.8:
	s_mov_b32 s22, -1
	s_mov_b32 s9, 0
	global_store_b32 v[6:7], v11, off
	s_branch .LBB158_16
.LBB158_9:
	s_mov_b32 s9, 0
	s_and_b32 vcc_lo, exec_lo, s25
	s_cbranch_vccnz .LBB158_60
.LBB158_10:
	s_and_not1_b32 vcc_lo, exec_lo, s22
	s_cbranch_vccnz .LBB158_98
.LBB158_11:
	v_add_nc_u32_e32 v23, 0x80, v23
	s_mov_b32 s25, -1
	s_branch .LBB158_99
.LBB158_12:
	s_mov_b32 s9, 0
	s_and_b32 vcc_lo, exec_lo, s25
	s_cbranch_vccnz .LBB158_38
	s_branch .LBB158_59
.LBB158_13:
	s_mov_b32 s9, 0
	s_branch .LBB158_24
.LBB158_14:
	s_mov_b32 s9, 0
	s_branch .LBB158_20
.LBB158_15:
	s_mov_b32 s9, 0
.LBB158_16:
	s_and_b32 vcc_lo, exec_lo, s25
	s_cbranch_vccz .LBB158_19
; %bb.17:
	v_cmp_eq_u16_e32 vcc_lo, 44, v24
	s_mov_b32 s9, -1
	s_cbranch_vccz .LBB158_19
; %bb.18:
	v_cndmask_b32_e64 v2, v22, 0xff, s8
	s_mov_b32 s22, -1
	s_mov_b32 s9, 0
	s_mov_b32 s25, 0
	global_store_b8 v[6:7], v2, off
	s_branch .LBB158_20
.LBB158_19:
	s_mov_b32 s25, 0
.LBB158_20:
	s_delay_alu instid0(SALU_CYCLE_1)
	s_and_b32 vcc_lo, exec_lo, s25
	s_cbranch_vccz .LBB158_23
; %bb.21:
	v_cmp_eq_u16_e32 vcc_lo, 29, v24
	s_mov_b32 s9, -1
	s_cbranch_vccz .LBB158_23
; %bb.22:
	v_dual_mov_b32 v2, s10 :: v_dual_mov_b32 v3, s11
	s_mov_b32 s22, -1
	s_mov_b32 s9, 0
	s_mov_b32 s25, 0
	global_store_b64 v[6:7], v[2:3], off
	s_branch .LBB158_24
.LBB158_23:
	s_mov_b32 s25, 0
.LBB158_24:
	s_delay_alu instid0(SALU_CYCLE_1)
	s_and_b32 vcc_lo, exec_lo, s25
	s_cbranch_vccz .LBB158_37
; %bb.25:
	v_cmp_gt_i16_e32 vcc_lo, 27, v24
	s_mov_b32 s22, -1
	s_cbranch_vccnz .LBB158_31
; %bb.26:
	v_cmp_lt_i16_e32 vcc_lo, 27, v24
	s_cbranch_vccz .LBB158_28
; %bb.27:
	v_mov_b32_e32 v2, s10
	s_mov_b32 s22, 0
	global_store_b32 v[6:7], v2, off
.LBB158_28:
	s_and_not1_b32 vcc_lo, exec_lo, s22
	s_cbranch_vccnz .LBB158_30
; %bb.29:
	v_mov_b32_e32 v2, s19
	global_store_b16 v[6:7], v2, off
.LBB158_30:
	s_mov_b32 s22, 0
.LBB158_31:
	s_delay_alu instid0(SALU_CYCLE_1)
	s_and_not1_b32 vcc_lo, exec_lo, s22
	s_cbranch_vccnz .LBB158_36
; %bb.32:
	v_mov_b32_e32 v2, 0x80
	s_and_not1_b32 vcc_lo, exec_lo, s7
	s_cbranch_vccnz .LBB158_35
; %bb.33:
	v_mov_b32_e32 v2, 0
	s_or_b32 s22, s5, s20
	s_delay_alu instid0(SALU_CYCLE_1)
	s_and_not1_b32 vcc_lo, exec_lo, s22
	s_cbranch_vccnz .LBB158_35
; %bb.34:
	v_cndmask_b32_e64 v2, v20, v21, s5
.LBB158_35:
	global_store_b8 v[6:7], v2, off
.LBB158_36:
	s_mov_b32 s22, -1
.LBB158_37:
	s_branch .LBB158_59
.LBB158_38:
	v_cmp_lt_i16_e32 vcc_lo, 22, v24
	s_mov_b32 s25, -1
	s_cbranch_vccz .LBB158_51
; %bb.39:
	v_cmp_gt_i16_e32 vcc_lo, 24, v24
	s_mov_b32 s22, -1
	s_cbranch_vccnz .LBB158_48
; %bb.40:
	v_cmp_lt_i16_e32 vcc_lo, 24, v24
	s_cbranch_vccz .LBB158_45
; %bb.41:
	v_mov_b32_e32 v2, 0x80
	s_and_not1_b32 vcc_lo, exec_lo, s6
	s_cbranch_vccnz .LBB158_44
; %bb.42:
	v_mov_b32_e32 v2, 0
	s_or_b32 s22, s4, s15
	s_delay_alu instid0(SALU_CYCLE_1)
	s_and_not1_b32 vcc_lo, exec_lo, s22
	s_cbranch_vccnz .LBB158_44
; %bb.43:
	v_cndmask_b32_e64 v2, v12, v19, s4
.LBB158_44:
	s_mov_b32 s22, 0
	global_store_b8 v[6:7], v2, off
.LBB158_45:
	s_and_b32 vcc_lo, exec_lo, s22
	s_cbranch_vccz .LBB158_47
; %bb.46:
	v_cndmask_b32_e64 v2, v16, v17, s3
	s_delay_alu instid0(VALU_DEP_1)
	v_cndmask_b32_e64 v2, v2, v18, s2
	global_store_b8 v[6:7], v2, off
.LBB158_47:
	s_mov_b32 s22, 0
.LBB158_48:
	s_delay_alu instid0(SALU_CYCLE_1)
	s_and_not1_b32 vcc_lo, exec_lo, s22
	s_cbranch_vccnz .LBB158_50
; %bb.49:
	v_cndmask_b32_e64 v2, v13, v14, s1
	s_delay_alu instid0(VALU_DEP_1)
	v_cndmask_b32_e64 v2, v2, v15, s0
	global_store_b8 v[6:7], v2, off
.LBB158_50:
	s_mov_b32 s25, 0
	s_mov_b32 s22, -1
.LBB158_51:
	s_and_not1_b32 vcc_lo, exec_lo, s25
	s_cbranch_vccnz .LBB158_59
; %bb.52:
	v_cmp_lt_i16_e32 vcc_lo, 14, v24
	s_mov_b32 s25, -1
	s_cbranch_vccz .LBB158_56
; %bb.53:
	v_cmp_eq_u16_e32 vcc_lo, 15, v24
	s_mov_b32 s9, -1
	s_cbranch_vccz .LBB158_55
; %bb.54:
	s_mov_b32 s22, -1
	s_mov_b32 s9, 0
	global_store_b16 v[6:7], v11, off
.LBB158_55:
	s_mov_b32 s25, 0
.LBB158_56:
	s_delay_alu instid0(SALU_CYCLE_1)
	s_and_b32 vcc_lo, exec_lo, s25
	s_cbranch_vccz .LBB158_59
; %bb.57:
	v_cmp_eq_u16_e32 vcc_lo, 11, v24
	s_mov_b32 s9, -1
	s_cbranch_vccz .LBB158_59
; %bb.58:
	s_mov_b32 s22, -1
	s_mov_b32 s9, 0
	global_store_b8 v[6:7], v10, off
.LBB158_59:
	s_branch .LBB158_10
.LBB158_60:
	v_cmp_gt_i16_e32 vcc_lo, 5, v24
	s_mov_b32 s22, -1
	s_cbranch_vccnz .LBB158_81
; %bb.61:
	v_cmp_gt_i16_e32 vcc_lo, 8, v24
	s_cbranch_vccnz .LBB158_71
; %bb.62:
	v_cmp_gt_i16_e32 vcc_lo, 9, v24
	s_cbranch_vccnz .LBB158_68
; %bb.63:
	v_cmp_lt_i16_e32 vcc_lo, 9, v24
	s_cbranch_vccz .LBB158_65
; %bb.64:
	v_mov_b32_e32 v2, 0
	s_mov_b32 s22, 0
	s_delay_alu instid0(VALU_DEP_1)
	v_mov_b32_e32 v3, v2
	global_store_b128 v[6:7], v[0:3], off
.LBB158_65:
	s_and_not1_b32 vcc_lo, exec_lo, s22
	s_cbranch_vccnz .LBB158_67
; %bb.66:
	v_mov_b32_e32 v5, 0
	global_store_b64 v[6:7], v[4:5], off
.LBB158_67:
	s_mov_b32 s22, 0
.LBB158_68:
	s_delay_alu instid0(SALU_CYCLE_1)
	s_and_not1_b32 vcc_lo, exec_lo, s22
	s_cbranch_vccnz .LBB158_70
; %bb.69:
	global_store_b32 v[6:7], v9, off
.LBB158_70:
	s_mov_b32 s22, 0
.LBB158_71:
	s_delay_alu instid0(SALU_CYCLE_1)
	s_and_not1_b32 vcc_lo, exec_lo, s22
	s_cbranch_vccnz .LBB158_80
; %bb.72:
	v_cmp_gt_i16_e32 vcc_lo, 6, v24
	s_mov_b32 s22, -1
	s_cbranch_vccnz .LBB158_78
; %bb.73:
	v_cmp_lt_i16_e32 vcc_lo, 6, v24
	s_cbranch_vccz .LBB158_75
; %bb.74:
	s_mov_b32 s22, 0
	global_store_b64 v[6:7], v[0:1], off
.LBB158_75:
	s_and_not1_b32 vcc_lo, exec_lo, s22
	s_cbranch_vccnz .LBB158_77
; %bb.76:
	global_store_b32 v[6:7], v4, off
.LBB158_77:
	s_mov_b32 s22, 0
.LBB158_78:
	s_delay_alu instid0(SALU_CYCLE_1)
	s_and_not1_b32 vcc_lo, exec_lo, s22
	s_cbranch_vccnz .LBB158_80
; %bb.79:
	global_store_b16 v[6:7], v8, off
.LBB158_80:
	s_mov_b32 s22, 0
.LBB158_81:
	s_delay_alu instid0(SALU_CYCLE_1)
	s_and_not1_b32 vcc_lo, exec_lo, s22
	s_cbranch_vccnz .LBB158_97
; %bb.82:
	v_cmp_gt_i16_e32 vcc_lo, 2, v24
	s_mov_b32 s22, -1
	s_cbranch_vccnz .LBB158_92
; %bb.83:
	v_cmp_gt_i16_e32 vcc_lo, 3, v24
	s_cbranch_vccnz .LBB158_89
; %bb.84:
	v_cmp_lt_i16_e32 vcc_lo, 3, v24
	s_cbranch_vccz .LBB158_86
; %bb.85:
	v_dual_mov_b32 v2, s10 :: v_dual_mov_b32 v3, s11
	s_mov_b32 s22, 0
	global_store_b64 v[6:7], v[2:3], off
.LBB158_86:
	s_and_not1_b32 vcc_lo, exec_lo, s22
	s_cbranch_vccnz .LBB158_88
; %bb.87:
	v_mov_b32_e32 v2, s10
	global_store_b32 v[6:7], v2, off
.LBB158_88:
	s_mov_b32 s22, 0
.LBB158_89:
	s_delay_alu instid0(SALU_CYCLE_1)
	s_and_not1_b32 vcc_lo, exec_lo, s22
	s_cbranch_vccnz .LBB158_91
; %bb.90:
	v_mov_b32_e32 v2, s19
	global_store_b16 v[6:7], v2, off
.LBB158_91:
	s_mov_b32 s22, 0
.LBB158_92:
	s_delay_alu instid0(SALU_CYCLE_1)
	s_and_not1_b32 vcc_lo, exec_lo, s22
	s_cbranch_vccnz .LBB158_97
; %bb.93:
	v_cmp_lt_i16_e32 vcc_lo, 0, v24
	s_mov_b32 s22, -1
	s_cbranch_vccz .LBB158_95
; %bb.94:
	v_mov_b32_e32 v2, s19
	s_mov_b32 s22, 0
	global_store_b8 v[6:7], v2, off
.LBB158_95:
	s_and_not1_b32 vcc_lo, exec_lo, s22
	s_cbranch_vccnz .LBB158_97
; %bb.96:
	v_mov_b32_e32 v2, s19
	global_store_b8 v[6:7], v2, off
.LBB158_97:
	s_branch .LBB158_11
.LBB158_98:
	s_mov_b32 s25, 0
                                        ; implicit-def: $vgpr23
.LBB158_99:
	s_and_b32 s22, s9, exec_lo
	s_or_not1_b32 s25, s25, exec_lo
.LBB158_100:
	s_or_b32 exec_lo, exec_lo, s23
	s_mov_b32 s9, 0
                                        ; implicit-def: $vgpr24
                                        ; implicit-def: $vgpr6_vgpr7
	s_and_saveexec_b32 s23, s25
	s_cbranch_execz .LBB158_109
; %bb.101:
	s_mov_b32 s9, -1
	s_mov_b32 s24, s22
	s_mov_b32 s25, exec_lo
	v_cmpx_gt_i32_e64 s21, v23
	s_cbranch_execz .LBB158_326
; %bb.102:
	v_mul_lo_u32 v2, v23, s18
	v_and_b32_e64 v24, 0xff, s13
	s_delay_alu instid0(VALU_DEP_1) | instskip(NEXT) | instid1(VALU_DEP_3)
	v_cmp_gt_i16_e32 vcc_lo, 11, v24
	v_ashrrev_i32_e32 v3, 31, v2
	v_add_co_u32 v6, s9, s16, v2
	s_delay_alu instid0(VALU_DEP_1)
	v_add_co_ci_u32_e64 v7, s9, s17, v3, s9
	s_cbranch_vccnz .LBB158_219
; %bb.103:
	v_cmp_lt_i16_e32 vcc_lo, 25, v24
	s_cbranch_vccz .LBB158_222
; %bb.104:
	v_cmp_lt_i16_e32 vcc_lo, 28, v24
	s_cbranch_vccz .LBB158_223
	;; [unrolled: 3-line block ×4, first 2 shown]
; %bb.107:
	v_cmp_eq_u16_e32 vcc_lo, 46, v24
	s_mov_b32 s26, 0
	s_mov_b32 s9, -1
	s_mov_b32 s24, 0
	s_cbranch_vccz .LBB158_241
; %bb.108:
	s_mov_b32 s24, -1
	s_mov_b32 s9, 0
	global_store_b32 v[6:7], v11, off
	s_branch .LBB158_241
.LBB158_109:
	s_or_b32 exec_lo, exec_lo, s23
	s_mov_b32 s0, 0
	s_and_saveexec_b32 s1, s22
	s_cbranch_execnz .LBB158_791
.LBB158_110:
	s_or_b32 exec_lo, exec_lo, s1
	s_and_saveexec_b32 s1, s24
	s_delay_alu instid0(SALU_CYCLE_1)
	s_xor_b32 s1, exec_lo, s1
	s_cbranch_execz .LBB158_112
.LBB158_111:
	global_store_b8 v[6:7], v10, off
.LBB158_112:
	s_or_b32 exec_lo, exec_lo, s1
	s_and_saveexec_b32 s1, s9
	s_delay_alu instid0(SALU_CYCLE_1)
	s_xor_b32 s1, exec_lo, s1
	s_cbranch_execz .LBB158_150
; %bb.113:
	v_cmp_gt_i16_e32 vcc_lo, 5, v24
	s_mov_b32 s2, -1
	s_cbranch_vccnz .LBB158_134
; %bb.114:
	v_cmp_gt_i16_e32 vcc_lo, 8, v24
	s_cbranch_vccnz .LBB158_124
; %bb.115:
	v_cmp_gt_i16_e32 vcc_lo, 9, v24
	s_cbranch_vccnz .LBB158_121
; %bb.116:
	v_cmp_lt_i16_e32 vcc_lo, 9, v24
	s_cbranch_vccz .LBB158_118
; %bb.117:
	v_mov_b32_e32 v2, 0
	s_mov_b32 s2, 0
	s_delay_alu instid0(VALU_DEP_1)
	v_mov_b32_e32 v3, v2
	global_store_b128 v[6:7], v[0:3], off
.LBB158_118:
	s_and_not1_b32 vcc_lo, exec_lo, s2
	s_cbranch_vccnz .LBB158_120
; %bb.119:
	v_mov_b32_e32 v5, 0
	global_store_b64 v[6:7], v[4:5], off
.LBB158_120:
	s_mov_b32 s2, 0
.LBB158_121:
	s_delay_alu instid0(SALU_CYCLE_1)
	s_and_not1_b32 vcc_lo, exec_lo, s2
	s_cbranch_vccnz .LBB158_123
; %bb.122:
	global_store_b32 v[6:7], v9, off
.LBB158_123:
	s_mov_b32 s2, 0
.LBB158_124:
	s_delay_alu instid0(SALU_CYCLE_1)
	s_and_not1_b32 vcc_lo, exec_lo, s2
	s_cbranch_vccnz .LBB158_133
; %bb.125:
	v_cmp_gt_i16_e32 vcc_lo, 6, v24
	s_mov_b32 s2, -1
	s_cbranch_vccnz .LBB158_131
; %bb.126:
	v_cmp_lt_i16_e32 vcc_lo, 6, v24
	s_cbranch_vccz .LBB158_128
; %bb.127:
	s_mov_b32 s2, 0
	global_store_b64 v[6:7], v[0:1], off
.LBB158_128:
	s_and_not1_b32 vcc_lo, exec_lo, s2
	s_cbranch_vccnz .LBB158_130
; %bb.129:
	global_store_b32 v[6:7], v4, off
.LBB158_130:
	s_mov_b32 s2, 0
.LBB158_131:
	s_delay_alu instid0(SALU_CYCLE_1)
	s_and_not1_b32 vcc_lo, exec_lo, s2
	s_cbranch_vccnz .LBB158_133
; %bb.132:
	global_store_b16 v[6:7], v8, off
.LBB158_133:
	s_mov_b32 s2, 0
.LBB158_134:
	s_delay_alu instid0(SALU_CYCLE_1)
	s_and_not1_b32 vcc_lo, exec_lo, s2
	s_cbranch_vccnz .LBB158_150
; %bb.135:
	v_cmp_gt_i16_e32 vcc_lo, 2, v24
	s_mov_b32 s2, -1
	s_cbranch_vccnz .LBB158_145
; %bb.136:
	v_cmp_gt_i16_e32 vcc_lo, 3, v24
	s_cbranch_vccnz .LBB158_142
; %bb.137:
	v_cmp_lt_i16_e32 vcc_lo, 3, v24
	s_cbranch_vccz .LBB158_139
; %bb.138:
	v_dual_mov_b32 v0, s10 :: v_dual_mov_b32 v1, s11
	s_mov_b32 s2, 0
	global_store_b64 v[6:7], v[0:1], off
.LBB158_139:
	s_and_not1_b32 vcc_lo, exec_lo, s2
	s_cbranch_vccnz .LBB158_141
; %bb.140:
	v_mov_b32_e32 v0, s10
	global_store_b32 v[6:7], v0, off
.LBB158_141:
	s_mov_b32 s2, 0
.LBB158_142:
	s_delay_alu instid0(SALU_CYCLE_1)
	s_and_not1_b32 vcc_lo, exec_lo, s2
	s_cbranch_vccnz .LBB158_144
; %bb.143:
	v_mov_b32_e32 v0, s19
	global_store_b16 v[6:7], v0, off
.LBB158_144:
	s_mov_b32 s2, 0
.LBB158_145:
	s_delay_alu instid0(SALU_CYCLE_1)
	s_and_not1_b32 vcc_lo, exec_lo, s2
	s_cbranch_vccnz .LBB158_150
; %bb.146:
	v_cmp_lt_i16_e32 vcc_lo, 0, v24
	s_mov_b32 s2, -1
	s_cbranch_vccz .LBB158_148
; %bb.147:
	v_mov_b32_e32 v0, s19
	s_mov_b32 s2, 0
	global_store_b8 v[6:7], v0, off
.LBB158_148:
	s_and_not1_b32 vcc_lo, exec_lo, s2
	s_cbranch_vccnz .LBB158_150
; %bb.149:
	v_mov_b32_e32 v0, s19
	global_store_b8 v[6:7], v0, off
.LBB158_150:
	s_or_b32 exec_lo, exec_lo, s1
	s_delay_alu instid0(SALU_CYCLE_1)
	s_and_b32 s1, s0, exec_lo
                                        ; implicit-def: $vgpr23
.LBB158_151:
	s_or_saveexec_b32 s2, s14
	s_mov_b32 s0, 0
                                        ; implicit-def: $vgpr2
                                        ; implicit-def: $vgpr0_vgpr1
	s_xor_b32 exec_lo, exec_lo, s2
	s_cbranch_execz .LBB158_685
; %bb.152:
	v_mul_lo_u32 v3, s18, v23
	v_and_b32_e64 v2, 0xff, s13
	s_delay_alu instid0(VALU_DEP_1) | instskip(NEXT) | instid1(VALU_DEP_3)
	v_cmp_gt_i16_e32 vcc_lo, 11, v2
	v_ashrrev_i32_e32 v1, 31, v3
	v_add_co_u32 v0, s0, s16, v3
	s_delay_alu instid0(VALU_DEP_1)
	v_add_co_ci_u32_e64 v1, s0, s17, v1, s0
	s_cbranch_vccnz .LBB158_180
; %bb.153:
	v_cmp_lt_i16_e32 vcc_lo, 25, v2
	s_mov_b32 s3, -1
	s_mov_b32 s4, 0
	s_mov_b32 s5, 0
	;; [unrolled: 1-line block ×3, first 2 shown]
	s_cbranch_vccz .LBB158_233
; %bb.154:
	v_cmp_lt_i16_e32 vcc_lo, 28, v2
	s_cbranch_vccz .LBB158_169
; %bb.155:
	v_cmp_lt_i16_e32 vcc_lo, 43, v2
	;; [unrolled: 3-line block ×3, first 2 shown]
	s_cbranch_vccz .LBB158_159
; %bb.157:
	v_cmp_eq_u16_e32 vcc_lo, 46, v2
	s_mov_b32 s0, -1
	s_mov_b32 s3, 0
	s_cbranch_vccz .LBB158_159
; %bb.158:
	s_and_b32 s0, 0xffff, s19
	s_mov_b32 s5, -1
	v_cvt_f32_u32_e32 v4, s0
	s_mov_b32 s0, 0
	s_delay_alu instid0(VALU_DEP_1) | instskip(NEXT) | instid1(VALU_DEP_1)
	v_bfe_u32 v5, v4, 16, 1
	v_add_nc_u32_e32 v4, v4, v5
	s_delay_alu instid0(VALU_DEP_1) | instskip(NEXT) | instid1(VALU_DEP_1)
	v_add_nc_u32_e32 v4, 0x7fff, v4
	v_lshrrev_b32_e32 v4, 16, v4
	global_store_b32 v[0:1], v4, off
.LBB158_159:
	s_and_b32 vcc_lo, exec_lo, s3
	s_cbranch_vccz .LBB158_164
; %bb.160:
	v_cmp_eq_u16_e32 vcc_lo, 44, v2
	s_mov_b32 s0, -1
	s_cbranch_vccz .LBB158_164
; %bb.161:
	s_and_b32 s0, 0xffff, s19
	s_delay_alu instid0(SALU_CYCLE_1) | instskip(NEXT) | instid1(VALU_DEP_1)
	v_cvt_f32_u32_e32 v4, s0
	v_readfirstlane_b32 s3, v4
	v_mov_b32_e32 v4, 0xff
	s_delay_alu instid0(VALU_DEP_2) | instskip(NEXT) | instid1(SALU_CYCLE_1)
	s_lshr_b32 s0, s3, 23
	s_cmpk_eq_i32 s0, 0xff
	s_cbranch_scc1 .LBB158_163
; %bb.162:
	s_bitcmp1_b32 s3, 22
	s_cselect_b32 s5, -1, 0
	s_and_b32 s3, s3, 0x3fffff
	s_delay_alu instid0(SALU_CYCLE_1) | instskip(NEXT) | instid1(SALU_CYCLE_1)
	s_or_b32 s3, s0, s3
	s_cmp_lg_u32 s3, 0
	s_cselect_b32 s3, -1, 0
	s_delay_alu instid0(SALU_CYCLE_1) | instskip(NEXT) | instid1(SALU_CYCLE_1)
	s_and_b32 s3, s5, s3
	v_cndmask_b32_e64 v4, 0, 1, s3
	s_delay_alu instid0(VALU_DEP_1)
	v_add_nc_u32_e32 v4, s0, v4
.LBB158_163:
	s_mov_b32 s0, 0
	s_mov_b32 s5, -1
	global_store_b8 v[0:1], v4, off
.LBB158_164:
	s_mov_b32 s3, 0
.LBB158_165:
	s_delay_alu instid0(SALU_CYCLE_1)
	s_and_b32 vcc_lo, exec_lo, s3
	s_cbranch_vccz .LBB158_168
; %bb.166:
	v_cmp_eq_u16_e32 vcc_lo, 29, v2
	s_mov_b32 s0, -1
	s_cbranch_vccz .LBB158_168
; %bb.167:
	s_and_b32 s0, s19, 0xffff
	s_mov_b32 s5, -1
	v_dual_mov_b32 v4, s0 :: v_dual_mov_b32 v5, 0
	s_mov_b32 s0, 0
	global_store_b64 v[0:1], v[4:5], off
.LBB158_168:
	s_mov_b32 s3, 0
.LBB158_169:
	s_delay_alu instid0(SALU_CYCLE_1)
	s_and_b32 vcc_lo, exec_lo, s3
	s_cbranch_vccz .LBB158_232
; %bb.170:
	v_cmp_gt_i16_e32 vcc_lo, 27, v2
	s_mov_b32 s3, -1
	s_cbranch_vccnz .LBB158_176
; %bb.171:
	v_cmp_lt_i16_e32 vcc_lo, 27, v2
	s_cbranch_vccz .LBB158_173
; %bb.172:
	s_and_b32 s3, 0xffff, s19
	s_delay_alu instid0(SALU_CYCLE_1)
	v_mov_b32_e32 v4, s3
	s_mov_b32 s3, 0
	global_store_b32 v[0:1], v4, off
.LBB158_173:
	s_and_not1_b32 vcc_lo, exec_lo, s3
	s_cbranch_vccnz .LBB158_175
; %bb.174:
	v_mov_b32_e32 v4, s19
	global_store_b16 v[0:1], v4, off
.LBB158_175:
	s_mov_b32 s3, 0
.LBB158_176:
	s_delay_alu instid0(SALU_CYCLE_1)
	s_and_not1_b32 vcc_lo, exec_lo, s3
	s_cbranch_vccnz .LBB158_231
; %bb.177:
	s_and_b32 s3, 0xffff, s19
	v_mov_b32_e32 v6, 0x80
	v_cvt_f32_u32_e32 v4, s3
	s_delay_alu instid0(VALU_DEP_1)
	v_cmp_lt_u32_e32 vcc_lo, 0x437fffff, v4
	v_readfirstlane_b32 s3, v4
	s_cbranch_vccnz .LBB158_230
; %bb.178:
	s_delay_alu instid0(VALU_DEP_1)
	s_cmp_gt_u32 s3, 0x3bffffff
	s_cbranch_scc0 .LBB158_225
; %bb.179:
	s_bfe_u32 s5, s3, 0x10014
	s_delay_alu instid0(SALU_CYCLE_1) | instskip(SKIP_2) | instid1(SALU_CYCLE_1)
	s_add_i32 s3, s3, s5
	s_mov_b32 s5, 0
	s_add_i32 s3, s3, 0x487ffff
	s_lshr_b32 s6, s3, 20
	s_mov_b32 s3, -1
	s_branch .LBB158_226
.LBB158_180:
	s_mov_b32 s5, 0
	s_mov_b32 s3, s1
	s_cbranch_execz .LBB158_382
; %bb.181:
	v_cmp_gt_i16_e32 vcc_lo, 5, v2
	s_mov_b32 s0, -1
	s_cbranch_vccnz .LBB158_202
; %bb.182:
	v_cmp_gt_i16_e32 vcc_lo, 8, v2
	s_cbranch_vccnz .LBB158_192
; %bb.183:
	v_cmp_gt_i16_e32 vcc_lo, 9, v2
	s_cbranch_vccnz .LBB158_189
; %bb.184:
	v_cmp_lt_i16_e32 vcc_lo, 9, v2
	s_cbranch_vccz .LBB158_186
; %bb.185:
	s_and_b32 s0, 0xffff, s19
	v_mov_b32_e32 v6, 0
	v_cvt_f64_u32_e32 v[4:5], s0
	s_mov_b32 s0, 0
	s_delay_alu instid0(VALU_DEP_2)
	v_mov_b32_e32 v7, v6
	global_store_b128 v[0:1], v[4:7], off
.LBB158_186:
	s_and_not1_b32 vcc_lo, exec_lo, s0
	s_cbranch_vccnz .LBB158_188
; %bb.187:
	s_and_b32 s0, 0xffff, s19
	v_mov_b32_e32 v5, 0
	v_cvt_f32_u32_e32 v4, s0
	global_store_b64 v[0:1], v[4:5], off
.LBB158_188:
	s_mov_b32 s0, 0
.LBB158_189:
	s_delay_alu instid0(SALU_CYCLE_1)
	s_and_not1_b32 vcc_lo, exec_lo, s0
	s_cbranch_vccnz .LBB158_191
; %bb.190:
	v_cvt_f16_u16_e32 v4, s19
	s_delay_alu instid0(VALU_DEP_1)
	v_and_b32_e32 v4, 0xffff, v4
	global_store_b32 v[0:1], v4, off
.LBB158_191:
	s_mov_b32 s0, 0
.LBB158_192:
	s_delay_alu instid0(SALU_CYCLE_1)
	s_and_not1_b32 vcc_lo, exec_lo, s0
	s_cbranch_vccnz .LBB158_201
; %bb.193:
	v_cmp_gt_i16_e32 vcc_lo, 6, v2
	s_mov_b32 s0, -1
	s_cbranch_vccnz .LBB158_199
; %bb.194:
	v_cmp_lt_i16_e32 vcc_lo, 6, v2
	s_cbranch_vccz .LBB158_196
; %bb.195:
	s_and_b32 s0, 0xffff, s19
	s_delay_alu instid0(SALU_CYCLE_1)
	v_cvt_f64_u32_e32 v[4:5], s0
	s_mov_b32 s0, 0
	global_store_b64 v[0:1], v[4:5], off
.LBB158_196:
	s_and_not1_b32 vcc_lo, exec_lo, s0
	s_cbranch_vccnz .LBB158_198
; %bb.197:
	s_and_b32 s0, 0xffff, s19
	s_delay_alu instid0(SALU_CYCLE_1)
	v_cvt_f32_u32_e32 v4, s0
	global_store_b32 v[0:1], v4, off
.LBB158_198:
	s_mov_b32 s0, 0
.LBB158_199:
	s_delay_alu instid0(SALU_CYCLE_1)
	s_and_not1_b32 vcc_lo, exec_lo, s0
	s_cbranch_vccnz .LBB158_201
; %bb.200:
	v_cvt_f16_u16_e32 v4, s19
	global_store_b16 v[0:1], v4, off
.LBB158_201:
	s_mov_b32 s0, 0
.LBB158_202:
	s_delay_alu instid0(SALU_CYCLE_1)
	s_and_not1_b32 vcc_lo, exec_lo, s0
	s_cbranch_vccnz .LBB158_218
; %bb.203:
	v_cmp_gt_i16_e32 vcc_lo, 2, v2
	s_mov_b32 s0, -1
	s_cbranch_vccnz .LBB158_213
; %bb.204:
	v_cmp_gt_i16_e32 vcc_lo, 3, v2
	s_cbranch_vccnz .LBB158_210
; %bb.205:
	v_cmp_lt_i16_e32 vcc_lo, 3, v2
	s_cbranch_vccz .LBB158_207
; %bb.206:
	s_and_b32 s0, s19, 0xffff
	s_delay_alu instid0(SALU_CYCLE_1)
	v_dual_mov_b32 v5, 0 :: v_dual_mov_b32 v4, s0
	s_mov_b32 s0, 0
	global_store_b64 v[0:1], v[4:5], off
.LBB158_207:
	s_and_not1_b32 vcc_lo, exec_lo, s0
	s_cbranch_vccnz .LBB158_209
; %bb.208:
	s_and_b32 s0, 0xffff, s19
	s_delay_alu instid0(SALU_CYCLE_1)
	v_mov_b32_e32 v4, s0
	global_store_b32 v[0:1], v4, off
.LBB158_209:
	s_mov_b32 s0, 0
.LBB158_210:
	s_delay_alu instid0(SALU_CYCLE_1)
	s_and_not1_b32 vcc_lo, exec_lo, s0
	s_cbranch_vccnz .LBB158_212
; %bb.211:
	v_mov_b32_e32 v4, s19
	global_store_b16 v[0:1], v4, off
.LBB158_212:
	s_mov_b32 s0, 0
.LBB158_213:
	s_delay_alu instid0(SALU_CYCLE_1)
	s_and_not1_b32 vcc_lo, exec_lo, s0
	s_cbranch_vccnz .LBB158_218
; %bb.214:
	v_cmp_lt_i16_e32 vcc_lo, 0, v2
	s_mov_b32 s0, -1
	s_cbranch_vccz .LBB158_216
; %bb.215:
	v_mov_b32_e32 v4, s19
	s_mov_b32 s0, 0
	global_store_b8 v[0:1], v4, off
.LBB158_216:
	s_and_not1_b32 vcc_lo, exec_lo, s0
	s_cbranch_vccnz .LBB158_218
; %bb.217:
	v_mov_b32_e32 v4, s19
	global_store_b8 v[0:1], v4, off
.LBB158_218:
	s_branch .LBB158_383
.LBB158_219:
	s_mov_b32 s24, 0
	s_mov_b32 s9, s22
	s_cbranch_execnz .LBB158_286
.LBB158_220:
	s_and_not1_b32 vcc_lo, exec_lo, s24
	s_cbranch_vccnz .LBB158_324
.LBB158_221:
	v_add_nc_u32_e32 v23, 0x80, v23
	s_mov_b32 s26, -1
	s_branch .LBB158_325
.LBB158_222:
	s_mov_b32 s26, -1
	s_mov_b32 s24, 0
	s_mov_b32 s9, s22
	s_branch .LBB158_263
.LBB158_223:
	s_mov_b32 s26, -1
	s_mov_b32 s24, 0
	s_mov_b32 s9, s22
	s_branch .LBB158_249
.LBB158_224:
	s_mov_b32 s26, -1
	s_mov_b32 s24, 0
	s_mov_b32 s9, s22
	s_branch .LBB158_245
.LBB158_225:
	s_mov_b32 s5, -1
	s_mov_b32 s3, 0
                                        ; implicit-def: $sgpr6
.LBB158_226:
	v_mov_b32_e32 v5, s6
	s_and_not1_b32 vcc_lo, exec_lo, s5
                                        ; implicit-def: $sgpr5
	s_cbranch_vccnz .LBB158_228
; %bb.227:
	v_add_f32_e32 v4, 0x46000000, v4
	s_mov_b32 s5, 0
	s_delay_alu instid0(VALU_DEP_1) | instskip(NEXT) | instid1(VALU_DEP_1)
	v_and_b32_e32 v5, 0xff, v4
	v_cmp_ne_u32_e64 s3, 0, v5
.LBB158_228:
	v_mov_b32_e32 v6, s5
	s_delay_alu instid0(VALU_DEP_2)
	s_and_not1_b32 vcc_lo, exec_lo, s3
	s_cbranch_vccnz .LBB158_230
; %bb.229:
	v_mov_b32_e32 v6, v5
.LBB158_230:
	global_store_b8 v[0:1], v6, off
.LBB158_231:
	s_mov_b32 s5, -1
.LBB158_232:
	s_mov_b32 s3, 0
.LBB158_233:
	s_delay_alu instid0(SALU_CYCLE_1)
	s_and_b32 vcc_lo, exec_lo, s3
	s_cbranch_vccz .LBB158_378
; %bb.234:
	v_cmp_lt_i16_e32 vcc_lo, 22, v2
	s_mov_b32 s3, -1
	s_cbranch_vccz .LBB158_371
; %bb.235:
	v_cmp_gt_i16_e32 vcc_lo, 24, v2
	s_cbranch_vccnz .LBB158_358
; %bb.236:
	v_cmp_lt_i16_e32 vcc_lo, 24, v2
	s_cbranch_vccz .LBB158_345
; %bb.237:
	s_and_b32 s3, 0xffff, s19
	v_mov_b32_e32 v6, 0x80
	v_cvt_f32_u32_e32 v4, s3
	s_delay_alu instid0(VALU_DEP_1)
	v_cmp_lt_u32_e32 vcc_lo, 0x477fffff, v4
	v_readfirstlane_b32 s3, v4
	s_cbranch_vccnz .LBB158_344
; %bb.238:
	s_delay_alu instid0(VALU_DEP_1)
	s_cmp_gt_u32 s3, 0x37ffffff
	s_cbranch_scc0 .LBB158_339
; %bb.239:
	s_bfe_u32 s4, s3, 0x10015
	s_delay_alu instid0(SALU_CYCLE_1) | instskip(SKIP_2) | instid1(SALU_CYCLE_1)
	s_add_i32 s3, s3, s4
	s_mov_b32 s4, 0
	s_add_i32 s3, s3, 0x88fffff
	s_lshr_b32 s5, s3, 21
	s_mov_b32 s3, -1
	s_branch .LBB158_340
.LBB158_240:
	s_mov_b32 s26, -1
	s_mov_b32 s24, 0
	s_mov_b32 s9, s22
.LBB158_241:
	s_and_b32 vcc_lo, exec_lo, s26
	s_cbranch_vccz .LBB158_244
; %bb.242:
	v_cmp_eq_u16_e32 vcc_lo, 44, v24
	s_mov_b32 s9, -1
	s_cbranch_vccz .LBB158_244
; %bb.243:
	v_cndmask_b32_e64 v2, v22, 0xff, s8
	s_mov_b32 s24, -1
	s_mov_b32 s9, 0
	global_store_b8 v[6:7], v2, off
.LBB158_244:
	s_mov_b32 s26, 0
.LBB158_245:
	s_delay_alu instid0(SALU_CYCLE_1)
	s_and_b32 vcc_lo, exec_lo, s26
	s_cbranch_vccz .LBB158_248
; %bb.246:
	v_cmp_eq_u16_e32 vcc_lo, 29, v24
	s_mov_b32 s9, -1
	s_cbranch_vccz .LBB158_248
; %bb.247:
	v_dual_mov_b32 v2, s10 :: v_dual_mov_b32 v3, s11
	s_mov_b32 s24, -1
	s_mov_b32 s9, 0
	s_mov_b32 s26, 0
	global_store_b64 v[6:7], v[2:3], off
	s_branch .LBB158_249
.LBB158_248:
	s_mov_b32 s26, 0
.LBB158_249:
	s_delay_alu instid0(SALU_CYCLE_1)
	s_and_b32 vcc_lo, exec_lo, s26
	s_cbranch_vccz .LBB158_262
; %bb.250:
	v_cmp_gt_i16_e32 vcc_lo, 27, v24
	s_mov_b32 s24, -1
	s_cbranch_vccnz .LBB158_256
; %bb.251:
	v_cmp_lt_i16_e32 vcc_lo, 27, v24
	s_cbranch_vccz .LBB158_253
; %bb.252:
	v_mov_b32_e32 v2, s10
	s_mov_b32 s24, 0
	global_store_b32 v[6:7], v2, off
.LBB158_253:
	s_and_not1_b32 vcc_lo, exec_lo, s24
	s_cbranch_vccnz .LBB158_255
; %bb.254:
	v_mov_b32_e32 v2, s19
	global_store_b16 v[6:7], v2, off
.LBB158_255:
	s_mov_b32 s24, 0
.LBB158_256:
	s_delay_alu instid0(SALU_CYCLE_1)
	s_and_not1_b32 vcc_lo, exec_lo, s24
	s_cbranch_vccnz .LBB158_261
; %bb.257:
	v_mov_b32_e32 v2, 0x80
	s_and_not1_b32 vcc_lo, exec_lo, s7
	s_cbranch_vccnz .LBB158_260
; %bb.258:
	v_mov_b32_e32 v2, 0
	s_or_b32 s24, s5, s20
	s_delay_alu instid0(SALU_CYCLE_1)
	s_and_not1_b32 vcc_lo, exec_lo, s24
	s_cbranch_vccnz .LBB158_260
; %bb.259:
	v_cndmask_b32_e64 v2, v20, v21, s5
.LBB158_260:
	global_store_b8 v[6:7], v2, off
.LBB158_261:
	s_mov_b32 s24, -1
.LBB158_262:
	s_mov_b32 s26, 0
.LBB158_263:
	s_delay_alu instid0(SALU_CYCLE_1)
	s_and_b32 vcc_lo, exec_lo, s26
	s_cbranch_vccz .LBB158_285
; %bb.264:
	v_cmp_lt_i16_e32 vcc_lo, 22, v24
	s_mov_b32 s26, -1
	s_cbranch_vccz .LBB158_277
; %bb.265:
	v_cmp_gt_i16_e32 vcc_lo, 24, v24
	s_mov_b32 s24, -1
	s_cbranch_vccnz .LBB158_274
; %bb.266:
	v_cmp_lt_i16_e32 vcc_lo, 24, v24
	s_cbranch_vccz .LBB158_271
; %bb.267:
	v_mov_b32_e32 v2, 0x80
	s_and_not1_b32 vcc_lo, exec_lo, s6
	s_cbranch_vccnz .LBB158_270
; %bb.268:
	v_mov_b32_e32 v2, 0
	s_or_b32 s24, s4, s15
	s_delay_alu instid0(SALU_CYCLE_1)
	s_and_not1_b32 vcc_lo, exec_lo, s24
	s_cbranch_vccnz .LBB158_270
; %bb.269:
	v_cndmask_b32_e64 v2, v12, v19, s4
.LBB158_270:
	s_mov_b32 s24, 0
	global_store_b8 v[6:7], v2, off
.LBB158_271:
	s_and_b32 vcc_lo, exec_lo, s24
	s_cbranch_vccz .LBB158_273
; %bb.272:
	v_cndmask_b32_e64 v2, v16, v17, s3
	s_delay_alu instid0(VALU_DEP_1)
	v_cndmask_b32_e64 v2, v2, v18, s2
	global_store_b8 v[6:7], v2, off
.LBB158_273:
	s_mov_b32 s24, 0
.LBB158_274:
	s_delay_alu instid0(SALU_CYCLE_1)
	s_and_not1_b32 vcc_lo, exec_lo, s24
	s_cbranch_vccnz .LBB158_276
; %bb.275:
	v_cndmask_b32_e64 v2, v13, v14, s1
	s_delay_alu instid0(VALU_DEP_1)
	v_cndmask_b32_e64 v2, v2, v15, s0
	global_store_b8 v[6:7], v2, off
.LBB158_276:
	s_mov_b32 s26, 0
	s_mov_b32 s24, -1
.LBB158_277:
	s_and_not1_b32 vcc_lo, exec_lo, s26
	s_cbranch_vccnz .LBB158_285
; %bb.278:
	v_cmp_lt_i16_e32 vcc_lo, 14, v24
	s_mov_b32 s26, -1
	s_cbranch_vccz .LBB158_282
; %bb.279:
	v_cmp_eq_u16_e32 vcc_lo, 15, v24
	s_mov_b32 s9, -1
	s_cbranch_vccz .LBB158_281
; %bb.280:
	s_mov_b32 s24, -1
	s_mov_b32 s9, 0
	global_store_b16 v[6:7], v11, off
.LBB158_281:
	s_mov_b32 s26, 0
.LBB158_282:
	s_delay_alu instid0(SALU_CYCLE_1)
	s_and_b32 vcc_lo, exec_lo, s26
	s_cbranch_vccz .LBB158_285
; %bb.283:
	v_cmp_eq_u16_e32 vcc_lo, 11, v24
	s_mov_b32 s9, -1
	s_cbranch_vccz .LBB158_285
; %bb.284:
	s_mov_b32 s24, -1
	s_mov_b32 s9, 0
	global_store_b8 v[6:7], v10, off
.LBB158_285:
	s_branch .LBB158_220
.LBB158_286:
	v_cmp_gt_i16_e32 vcc_lo, 5, v24
	s_mov_b32 s24, -1
	s_cbranch_vccnz .LBB158_307
; %bb.287:
	v_cmp_gt_i16_e32 vcc_lo, 8, v24
	s_cbranch_vccnz .LBB158_297
; %bb.288:
	v_cmp_gt_i16_e32 vcc_lo, 9, v24
	s_cbranch_vccnz .LBB158_294
; %bb.289:
	v_cmp_lt_i16_e32 vcc_lo, 9, v24
	s_cbranch_vccz .LBB158_291
; %bb.290:
	v_mov_b32_e32 v2, 0
	s_mov_b32 s24, 0
	s_delay_alu instid0(VALU_DEP_1)
	v_mov_b32_e32 v3, v2
	global_store_b128 v[6:7], v[0:3], off
.LBB158_291:
	s_and_not1_b32 vcc_lo, exec_lo, s24
	s_cbranch_vccnz .LBB158_293
; %bb.292:
	v_mov_b32_e32 v5, 0
	global_store_b64 v[6:7], v[4:5], off
.LBB158_293:
	s_mov_b32 s24, 0
.LBB158_294:
	s_delay_alu instid0(SALU_CYCLE_1)
	s_and_not1_b32 vcc_lo, exec_lo, s24
	s_cbranch_vccnz .LBB158_296
; %bb.295:
	global_store_b32 v[6:7], v9, off
.LBB158_296:
	s_mov_b32 s24, 0
.LBB158_297:
	s_delay_alu instid0(SALU_CYCLE_1)
	s_and_not1_b32 vcc_lo, exec_lo, s24
	s_cbranch_vccnz .LBB158_306
; %bb.298:
	v_cmp_gt_i16_e32 vcc_lo, 6, v24
	s_mov_b32 s24, -1
	s_cbranch_vccnz .LBB158_304
; %bb.299:
	v_cmp_lt_i16_e32 vcc_lo, 6, v24
	s_cbranch_vccz .LBB158_301
; %bb.300:
	s_mov_b32 s24, 0
	global_store_b64 v[6:7], v[0:1], off
.LBB158_301:
	s_and_not1_b32 vcc_lo, exec_lo, s24
	s_cbranch_vccnz .LBB158_303
; %bb.302:
	global_store_b32 v[6:7], v4, off
.LBB158_303:
	s_mov_b32 s24, 0
.LBB158_304:
	s_delay_alu instid0(SALU_CYCLE_1)
	s_and_not1_b32 vcc_lo, exec_lo, s24
	s_cbranch_vccnz .LBB158_306
; %bb.305:
	global_store_b16 v[6:7], v8, off
.LBB158_306:
	s_mov_b32 s24, 0
.LBB158_307:
	s_delay_alu instid0(SALU_CYCLE_1)
	s_and_not1_b32 vcc_lo, exec_lo, s24
	s_cbranch_vccnz .LBB158_323
; %bb.308:
	v_cmp_gt_i16_e32 vcc_lo, 2, v24
	s_mov_b32 s24, -1
	s_cbranch_vccnz .LBB158_318
; %bb.309:
	v_cmp_gt_i16_e32 vcc_lo, 3, v24
	s_cbranch_vccnz .LBB158_315
; %bb.310:
	v_cmp_lt_i16_e32 vcc_lo, 3, v24
	s_cbranch_vccz .LBB158_312
; %bb.311:
	v_dual_mov_b32 v2, s10 :: v_dual_mov_b32 v3, s11
	s_mov_b32 s24, 0
	global_store_b64 v[6:7], v[2:3], off
.LBB158_312:
	s_and_not1_b32 vcc_lo, exec_lo, s24
	s_cbranch_vccnz .LBB158_314
; %bb.313:
	v_mov_b32_e32 v2, s10
	global_store_b32 v[6:7], v2, off
.LBB158_314:
	s_mov_b32 s24, 0
.LBB158_315:
	s_delay_alu instid0(SALU_CYCLE_1)
	s_and_not1_b32 vcc_lo, exec_lo, s24
	s_cbranch_vccnz .LBB158_317
; %bb.316:
	v_mov_b32_e32 v2, s19
	global_store_b16 v[6:7], v2, off
.LBB158_317:
	s_mov_b32 s24, 0
.LBB158_318:
	s_delay_alu instid0(SALU_CYCLE_1)
	s_and_not1_b32 vcc_lo, exec_lo, s24
	s_cbranch_vccnz .LBB158_323
; %bb.319:
	v_cmp_lt_i16_e32 vcc_lo, 0, v24
	s_mov_b32 s24, -1
	s_cbranch_vccz .LBB158_321
; %bb.320:
	v_mov_b32_e32 v2, s19
	s_mov_b32 s24, 0
	global_store_b8 v[6:7], v2, off
.LBB158_321:
	s_and_not1_b32 vcc_lo, exec_lo, s24
	s_cbranch_vccnz .LBB158_323
; %bb.322:
	v_mov_b32_e32 v2, s19
	global_store_b8 v[6:7], v2, off
.LBB158_323:
	s_branch .LBB158_221
.LBB158_324:
	s_mov_b32 s26, 0
                                        ; implicit-def: $vgpr23
.LBB158_325:
	s_and_not1_b32 s24, s22, exec_lo
	s_and_b32 s9, s9, exec_lo
	s_delay_alu instid0(SALU_CYCLE_1)
	s_or_b32 s24, s24, s9
	s_or_not1_b32 s9, s26, exec_lo
.LBB158_326:
	s_or_b32 exec_lo, exec_lo, s25
	s_mov_b32 s26, 0
	s_mov_b32 s28, 0
                                        ; implicit-def: $vgpr24
                                        ; implicit-def: $vgpr6_vgpr7
	s_and_saveexec_b32 s25, s9
	s_cbranch_execz .LBB158_790
; %bb.327:
	s_mov_b32 s29, -1
	s_mov_b32 s27, s24
	s_mov_b32 s26, exec_lo
	v_cmpx_gt_i32_e64 s21, v23
	s_cbranch_execz .LBB158_558
; %bb.328:
	v_mul_lo_u32 v2, v23, s18
	v_and_b32_e64 v24, 0xff, s13
	s_delay_alu instid0(VALU_DEP_1) | instskip(NEXT) | instid1(VALU_DEP_3)
	v_cmp_gt_i16_e32 vcc_lo, 11, v24
	v_ashrrev_i32_e32 v3, 31, v2
	v_add_co_u32 v6, s9, s16, v2
	s_delay_alu instid0(VALU_DEP_1)
	v_add_co_ci_u32_e64 v7, s9, s17, v3, s9
	s_cbranch_vccnz .LBB158_335
; %bb.329:
	v_cmp_lt_i16_e32 vcc_lo, 25, v24
	s_cbranch_vccz .LBB158_336
; %bb.330:
	v_cmp_lt_i16_e32 vcc_lo, 28, v24
	s_cbranch_vccz .LBB158_337
	;; [unrolled: 3-line block ×4, first 2 shown]
; %bb.333:
	v_cmp_eq_u16_e32 vcc_lo, 46, v24
	s_mov_b32 s9, -1
	s_mov_b32 s27, 0
	s_cbranch_vccz .LBB158_470
; %bb.334:
	s_mov_b32 s27, -1
	s_mov_b32 s9, 0
	global_store_b32 v[6:7], v11, off
	s_branch .LBB158_470
.LBB158_335:
	s_mov_b32 s28, -1
	s_mov_b32 s27, 0
	s_mov_b32 s9, s24
	s_branch .LBB158_515
.LBB158_336:
	s_mov_b32 s28, -1
	s_mov_b32 s27, 0
	s_mov_b32 s9, s24
	s_branch .LBB158_492
.LBB158_337:
	s_mov_b32 s28, -1
	s_mov_b32 s27, 0
	s_mov_b32 s9, s24
	s_branch .LBB158_478
.LBB158_338:
	s_mov_b32 s28, -1
	s_mov_b32 s27, 0
	s_mov_b32 s9, s24
	s_branch .LBB158_474
.LBB158_339:
	s_mov_b32 s4, -1
	s_mov_b32 s3, 0
                                        ; implicit-def: $sgpr5
.LBB158_340:
	v_mov_b32_e32 v5, s5
	s_and_not1_b32 vcc_lo, exec_lo, s4
                                        ; implicit-def: $sgpr4
	s_cbranch_vccnz .LBB158_342
; %bb.341:
	v_add_f32_e32 v4, 0x42800000, v4
	s_mov_b32 s4, 0
	s_delay_alu instid0(VALU_DEP_1) | instskip(NEXT) | instid1(VALU_DEP_1)
	v_and_b32_e32 v5, 0xff, v4
	v_cmp_ne_u32_e64 s3, 0, v5
.LBB158_342:
	v_mov_b32_e32 v6, s4
	s_delay_alu instid0(VALU_DEP_2)
	s_and_not1_b32 vcc_lo, exec_lo, s3
	s_cbranch_vccnz .LBB158_344
; %bb.343:
	v_mov_b32_e32 v6, v5
.LBB158_344:
	s_mov_b32 s3, 0
	global_store_b8 v[0:1], v6, off
.LBB158_345:
	s_and_b32 vcc_lo, exec_lo, s3
	s_cbranch_vccz .LBB158_357
; %bb.346:
	s_and_b32 s3, 0xffff, s19
	s_delay_alu instid0(SALU_CYCLE_1) | instskip(NEXT) | instid1(VALU_DEP_1)
	v_cvt_f32_u32_e32 v4, s3
	v_cmp_gt_u32_e32 vcc_lo, 0x43f00000, v4
	v_readfirstlane_b32 s3, v4
	s_cbranch_vccz .LBB158_349
; %bb.347:
	s_delay_alu instid0(VALU_DEP_1)
	s_cmp_gt_u32 s3, 0x3c7fffff
	s_cbranch_scc0 .LBB158_350
; %bb.348:
	s_bfe_u32 s4, s3, 0x10014
	s_delay_alu instid0(SALU_CYCLE_1) | instskip(NEXT) | instid1(SALU_CYCLE_1)
	s_add_i32 s4, s3, s4
	s_add_i32 s4, s4, 0x407ffff
	s_delay_alu instid0(SALU_CYCLE_1)
	s_and_b32 s5, s4, 0xff00000
	s_lshr_b32 s4, s4, 20
	s_cmp_lg_u32 s5, 0x7f00000
	s_cselect_b32 s5, s4, 0x7e
	s_mov_b32 s4, 0
	s_branch .LBB158_351
.LBB158_349:
	s_mov_b32 s4, -1
                                        ; implicit-def: $vgpr5
	s_branch .LBB158_354
.LBB158_350:
	s_mov_b32 s4, -1
                                        ; implicit-def: $sgpr5
.LBB158_351:
	v_mov_b32_e32 v5, s5
	s_and_not1_b32 vcc_lo, exec_lo, s4
	s_cbranch_vccnz .LBB158_353
; %bb.352:
	v_add_f32_e32 v5, 0x46800000, v4
.LBB158_353:
	s_mov_b32 s4, 0
.LBB158_354:
	s_delay_alu instid0(SALU_CYCLE_1)
	s_and_not1_b32 vcc_lo, exec_lo, s4
	s_cbranch_vccnz .LBB158_356
; %bb.355:
	s_cmp_gt_u32 s3, 0x7f800000
	s_movk_i32 s3, 0x7f
	s_delay_alu instid0(SALU_CYCLE_1) | instskip(NEXT) | instid1(SALU_CYCLE_1)
	s_cselect_b32 s3, s3, 0x7e
	v_mov_b32_e32 v5, s3
.LBB158_356:
	global_store_b8 v[0:1], v5, off
.LBB158_357:
	s_mov_b32 s3, 0
.LBB158_358:
	s_delay_alu instid0(SALU_CYCLE_1)
	s_and_not1_b32 vcc_lo, exec_lo, s3
	s_cbranch_vccnz .LBB158_370
; %bb.359:
	s_and_b32 s3, 0xffff, s19
	s_delay_alu instid0(SALU_CYCLE_1) | instskip(NEXT) | instid1(VALU_DEP_1)
	v_cvt_f32_u32_e32 v4, s3
	v_cmp_gt_u32_e32 vcc_lo, 0x47800000, v4
	v_readfirstlane_b32 s3, v4
	s_cbranch_vccz .LBB158_362
; %bb.360:
	s_delay_alu instid0(VALU_DEP_1)
	s_cmp_gt_u32 s3, 0x387fffff
	s_cbranch_scc0 .LBB158_363
; %bb.361:
	s_bfe_u32 s4, s3, 0x10015
	s_delay_alu instid0(SALU_CYCLE_1) | instskip(NEXT) | instid1(SALU_CYCLE_1)
	s_add_i32 s4, s3, s4
	s_add_i32 s4, s4, 0x80fffff
	s_delay_alu instid0(SALU_CYCLE_1)
	s_lshr_b32 s5, s4, 21
	s_mov_b32 s4, 0
	s_branch .LBB158_364
.LBB158_362:
	s_mov_b32 s4, -1
                                        ; implicit-def: $vgpr5
	s_branch .LBB158_367
.LBB158_363:
	s_mov_b32 s4, -1
                                        ; implicit-def: $sgpr5
.LBB158_364:
	v_mov_b32_e32 v5, s5
	s_and_not1_b32 vcc_lo, exec_lo, s4
	s_cbranch_vccnz .LBB158_366
; %bb.365:
	v_add_f32_e32 v5, 0x43000000, v4
.LBB158_366:
	s_mov_b32 s4, 0
.LBB158_367:
	s_delay_alu instid0(SALU_CYCLE_1)
	s_and_not1_b32 vcc_lo, exec_lo, s4
	s_cbranch_vccnz .LBB158_369
; %bb.368:
	s_cmp_gt_u32 s3, 0x7f800000
	s_movk_i32 s3, 0x7f
	s_delay_alu instid0(SALU_CYCLE_1) | instskip(NEXT) | instid1(SALU_CYCLE_1)
	s_cselect_b32 s3, s3, 0x7c
	v_mov_b32_e32 v5, s3
.LBB158_369:
	global_store_b8 v[0:1], v5, off
.LBB158_370:
	s_mov_b32 s3, 0
	s_mov_b32 s5, -1
.LBB158_371:
	s_and_not1_b32 vcc_lo, exec_lo, s3
	s_mov_b32 s4, 0
	s_cbranch_vccnz .LBB158_378
; %bb.372:
	v_cmp_lt_i16_e32 vcc_lo, 14, v2
	s_mov_b32 s3, -1
	s_cbranch_vccz .LBB158_376
; %bb.373:
	v_cmp_eq_u16_e32 vcc_lo, 15, v2
	s_mov_b32 s0, -1
	s_cbranch_vccz .LBB158_375
; %bb.374:
	s_and_b32 s0, 0xffff, s19
	s_mov_b32 s5, -1
	v_cvt_f32_u32_e32 v4, s0
	s_mov_b32 s0, 0
	s_delay_alu instid0(VALU_DEP_1) | instskip(NEXT) | instid1(VALU_DEP_1)
	v_bfe_u32 v5, v4, 16, 1
	v_add_nc_u32_e32 v4, v4, v5
	s_delay_alu instid0(VALU_DEP_1)
	v_add_nc_u32_e32 v4, 0x7fff, v4
	global_store_d16_hi_b16 v[0:1], v4, off
.LBB158_375:
	s_mov_b32 s3, 0
.LBB158_376:
	s_delay_alu instid0(SALU_CYCLE_1)
	s_and_b32 vcc_lo, exec_lo, s3
	s_cbranch_vccz .LBB158_378
; %bb.377:
	v_cmp_ne_u16_e64 s0, 11, v2
	s_mov_b32 s4, -1
.LBB158_378:
	s_delay_alu instid0(VALU_DEP_1)
	s_and_b32 vcc_lo, exec_lo, s0
	s_mov_b32 s3, s1
	s_cbranch_vccnz .LBB158_450
; %bb.379:
	s_and_not1_b32 vcc_lo, exec_lo, s4
	s_cbranch_vccnz .LBB158_381
.LBB158_380:
	v_cmp_ne_u16_e64 s0, s19, 0
	s_mov_b32 s5, -1
	s_delay_alu instid0(VALU_DEP_1)
	v_cndmask_b32_e64 v4, 0, 1, s0
	global_store_b8 v[0:1], v4, off
.LBB158_381:
.LBB158_382:
	s_and_not1_b32 vcc_lo, exec_lo, s5
	s_cbranch_vccnz .LBB158_683
.LBB158_383:
	s_lshl_b32 s4, s18, 7
	v_cmp_gt_i16_e32 vcc_lo, 11, v2
	v_add_nc_u32_e32 v3, s4, v3
	s_delay_alu instid0(VALU_DEP_1) | instskip(SKIP_1) | instid1(VALU_DEP_1)
	v_ashrrev_i32_e32 v1, 31, v3
	v_add_co_u32 v0, s0, s16, v3
	v_add_co_ci_u32_e64 v1, s0, s17, v1, s0
	s_cbranch_vccnz .LBB158_411
; %bb.384:
	v_cmp_lt_i16_e32 vcc_lo, 25, v2
	s_mov_b32 s7, -1
	s_mov_b32 s5, 0
	s_mov_b32 s6, 0
	;; [unrolled: 1-line block ×3, first 2 shown]
	s_cbranch_vccz .LBB158_462
; %bb.385:
	v_cmp_lt_i16_e32 vcc_lo, 28, v2
	s_cbranch_vccz .LBB158_400
; %bb.386:
	v_cmp_lt_i16_e32 vcc_lo, 43, v2
	;; [unrolled: 3-line block ×3, first 2 shown]
	s_cbranch_vccz .LBB158_390
; %bb.388:
	v_cmp_eq_u16_e32 vcc_lo, 46, v2
	s_mov_b32 s0, -1
	s_mov_b32 s7, 0
	s_cbranch_vccz .LBB158_390
; %bb.389:
	s_and_b32 s0, 0xffff, s19
	s_mov_b32 s6, -1
	v_cvt_f32_u32_e32 v4, s0
	s_mov_b32 s0, 0
	s_delay_alu instid0(VALU_DEP_1) | instskip(NEXT) | instid1(VALU_DEP_1)
	v_bfe_u32 v5, v4, 16, 1
	v_add_nc_u32_e32 v4, v4, v5
	s_delay_alu instid0(VALU_DEP_1) | instskip(NEXT) | instid1(VALU_DEP_1)
	v_add_nc_u32_e32 v4, 0x7fff, v4
	v_lshrrev_b32_e32 v4, 16, v4
	global_store_b32 v[0:1], v4, off
.LBB158_390:
	s_and_b32 vcc_lo, exec_lo, s7
	s_cbranch_vccz .LBB158_395
; %bb.391:
	v_cmp_eq_u16_e32 vcc_lo, 44, v2
	s_mov_b32 s0, -1
	s_cbranch_vccz .LBB158_395
; %bb.392:
	s_and_b32 s0, 0xffff, s19
	s_delay_alu instid0(SALU_CYCLE_1) | instskip(NEXT) | instid1(VALU_DEP_1)
	v_cvt_f32_u32_e32 v4, s0
	v_readfirstlane_b32 s6, v4
	v_mov_b32_e32 v4, 0xff
	s_delay_alu instid0(VALU_DEP_2) | instskip(NEXT) | instid1(SALU_CYCLE_1)
	s_lshr_b32 s0, s6, 23
	s_cmpk_eq_i32 s0, 0xff
	s_cbranch_scc1 .LBB158_394
; %bb.393:
	s_bitcmp1_b32 s6, 22
	s_cselect_b32 s7, -1, 0
	s_and_b32 s6, s6, 0x3fffff
	s_delay_alu instid0(SALU_CYCLE_1) | instskip(NEXT) | instid1(SALU_CYCLE_1)
	s_or_b32 s6, s0, s6
	s_cmp_lg_u32 s6, 0
	s_cselect_b32 s6, -1, 0
	s_delay_alu instid0(SALU_CYCLE_1) | instskip(NEXT) | instid1(SALU_CYCLE_1)
	s_and_b32 s6, s7, s6
	v_cndmask_b32_e64 v4, 0, 1, s6
	s_delay_alu instid0(VALU_DEP_1)
	v_add_nc_u32_e32 v4, s0, v4
.LBB158_394:
	s_mov_b32 s0, 0
	s_mov_b32 s6, -1
	global_store_b8 v[0:1], v4, off
.LBB158_395:
	s_mov_b32 s7, 0
.LBB158_396:
	s_delay_alu instid0(SALU_CYCLE_1)
	s_and_b32 vcc_lo, exec_lo, s7
	s_cbranch_vccz .LBB158_399
; %bb.397:
	v_cmp_eq_u16_e32 vcc_lo, 29, v2
	s_mov_b32 s0, -1
	s_cbranch_vccz .LBB158_399
; %bb.398:
	s_and_b32 s0, s19, 0xffff
	s_mov_b32 s6, -1
	v_dual_mov_b32 v4, s0 :: v_dual_mov_b32 v5, 0
	s_mov_b32 s0, 0
	global_store_b64 v[0:1], v[4:5], off
.LBB158_399:
	s_mov_b32 s7, 0
.LBB158_400:
	s_delay_alu instid0(SALU_CYCLE_1)
	s_and_b32 vcc_lo, exec_lo, s7
	s_cbranch_vccz .LBB158_461
; %bb.401:
	v_cmp_gt_i16_e32 vcc_lo, 27, v2
	s_mov_b32 s6, -1
	s_cbranch_vccnz .LBB158_407
; %bb.402:
	v_cmp_lt_i16_e32 vcc_lo, 27, v2
	s_cbranch_vccz .LBB158_404
; %bb.403:
	s_and_b32 s6, 0xffff, s19
	s_delay_alu instid0(SALU_CYCLE_1)
	v_mov_b32_e32 v4, s6
	s_mov_b32 s6, 0
	global_store_b32 v[0:1], v4, off
.LBB158_404:
	s_and_not1_b32 vcc_lo, exec_lo, s6
	s_cbranch_vccnz .LBB158_406
; %bb.405:
	v_mov_b32_e32 v4, s19
	global_store_b16 v[0:1], v4, off
.LBB158_406:
	s_mov_b32 s6, 0
.LBB158_407:
	s_delay_alu instid0(SALU_CYCLE_1)
	s_and_not1_b32 vcc_lo, exec_lo, s6
	s_cbranch_vccnz .LBB158_460
; %bb.408:
	s_and_b32 s6, 0xffff, s19
	v_mov_b32_e32 v6, 0x80
	v_cvt_f32_u32_e32 v4, s6
	s_delay_alu instid0(VALU_DEP_1)
	v_cmp_lt_u32_e32 vcc_lo, 0x437fffff, v4
	v_readfirstlane_b32 s6, v4
	s_cbranch_vccnz .LBB158_459
; %bb.409:
	s_delay_alu instid0(VALU_DEP_1)
	s_cmp_gt_u32 s6, 0x3bffffff
	s_cbranch_scc0 .LBB158_454
; %bb.410:
	s_bfe_u32 s7, s6, 0x10014
	s_delay_alu instid0(SALU_CYCLE_1) | instskip(SKIP_2) | instid1(SALU_CYCLE_1)
	s_add_i32 s6, s6, s7
	s_mov_b32 s7, 0
	s_add_i32 s6, s6, 0x487ffff
	s_lshr_b32 s8, s6, 20
	s_mov_b32 s6, -1
	s_branch .LBB158_455
.LBB158_411:
	s_mov_b32 s6, 0
	s_cbranch_execz .LBB158_615
; %bb.412:
	v_cmp_gt_i16_e32 vcc_lo, 5, v2
	s_mov_b32 s0, -1
	s_cbranch_vccnz .LBB158_433
; %bb.413:
	v_cmp_gt_i16_e32 vcc_lo, 8, v2
	s_cbranch_vccnz .LBB158_423
; %bb.414:
	v_cmp_gt_i16_e32 vcc_lo, 9, v2
	s_cbranch_vccnz .LBB158_420
; %bb.415:
	v_cmp_lt_i16_e32 vcc_lo, 9, v2
	s_cbranch_vccz .LBB158_417
; %bb.416:
	s_and_b32 s0, 0xffff, s19
	v_mov_b32_e32 v6, 0
	v_cvt_f64_u32_e32 v[4:5], s0
	s_mov_b32 s0, 0
	s_delay_alu instid0(VALU_DEP_2)
	v_mov_b32_e32 v7, v6
	global_store_b128 v[0:1], v[4:7], off
.LBB158_417:
	s_and_not1_b32 vcc_lo, exec_lo, s0
	s_cbranch_vccnz .LBB158_419
; %bb.418:
	s_and_b32 s0, 0xffff, s19
	v_mov_b32_e32 v5, 0
	v_cvt_f32_u32_e32 v4, s0
	global_store_b64 v[0:1], v[4:5], off
.LBB158_419:
	s_mov_b32 s0, 0
.LBB158_420:
	s_delay_alu instid0(SALU_CYCLE_1)
	s_and_not1_b32 vcc_lo, exec_lo, s0
	s_cbranch_vccnz .LBB158_422
; %bb.421:
	v_cvt_f16_u16_e32 v4, s19
	s_delay_alu instid0(VALU_DEP_1)
	v_and_b32_e32 v4, 0xffff, v4
	global_store_b32 v[0:1], v4, off
.LBB158_422:
	s_mov_b32 s0, 0
.LBB158_423:
	s_delay_alu instid0(SALU_CYCLE_1)
	s_and_not1_b32 vcc_lo, exec_lo, s0
	s_cbranch_vccnz .LBB158_432
; %bb.424:
	v_cmp_gt_i16_e32 vcc_lo, 6, v2
	s_mov_b32 s0, -1
	s_cbranch_vccnz .LBB158_430
; %bb.425:
	v_cmp_lt_i16_e32 vcc_lo, 6, v2
	s_cbranch_vccz .LBB158_427
; %bb.426:
	s_and_b32 s0, 0xffff, s19
	s_delay_alu instid0(SALU_CYCLE_1)
	v_cvt_f64_u32_e32 v[4:5], s0
	s_mov_b32 s0, 0
	global_store_b64 v[0:1], v[4:5], off
.LBB158_427:
	s_and_not1_b32 vcc_lo, exec_lo, s0
	s_cbranch_vccnz .LBB158_429
; %bb.428:
	s_and_b32 s0, 0xffff, s19
	s_delay_alu instid0(SALU_CYCLE_1)
	v_cvt_f32_u32_e32 v4, s0
	global_store_b32 v[0:1], v4, off
.LBB158_429:
	s_mov_b32 s0, 0
.LBB158_430:
	s_delay_alu instid0(SALU_CYCLE_1)
	s_and_not1_b32 vcc_lo, exec_lo, s0
	s_cbranch_vccnz .LBB158_432
; %bb.431:
	v_cvt_f16_u16_e32 v4, s19
	global_store_b16 v[0:1], v4, off
.LBB158_432:
	s_mov_b32 s0, 0
.LBB158_433:
	s_delay_alu instid0(SALU_CYCLE_1)
	s_and_not1_b32 vcc_lo, exec_lo, s0
	s_cbranch_vccnz .LBB158_449
; %bb.434:
	v_cmp_gt_i16_e32 vcc_lo, 2, v2
	s_mov_b32 s0, -1
	s_cbranch_vccnz .LBB158_444
; %bb.435:
	v_cmp_gt_i16_e32 vcc_lo, 3, v2
	s_cbranch_vccnz .LBB158_441
; %bb.436:
	v_cmp_lt_i16_e32 vcc_lo, 3, v2
	s_cbranch_vccz .LBB158_438
; %bb.437:
	s_and_b32 s0, s19, 0xffff
	s_delay_alu instid0(SALU_CYCLE_1)
	v_dual_mov_b32 v5, 0 :: v_dual_mov_b32 v4, s0
	s_mov_b32 s0, 0
	global_store_b64 v[0:1], v[4:5], off
.LBB158_438:
	s_and_not1_b32 vcc_lo, exec_lo, s0
	s_cbranch_vccnz .LBB158_440
; %bb.439:
	s_and_b32 s0, 0xffff, s19
	s_delay_alu instid0(SALU_CYCLE_1)
	v_mov_b32_e32 v4, s0
	global_store_b32 v[0:1], v4, off
.LBB158_440:
	s_mov_b32 s0, 0
.LBB158_441:
	s_delay_alu instid0(SALU_CYCLE_1)
	s_and_not1_b32 vcc_lo, exec_lo, s0
	s_cbranch_vccnz .LBB158_443
; %bb.442:
	v_mov_b32_e32 v4, s19
	global_store_b16 v[0:1], v4, off
.LBB158_443:
	s_mov_b32 s0, 0
.LBB158_444:
	s_delay_alu instid0(SALU_CYCLE_1)
	s_and_not1_b32 vcc_lo, exec_lo, s0
	s_cbranch_vccnz .LBB158_449
; %bb.445:
	v_cmp_lt_i16_e32 vcc_lo, 0, v2
	s_mov_b32 s0, -1
	s_cbranch_vccz .LBB158_447
; %bb.446:
	v_mov_b32_e32 v4, s19
	s_mov_b32 s0, 0
	global_store_b8 v[0:1], v4, off
.LBB158_447:
	s_and_not1_b32 vcc_lo, exec_lo, s0
	s_cbranch_vccnz .LBB158_449
; %bb.448:
	v_mov_b32_e32 v4, s19
	global_store_b8 v[0:1], v4, off
.LBB158_449:
	s_branch .LBB158_616
.LBB158_450:
	s_cbranch_execnz .LBB158_452
; %bb.451:
	s_or_b32 s3, s1, exec_lo
	s_cbranch_execz .LBB158_380
	s_branch .LBB158_381
.LBB158_452:
	s_trap 2
	s_sendmsg_rtn_b32 s0, sendmsg(MSG_RTN_GET_DOORBELL)
	s_mov_b32 ttmp2, m0
	s_waitcnt lgkmcnt(0)
	s_and_b32 s0, s0, 0x3ff
	s_delay_alu instid0(SALU_CYCLE_1) | instskip(NEXT) | instid1(SALU_CYCLE_1)
	s_bitset1_b32 s0, 10
	s_mov_b32 m0, s0
	s_sendmsg sendmsg(MSG_INTERRUPT)
	s_mov_b32 m0, ttmp2
.LBB158_453:                            ; =>This Inner Loop Header: Depth=1
	s_sethalt 5
	s_branch .LBB158_453
.LBB158_454:
	s_mov_b32 s7, -1
	s_mov_b32 s6, 0
                                        ; implicit-def: $sgpr8
.LBB158_455:
	v_mov_b32_e32 v5, s8
	s_and_not1_b32 vcc_lo, exec_lo, s7
                                        ; implicit-def: $sgpr7
	s_cbranch_vccnz .LBB158_457
; %bb.456:
	v_add_f32_e32 v4, 0x46000000, v4
	s_mov_b32 s7, 0
	s_delay_alu instid0(VALU_DEP_1) | instskip(NEXT) | instid1(VALU_DEP_1)
	v_and_b32_e32 v5, 0xff, v4
	v_cmp_ne_u32_e64 s6, 0, v5
.LBB158_457:
	v_mov_b32_e32 v6, s7
	s_delay_alu instid0(VALU_DEP_2)
	s_and_not1_b32 vcc_lo, exec_lo, s6
	s_cbranch_vccnz .LBB158_459
; %bb.458:
	v_mov_b32_e32 v6, v5
.LBB158_459:
	global_store_b8 v[0:1], v6, off
.LBB158_460:
	s_mov_b32 s6, -1
.LBB158_461:
	s_mov_b32 s7, 0
.LBB158_462:
	s_delay_alu instid0(SALU_CYCLE_1)
	s_and_b32 vcc_lo, exec_lo, s7
	s_cbranch_vccz .LBB158_611
; %bb.463:
	v_cmp_lt_i16_e32 vcc_lo, 22, v2
	s_mov_b32 s5, -1
	s_cbranch_vccz .LBB158_604
; %bb.464:
	v_cmp_gt_i16_e32 vcc_lo, 24, v2
	s_cbranch_vccnz .LBB158_591
; %bb.465:
	v_cmp_lt_i16_e32 vcc_lo, 24, v2
	s_cbranch_vccz .LBB158_578
; %bb.466:
	s_and_b32 s5, 0xffff, s19
	v_mov_b32_e32 v6, 0x80
	v_cvt_f32_u32_e32 v4, s5
	s_delay_alu instid0(VALU_DEP_1)
	v_cmp_lt_u32_e32 vcc_lo, 0x477fffff, v4
	v_readfirstlane_b32 s5, v4
	s_cbranch_vccnz .LBB158_577
; %bb.467:
	s_delay_alu instid0(VALU_DEP_1)
	s_cmp_gt_u32 s5, 0x37ffffff
	s_cbranch_scc0 .LBB158_572
; %bb.468:
	s_bfe_u32 s6, s5, 0x10015
	s_delay_alu instid0(SALU_CYCLE_1) | instskip(SKIP_2) | instid1(SALU_CYCLE_1)
	s_add_i32 s5, s5, s6
	s_mov_b32 s6, 0
	s_add_i32 s5, s5, 0x88fffff
	s_lshr_b32 s7, s5, 21
	s_mov_b32 s5, -1
	s_branch .LBB158_573
.LBB158_469:
	s_mov_b32 s28, -1
	s_mov_b32 s27, 0
	s_mov_b32 s9, s24
.LBB158_470:
	s_and_b32 vcc_lo, exec_lo, s28
	s_cbranch_vccz .LBB158_473
; %bb.471:
	v_cmp_eq_u16_e32 vcc_lo, 44, v24
	s_mov_b32 s9, -1
	s_cbranch_vccz .LBB158_473
; %bb.472:
	v_cndmask_b32_e64 v2, v22, 0xff, s8
	s_mov_b32 s27, -1
	s_mov_b32 s9, 0
	global_store_b8 v[6:7], v2, off
.LBB158_473:
	s_mov_b32 s28, 0
.LBB158_474:
	s_delay_alu instid0(SALU_CYCLE_1)
	s_and_b32 vcc_lo, exec_lo, s28
	s_cbranch_vccz .LBB158_477
; %bb.475:
	v_cmp_eq_u16_e32 vcc_lo, 29, v24
	s_mov_b32 s9, -1
	s_cbranch_vccz .LBB158_477
; %bb.476:
	v_dual_mov_b32 v2, s10 :: v_dual_mov_b32 v3, s11
	s_mov_b32 s27, -1
	s_mov_b32 s9, 0
	s_mov_b32 s28, 0
	global_store_b64 v[6:7], v[2:3], off
	s_branch .LBB158_478
.LBB158_477:
	s_mov_b32 s28, 0
.LBB158_478:
	s_delay_alu instid0(SALU_CYCLE_1)
	s_and_b32 vcc_lo, exec_lo, s28
	s_cbranch_vccz .LBB158_491
; %bb.479:
	v_cmp_gt_i16_e32 vcc_lo, 27, v24
	s_mov_b32 s27, -1
	s_cbranch_vccnz .LBB158_485
; %bb.480:
	v_cmp_lt_i16_e32 vcc_lo, 27, v24
	s_cbranch_vccz .LBB158_482
; %bb.481:
	v_mov_b32_e32 v2, s10
	s_mov_b32 s27, 0
	global_store_b32 v[6:7], v2, off
.LBB158_482:
	s_and_not1_b32 vcc_lo, exec_lo, s27
	s_cbranch_vccnz .LBB158_484
; %bb.483:
	v_mov_b32_e32 v2, s19
	global_store_b16 v[6:7], v2, off
.LBB158_484:
	s_mov_b32 s27, 0
.LBB158_485:
	s_delay_alu instid0(SALU_CYCLE_1)
	s_and_not1_b32 vcc_lo, exec_lo, s27
	s_cbranch_vccnz .LBB158_490
; %bb.486:
	v_mov_b32_e32 v2, 0x80
	s_and_not1_b32 vcc_lo, exec_lo, s7
	s_cbranch_vccnz .LBB158_489
; %bb.487:
	v_mov_b32_e32 v2, 0
	s_or_b32 s27, s5, s20
	s_delay_alu instid0(SALU_CYCLE_1)
	s_and_not1_b32 vcc_lo, exec_lo, s27
	s_cbranch_vccnz .LBB158_489
; %bb.488:
	v_cndmask_b32_e64 v2, v20, v21, s5
.LBB158_489:
	global_store_b8 v[6:7], v2, off
.LBB158_490:
	s_mov_b32 s27, -1
.LBB158_491:
	s_mov_b32 s28, 0
.LBB158_492:
	s_delay_alu instid0(SALU_CYCLE_1)
	s_and_b32 vcc_lo, exec_lo, s28
	s_cbranch_vccz .LBB158_514
; %bb.493:
	v_cmp_lt_i16_e32 vcc_lo, 22, v24
	s_mov_b32 s28, -1
	s_cbranch_vccz .LBB158_506
; %bb.494:
	v_cmp_gt_i16_e32 vcc_lo, 24, v24
	s_mov_b32 s27, -1
	s_cbranch_vccnz .LBB158_503
; %bb.495:
	v_cmp_lt_i16_e32 vcc_lo, 24, v24
	s_cbranch_vccz .LBB158_500
; %bb.496:
	v_mov_b32_e32 v2, 0x80
	s_and_not1_b32 vcc_lo, exec_lo, s6
	s_cbranch_vccnz .LBB158_499
; %bb.497:
	v_mov_b32_e32 v2, 0
	s_or_b32 s27, s4, s15
	s_delay_alu instid0(SALU_CYCLE_1)
	s_and_not1_b32 vcc_lo, exec_lo, s27
	s_cbranch_vccnz .LBB158_499
; %bb.498:
	v_cndmask_b32_e64 v2, v12, v19, s4
.LBB158_499:
	s_mov_b32 s27, 0
	global_store_b8 v[6:7], v2, off
.LBB158_500:
	s_and_b32 vcc_lo, exec_lo, s27
	s_cbranch_vccz .LBB158_502
; %bb.501:
	v_cndmask_b32_e64 v2, v16, v17, s3
	s_delay_alu instid0(VALU_DEP_1)
	v_cndmask_b32_e64 v2, v2, v18, s2
	global_store_b8 v[6:7], v2, off
.LBB158_502:
	s_mov_b32 s27, 0
.LBB158_503:
	s_delay_alu instid0(SALU_CYCLE_1)
	s_and_not1_b32 vcc_lo, exec_lo, s27
	s_cbranch_vccnz .LBB158_505
; %bb.504:
	v_cndmask_b32_e64 v2, v13, v14, s1
	s_delay_alu instid0(VALU_DEP_1)
	v_cndmask_b32_e64 v2, v2, v15, s0
	global_store_b8 v[6:7], v2, off
.LBB158_505:
	s_mov_b32 s28, 0
	s_mov_b32 s27, -1
.LBB158_506:
	s_and_not1_b32 vcc_lo, exec_lo, s28
	s_cbranch_vccnz .LBB158_514
; %bb.507:
	v_cmp_lt_i16_e32 vcc_lo, 14, v24
	s_mov_b32 s28, -1
	s_cbranch_vccz .LBB158_511
; %bb.508:
	v_cmp_eq_u16_e32 vcc_lo, 15, v24
	s_mov_b32 s9, -1
	s_cbranch_vccz .LBB158_510
; %bb.509:
	s_mov_b32 s27, -1
	s_mov_b32 s9, 0
	global_store_b16 v[6:7], v11, off
.LBB158_510:
	s_mov_b32 s28, 0
.LBB158_511:
	s_delay_alu instid0(SALU_CYCLE_1)
	s_and_b32 vcc_lo, exec_lo, s28
	s_cbranch_vccz .LBB158_514
; %bb.512:
	v_cmp_eq_u16_e32 vcc_lo, 11, v24
	s_mov_b32 s9, -1
	s_cbranch_vccz .LBB158_514
; %bb.513:
	s_mov_b32 s27, -1
	s_mov_b32 s9, 0
	global_store_b8 v[6:7], v10, off
.LBB158_514:
	s_mov_b32 s28, 0
.LBB158_515:
	s_delay_alu instid0(SALU_CYCLE_1)
	s_and_b32 vcc_lo, exec_lo, s28
	s_cbranch_vccz .LBB158_554
; %bb.516:
	v_cmp_gt_i16_e32 vcc_lo, 5, v24
	s_mov_b32 s27, -1
	s_cbranch_vccnz .LBB158_537
; %bb.517:
	v_cmp_gt_i16_e32 vcc_lo, 8, v24
	s_cbranch_vccnz .LBB158_527
; %bb.518:
	v_cmp_gt_i16_e32 vcc_lo, 9, v24
	s_cbranch_vccnz .LBB158_524
; %bb.519:
	v_cmp_lt_i16_e32 vcc_lo, 9, v24
	s_cbranch_vccz .LBB158_521
; %bb.520:
	v_mov_b32_e32 v2, 0
	s_mov_b32 s27, 0
	s_delay_alu instid0(VALU_DEP_1)
	v_mov_b32_e32 v3, v2
	global_store_b128 v[6:7], v[0:3], off
.LBB158_521:
	s_and_not1_b32 vcc_lo, exec_lo, s27
	s_cbranch_vccnz .LBB158_523
; %bb.522:
	v_mov_b32_e32 v5, 0
	global_store_b64 v[6:7], v[4:5], off
.LBB158_523:
	s_mov_b32 s27, 0
.LBB158_524:
	s_delay_alu instid0(SALU_CYCLE_1)
	s_and_not1_b32 vcc_lo, exec_lo, s27
	s_cbranch_vccnz .LBB158_526
; %bb.525:
	global_store_b32 v[6:7], v9, off
.LBB158_526:
	s_mov_b32 s27, 0
.LBB158_527:
	s_delay_alu instid0(SALU_CYCLE_1)
	s_and_not1_b32 vcc_lo, exec_lo, s27
	s_cbranch_vccnz .LBB158_536
; %bb.528:
	v_cmp_gt_i16_e32 vcc_lo, 6, v24
	s_mov_b32 s27, -1
	s_cbranch_vccnz .LBB158_534
; %bb.529:
	v_cmp_lt_i16_e32 vcc_lo, 6, v24
	s_cbranch_vccz .LBB158_531
; %bb.530:
	s_mov_b32 s27, 0
	global_store_b64 v[6:7], v[0:1], off
.LBB158_531:
	s_and_not1_b32 vcc_lo, exec_lo, s27
	s_cbranch_vccnz .LBB158_533
; %bb.532:
	global_store_b32 v[6:7], v4, off
.LBB158_533:
	s_mov_b32 s27, 0
.LBB158_534:
	s_delay_alu instid0(SALU_CYCLE_1)
	s_and_not1_b32 vcc_lo, exec_lo, s27
	s_cbranch_vccnz .LBB158_536
; %bb.535:
	global_store_b16 v[6:7], v8, off
.LBB158_536:
	s_mov_b32 s27, 0
.LBB158_537:
	s_delay_alu instid0(SALU_CYCLE_1)
	s_and_not1_b32 vcc_lo, exec_lo, s27
	s_cbranch_vccnz .LBB158_553
; %bb.538:
	v_cmp_gt_i16_e32 vcc_lo, 2, v24
	s_mov_b32 s27, -1
	s_cbranch_vccnz .LBB158_548
; %bb.539:
	v_cmp_gt_i16_e32 vcc_lo, 3, v24
	s_cbranch_vccnz .LBB158_545
; %bb.540:
	v_cmp_lt_i16_e32 vcc_lo, 3, v24
	s_cbranch_vccz .LBB158_542
; %bb.541:
	v_dual_mov_b32 v2, s10 :: v_dual_mov_b32 v3, s11
	s_mov_b32 s27, 0
	global_store_b64 v[6:7], v[2:3], off
.LBB158_542:
	s_and_not1_b32 vcc_lo, exec_lo, s27
	s_cbranch_vccnz .LBB158_544
; %bb.543:
	v_mov_b32_e32 v2, s10
	global_store_b32 v[6:7], v2, off
.LBB158_544:
	s_mov_b32 s27, 0
.LBB158_545:
	s_delay_alu instid0(SALU_CYCLE_1)
	s_and_not1_b32 vcc_lo, exec_lo, s27
	s_cbranch_vccnz .LBB158_547
; %bb.546:
	v_mov_b32_e32 v2, s19
	global_store_b16 v[6:7], v2, off
.LBB158_547:
	s_mov_b32 s27, 0
.LBB158_548:
	s_delay_alu instid0(SALU_CYCLE_1)
	s_and_not1_b32 vcc_lo, exec_lo, s27
	s_cbranch_vccnz .LBB158_553
; %bb.549:
	v_cmp_lt_i16_e32 vcc_lo, 0, v24
	s_mov_b32 s27, -1
	s_cbranch_vccz .LBB158_551
; %bb.550:
	v_mov_b32_e32 v2, s19
	s_mov_b32 s27, 0
	global_store_b8 v[6:7], v2, off
.LBB158_551:
	s_and_not1_b32 vcc_lo, exec_lo, s27
	s_cbranch_vccnz .LBB158_553
; %bb.552:
	v_mov_b32_e32 v2, s19
	global_store_b8 v[6:7], v2, off
.LBB158_553:
	s_mov_b32 s27, -1
.LBB158_554:
	s_delay_alu instid0(SALU_CYCLE_1)
	s_and_not1_b32 vcc_lo, exec_lo, s27
	s_cbranch_vccnz .LBB158_556
; %bb.555:
	v_add_nc_u32_e32 v23, 0x80, v23
	s_mov_b32 s28, -1
	s_branch .LBB158_557
.LBB158_556:
	s_mov_b32 s28, 0
                                        ; implicit-def: $vgpr23
.LBB158_557:
	s_and_not1_b32 s27, s24, exec_lo
	s_and_b32 s9, s9, exec_lo
	s_or_not1_b32 s29, s28, exec_lo
	s_or_b32 s27, s27, s9
.LBB158_558:
	s_or_b32 exec_lo, exec_lo, s26
	s_mov_b32 s9, 0
	s_mov_b32 s28, 0
                                        ; implicit-def: $vgpr24
                                        ; implicit-def: $vgpr6_vgpr7
	s_and_saveexec_b32 s26, s29
	s_cbranch_execz .LBB158_789
; %bb.559:
	v_cmp_gt_i32_e32 vcc_lo, s21, v23
	s_mov_b32 s29, s27
                                        ; implicit-def: $vgpr24
                                        ; implicit-def: $vgpr6_vgpr7
	s_and_saveexec_b32 s21, vcc_lo
	s_cbranch_execz .LBB158_788
; %bb.560:
	v_mul_lo_u32 v2, v23, s18
	v_and_b32_e64 v24, 0xff, s13
	s_delay_alu instid0(VALU_DEP_1) | instskip(NEXT) | instid1(VALU_DEP_3)
	v_cmp_gt_i16_e32 vcc_lo, 11, v24
	v_ashrrev_i32_e32 v3, 31, v2
	v_add_co_u32 v6, s9, s16, v2
	s_delay_alu instid0(VALU_DEP_1)
	v_add_co_ci_u32_e64 v7, s9, s17, v3, s9
	s_cbranch_vccnz .LBB158_571
; %bb.561:
	v_cmp_lt_i16_e32 vcc_lo, 25, v24
	s_mov_b32 s28, -1
	s_mov_b32 s9, s27
	s_cbranch_vccz .LBB158_765
; %bb.562:
	v_cmp_lt_i16_e32 vcc_lo, 28, v24
	s_mov_b32 s9, s27
	s_cbranch_vccz .LBB158_752
; %bb.563:
	v_cmp_lt_i16_e32 vcc_lo, 43, v24
	;; [unrolled: 4-line block ×3, first 2 shown]
	s_mov_b32 s9, s27
	s_cbranch_vccz .LBB158_568
; %bb.565:
	v_cmp_eq_u16_e32 vcc_lo, 46, v24
	s_mov_b32 s9, -1
	s_cbranch_vccz .LBB158_567
; %bb.566:
	s_mov_b32 s9, 0
	global_store_b32 v[6:7], v11, off
.LBB158_567:
	s_mov_b32 s28, 0
.LBB158_568:
	s_delay_alu instid0(SALU_CYCLE_1)
	s_and_b32 vcc_lo, exec_lo, s28
	s_cbranch_vccz .LBB158_747
; %bb.569:
	v_cmp_eq_u16_e32 vcc_lo, 44, v24
	s_mov_b32 s9, -1
	s_cbranch_vccz .LBB158_747
; %bb.570:
	v_cndmask_b32_e64 v2, v22, 0xff, s8
	s_mov_b32 s9, 0
	s_mov_b32 s28, 0
	global_store_b8 v[6:7], v2, off
	s_branch .LBB158_748
.LBB158_571:
	s_mov_b32 s0, 0
	s_mov_b32 s5, -1
	s_mov_b32 s9, s27
	s_branch .LBB158_787
.LBB158_572:
	s_mov_b32 s6, -1
	s_mov_b32 s5, 0
                                        ; implicit-def: $sgpr7
.LBB158_573:
	v_mov_b32_e32 v5, s7
	s_and_not1_b32 vcc_lo, exec_lo, s6
                                        ; implicit-def: $sgpr6
	s_cbranch_vccnz .LBB158_575
; %bb.574:
	v_add_f32_e32 v4, 0x42800000, v4
	s_mov_b32 s6, 0
	s_delay_alu instid0(VALU_DEP_1) | instskip(NEXT) | instid1(VALU_DEP_1)
	v_and_b32_e32 v5, 0xff, v4
	v_cmp_ne_u32_e64 s5, 0, v5
.LBB158_575:
	v_mov_b32_e32 v6, s6
	s_delay_alu instid0(VALU_DEP_2)
	s_and_not1_b32 vcc_lo, exec_lo, s5
	s_cbranch_vccnz .LBB158_577
; %bb.576:
	v_mov_b32_e32 v6, v5
.LBB158_577:
	s_mov_b32 s5, 0
	global_store_b8 v[0:1], v6, off
.LBB158_578:
	s_and_b32 vcc_lo, exec_lo, s5
	s_cbranch_vccz .LBB158_590
; %bb.579:
	s_and_b32 s5, 0xffff, s19
	s_delay_alu instid0(SALU_CYCLE_1) | instskip(NEXT) | instid1(VALU_DEP_1)
	v_cvt_f32_u32_e32 v4, s5
	v_cmp_gt_u32_e32 vcc_lo, 0x43f00000, v4
	v_readfirstlane_b32 s5, v4
	s_cbranch_vccz .LBB158_582
; %bb.580:
	s_delay_alu instid0(VALU_DEP_1)
	s_cmp_gt_u32 s5, 0x3c7fffff
	s_cbranch_scc0 .LBB158_583
; %bb.581:
	s_bfe_u32 s6, s5, 0x10014
	s_delay_alu instid0(SALU_CYCLE_1) | instskip(NEXT) | instid1(SALU_CYCLE_1)
	s_add_i32 s6, s5, s6
	s_add_i32 s6, s6, 0x407ffff
	s_delay_alu instid0(SALU_CYCLE_1)
	s_and_b32 s7, s6, 0xff00000
	s_lshr_b32 s6, s6, 20
	s_cmp_lg_u32 s7, 0x7f00000
	s_cselect_b32 s7, s6, 0x7e
	s_mov_b32 s6, 0
	s_branch .LBB158_584
.LBB158_582:
	s_mov_b32 s6, -1
                                        ; implicit-def: $vgpr5
	s_branch .LBB158_587
.LBB158_583:
	s_mov_b32 s6, -1
                                        ; implicit-def: $sgpr7
.LBB158_584:
	v_mov_b32_e32 v5, s7
	s_and_not1_b32 vcc_lo, exec_lo, s6
	s_cbranch_vccnz .LBB158_586
; %bb.585:
	v_add_f32_e32 v5, 0x46800000, v4
.LBB158_586:
	s_mov_b32 s6, 0
.LBB158_587:
	s_delay_alu instid0(SALU_CYCLE_1)
	s_and_not1_b32 vcc_lo, exec_lo, s6
	s_cbranch_vccnz .LBB158_589
; %bb.588:
	s_cmp_gt_u32 s5, 0x7f800000
	s_movk_i32 s5, 0x7f
	s_delay_alu instid0(SALU_CYCLE_1) | instskip(NEXT) | instid1(SALU_CYCLE_1)
	s_cselect_b32 s5, s5, 0x7e
	v_mov_b32_e32 v5, s5
.LBB158_589:
	global_store_b8 v[0:1], v5, off
.LBB158_590:
	s_mov_b32 s5, 0
.LBB158_591:
	s_delay_alu instid0(SALU_CYCLE_1)
	s_and_not1_b32 vcc_lo, exec_lo, s5
	s_cbranch_vccnz .LBB158_603
; %bb.592:
	s_and_b32 s5, 0xffff, s19
	s_delay_alu instid0(SALU_CYCLE_1) | instskip(NEXT) | instid1(VALU_DEP_1)
	v_cvt_f32_u32_e32 v4, s5
	v_cmp_gt_u32_e32 vcc_lo, 0x47800000, v4
	v_readfirstlane_b32 s5, v4
	s_cbranch_vccz .LBB158_595
; %bb.593:
	s_delay_alu instid0(VALU_DEP_1)
	s_cmp_gt_u32 s5, 0x387fffff
	s_cbranch_scc0 .LBB158_596
; %bb.594:
	s_bfe_u32 s6, s5, 0x10015
	s_delay_alu instid0(SALU_CYCLE_1) | instskip(NEXT) | instid1(SALU_CYCLE_1)
	s_add_i32 s6, s5, s6
	s_add_i32 s6, s6, 0x80fffff
	s_delay_alu instid0(SALU_CYCLE_1)
	s_lshr_b32 s7, s6, 21
	s_mov_b32 s6, 0
	s_branch .LBB158_597
.LBB158_595:
	s_mov_b32 s6, -1
                                        ; implicit-def: $vgpr5
	s_branch .LBB158_600
.LBB158_596:
	s_mov_b32 s6, -1
                                        ; implicit-def: $sgpr7
.LBB158_597:
	v_mov_b32_e32 v5, s7
	s_and_not1_b32 vcc_lo, exec_lo, s6
	s_cbranch_vccnz .LBB158_599
; %bb.598:
	v_add_f32_e32 v5, 0x43000000, v4
.LBB158_599:
	s_mov_b32 s6, 0
.LBB158_600:
	s_delay_alu instid0(SALU_CYCLE_1)
	s_and_not1_b32 vcc_lo, exec_lo, s6
	s_cbranch_vccnz .LBB158_602
; %bb.601:
	s_cmp_gt_u32 s5, 0x7f800000
	s_movk_i32 s5, 0x7f
	s_delay_alu instid0(SALU_CYCLE_1) | instskip(NEXT) | instid1(SALU_CYCLE_1)
	s_cselect_b32 s5, s5, 0x7c
	v_mov_b32_e32 v5, s5
.LBB158_602:
	global_store_b8 v[0:1], v5, off
.LBB158_603:
	s_mov_b32 s5, 0
	s_mov_b32 s6, -1
.LBB158_604:
	s_and_not1_b32 vcc_lo, exec_lo, s5
	s_mov_b32 s5, 0
	s_cbranch_vccnz .LBB158_611
; %bb.605:
	v_cmp_lt_i16_e32 vcc_lo, 14, v2
	s_mov_b32 s5, -1
	s_cbranch_vccz .LBB158_609
; %bb.606:
	v_cmp_eq_u16_e32 vcc_lo, 15, v2
	s_mov_b32 s0, -1
	s_cbranch_vccz .LBB158_608
; %bb.607:
	s_and_b32 s0, 0xffff, s19
	s_mov_b32 s6, -1
	v_cvt_f32_u32_e32 v4, s0
	s_mov_b32 s0, 0
	s_delay_alu instid0(VALU_DEP_1) | instskip(NEXT) | instid1(VALU_DEP_1)
	v_bfe_u32 v5, v4, 16, 1
	v_add_nc_u32_e32 v4, v4, v5
	s_delay_alu instid0(VALU_DEP_1)
	v_add_nc_u32_e32 v4, 0x7fff, v4
	global_store_d16_hi_b16 v[0:1], v4, off
.LBB158_608:
	s_mov_b32 s5, 0
.LBB158_609:
	s_delay_alu instid0(SALU_CYCLE_1)
	s_and_b32 vcc_lo, exec_lo, s5
	s_mov_b32 s5, 0
	s_cbranch_vccz .LBB158_611
; %bb.610:
	v_cmp_ne_u16_e64 s0, 11, v2
	s_mov_b32 s5, -1
.LBB158_611:
	s_delay_alu instid0(VALU_DEP_1)
	s_and_b32 vcc_lo, exec_lo, s0
	s_cbranch_vccnz .LBB158_728
; %bb.612:
	s_and_not1_b32 vcc_lo, exec_lo, s5
	s_cbranch_vccnz .LBB158_614
.LBB158_613:
	v_cmp_ne_u16_e64 s0, s19, 0
	s_mov_b32 s6, -1
	s_delay_alu instid0(VALU_DEP_1)
	v_cndmask_b32_e64 v4, 0, 1, s0
	global_store_b8 v[0:1], v4, off
.LBB158_614:
.LBB158_615:
	s_and_not1_b32 vcc_lo, exec_lo, s6
	s_cbranch_vccnz .LBB158_683
.LBB158_616:
	v_add_nc_u32_e32 v3, s4, v3
	v_cmp_gt_i16_e32 vcc_lo, 11, v2
	s_delay_alu instid0(VALU_DEP_2) | instskip(SKIP_1) | instid1(VALU_DEP_1)
	v_ashrrev_i32_e32 v1, 31, v3
	v_add_co_u32 v0, s0, s16, v3
	v_add_co_ci_u32_e64 v1, s0, s17, v1, s0
	s_cbranch_vccnz .LBB158_644
; %bb.617:
	v_cmp_lt_i16_e32 vcc_lo, 25, v2
	s_mov_b32 s7, -1
	s_mov_b32 s5, 0
	s_mov_b32 s6, 0
	s_mov_b32 s0, 0
	s_cbranch_vccz .LBB158_740
; %bb.618:
	v_cmp_lt_i16_e32 vcc_lo, 28, v2
	s_cbranch_vccz .LBB158_633
; %bb.619:
	v_cmp_lt_i16_e32 vcc_lo, 43, v2
	;; [unrolled: 3-line block ×3, first 2 shown]
	s_cbranch_vccz .LBB158_623
; %bb.621:
	v_cmp_eq_u16_e32 vcc_lo, 46, v2
	s_mov_b32 s0, -1
	s_mov_b32 s7, 0
	s_cbranch_vccz .LBB158_623
; %bb.622:
	s_and_b32 s0, 0xffff, s19
	s_mov_b32 s6, -1
	v_cvt_f32_u32_e32 v4, s0
	s_mov_b32 s0, 0
	s_delay_alu instid0(VALU_DEP_1) | instskip(NEXT) | instid1(VALU_DEP_1)
	v_bfe_u32 v5, v4, 16, 1
	v_add_nc_u32_e32 v4, v4, v5
	s_delay_alu instid0(VALU_DEP_1) | instskip(NEXT) | instid1(VALU_DEP_1)
	v_add_nc_u32_e32 v4, 0x7fff, v4
	v_lshrrev_b32_e32 v4, 16, v4
	global_store_b32 v[0:1], v4, off
.LBB158_623:
	s_and_b32 vcc_lo, exec_lo, s7
	s_cbranch_vccz .LBB158_628
; %bb.624:
	v_cmp_eq_u16_e32 vcc_lo, 44, v2
	s_mov_b32 s0, -1
	s_cbranch_vccz .LBB158_628
; %bb.625:
	s_and_b32 s0, 0xffff, s19
	s_delay_alu instid0(SALU_CYCLE_1) | instskip(NEXT) | instid1(VALU_DEP_1)
	v_cvt_f32_u32_e32 v4, s0
	v_readfirstlane_b32 s6, v4
	v_mov_b32_e32 v4, 0xff
	s_delay_alu instid0(VALU_DEP_2) | instskip(NEXT) | instid1(SALU_CYCLE_1)
	s_lshr_b32 s0, s6, 23
	s_cmpk_eq_i32 s0, 0xff
	s_cbranch_scc1 .LBB158_627
; %bb.626:
	s_bitcmp1_b32 s6, 22
	s_cselect_b32 s7, -1, 0
	s_and_b32 s6, s6, 0x3fffff
	s_delay_alu instid0(SALU_CYCLE_1) | instskip(NEXT) | instid1(SALU_CYCLE_1)
	s_or_b32 s6, s0, s6
	s_cmp_lg_u32 s6, 0
	s_cselect_b32 s6, -1, 0
	s_delay_alu instid0(SALU_CYCLE_1) | instskip(NEXT) | instid1(SALU_CYCLE_1)
	s_and_b32 s6, s7, s6
	v_cndmask_b32_e64 v4, 0, 1, s6
	s_delay_alu instid0(VALU_DEP_1)
	v_add_nc_u32_e32 v4, s0, v4
.LBB158_627:
	s_mov_b32 s0, 0
	s_mov_b32 s6, -1
	global_store_b8 v[0:1], v4, off
.LBB158_628:
	s_mov_b32 s7, 0
.LBB158_629:
	s_delay_alu instid0(SALU_CYCLE_1)
	s_and_b32 vcc_lo, exec_lo, s7
	s_cbranch_vccz .LBB158_632
; %bb.630:
	v_cmp_eq_u16_e32 vcc_lo, 29, v2
	s_mov_b32 s0, -1
	s_cbranch_vccz .LBB158_632
; %bb.631:
	s_and_b32 s0, s19, 0xffff
	s_mov_b32 s6, -1
	v_dual_mov_b32 v4, s0 :: v_dual_mov_b32 v5, 0
	s_mov_b32 s0, 0
	global_store_b64 v[0:1], v[4:5], off
.LBB158_632:
	s_mov_b32 s7, 0
.LBB158_633:
	s_delay_alu instid0(SALU_CYCLE_1)
	s_and_b32 vcc_lo, exec_lo, s7
	s_cbranch_vccz .LBB158_739
; %bb.634:
	v_cmp_gt_i16_e32 vcc_lo, 27, v2
	s_mov_b32 s6, -1
	s_cbranch_vccnz .LBB158_640
; %bb.635:
	v_cmp_lt_i16_e32 vcc_lo, 27, v2
	s_cbranch_vccz .LBB158_637
; %bb.636:
	s_and_b32 s6, 0xffff, s19
	s_delay_alu instid0(SALU_CYCLE_1)
	v_mov_b32_e32 v4, s6
	s_mov_b32 s6, 0
	global_store_b32 v[0:1], v4, off
.LBB158_637:
	s_and_not1_b32 vcc_lo, exec_lo, s6
	s_cbranch_vccnz .LBB158_639
; %bb.638:
	v_mov_b32_e32 v4, s19
	global_store_b16 v[0:1], v4, off
.LBB158_639:
	s_mov_b32 s6, 0
.LBB158_640:
	s_delay_alu instid0(SALU_CYCLE_1)
	s_and_not1_b32 vcc_lo, exec_lo, s6
	s_cbranch_vccnz .LBB158_738
; %bb.641:
	s_and_b32 s6, 0xffff, s19
	v_mov_b32_e32 v6, 0x80
	v_cvt_f32_u32_e32 v4, s6
	s_delay_alu instid0(VALU_DEP_1)
	v_cmp_lt_u32_e32 vcc_lo, 0x437fffff, v4
	v_readfirstlane_b32 s6, v4
	s_cbranch_vccnz .LBB158_737
; %bb.642:
	s_delay_alu instid0(VALU_DEP_1)
	s_cmp_gt_u32 s6, 0x3bffffff
	s_cbranch_scc0 .LBB158_732
; %bb.643:
	s_bfe_u32 s7, s6, 0x10014
	s_delay_alu instid0(SALU_CYCLE_1) | instskip(SKIP_2) | instid1(SALU_CYCLE_1)
	s_add_i32 s6, s6, s7
	s_mov_b32 s7, 0
	s_add_i32 s6, s6, 0x487ffff
	s_lshr_b32 s8, s6, 20
	s_mov_b32 s6, -1
	s_branch .LBB158_733
.LBB158_644:
	s_mov_b32 s6, 0
	s_cbranch_execz .LBB158_838
; %bb.645:
	v_cmp_gt_i16_e32 vcc_lo, 5, v2
	s_mov_b32 s0, -1
	s_cbranch_vccnz .LBB158_666
; %bb.646:
	v_cmp_gt_i16_e32 vcc_lo, 8, v2
	s_cbranch_vccnz .LBB158_656
; %bb.647:
	v_cmp_gt_i16_e32 vcc_lo, 9, v2
	s_cbranch_vccnz .LBB158_653
; %bb.648:
	v_cmp_lt_i16_e32 vcc_lo, 9, v2
	s_cbranch_vccz .LBB158_650
; %bb.649:
	s_and_b32 s0, 0xffff, s19
	v_mov_b32_e32 v6, 0
	v_cvt_f64_u32_e32 v[4:5], s0
	s_mov_b32 s0, 0
	s_delay_alu instid0(VALU_DEP_2)
	v_mov_b32_e32 v7, v6
	global_store_b128 v[0:1], v[4:7], off
.LBB158_650:
	s_and_not1_b32 vcc_lo, exec_lo, s0
	s_cbranch_vccnz .LBB158_652
; %bb.651:
	s_and_b32 s0, 0xffff, s19
	v_mov_b32_e32 v5, 0
	v_cvt_f32_u32_e32 v4, s0
	global_store_b64 v[0:1], v[4:5], off
.LBB158_652:
	s_mov_b32 s0, 0
.LBB158_653:
	s_delay_alu instid0(SALU_CYCLE_1)
	s_and_not1_b32 vcc_lo, exec_lo, s0
	s_cbranch_vccnz .LBB158_655
; %bb.654:
	v_cvt_f16_u16_e32 v4, s19
	s_delay_alu instid0(VALU_DEP_1)
	v_and_b32_e32 v4, 0xffff, v4
	global_store_b32 v[0:1], v4, off
.LBB158_655:
	s_mov_b32 s0, 0
.LBB158_656:
	s_delay_alu instid0(SALU_CYCLE_1)
	s_and_not1_b32 vcc_lo, exec_lo, s0
	s_cbranch_vccnz .LBB158_665
; %bb.657:
	v_cmp_gt_i16_e32 vcc_lo, 6, v2
	s_mov_b32 s0, -1
	s_cbranch_vccnz .LBB158_663
; %bb.658:
	v_cmp_lt_i16_e32 vcc_lo, 6, v2
	s_cbranch_vccz .LBB158_660
; %bb.659:
	s_and_b32 s0, 0xffff, s19
	s_delay_alu instid0(SALU_CYCLE_1)
	v_cvt_f64_u32_e32 v[4:5], s0
	s_mov_b32 s0, 0
	global_store_b64 v[0:1], v[4:5], off
.LBB158_660:
	s_and_not1_b32 vcc_lo, exec_lo, s0
	s_cbranch_vccnz .LBB158_662
; %bb.661:
	s_and_b32 s0, 0xffff, s19
	s_delay_alu instid0(SALU_CYCLE_1)
	v_cvt_f32_u32_e32 v4, s0
	global_store_b32 v[0:1], v4, off
.LBB158_662:
	s_mov_b32 s0, 0
.LBB158_663:
	s_delay_alu instid0(SALU_CYCLE_1)
	s_and_not1_b32 vcc_lo, exec_lo, s0
	s_cbranch_vccnz .LBB158_665
; %bb.664:
	v_cvt_f16_u16_e32 v4, s19
	global_store_b16 v[0:1], v4, off
.LBB158_665:
	s_mov_b32 s0, 0
.LBB158_666:
	s_delay_alu instid0(SALU_CYCLE_1)
	s_and_not1_b32 vcc_lo, exec_lo, s0
	s_cbranch_vccnz .LBB158_682
; %bb.667:
	v_cmp_gt_i16_e32 vcc_lo, 2, v2
	s_mov_b32 s0, -1
	s_cbranch_vccnz .LBB158_677
; %bb.668:
	v_cmp_gt_i16_e32 vcc_lo, 3, v2
	s_cbranch_vccnz .LBB158_674
; %bb.669:
	v_cmp_lt_i16_e32 vcc_lo, 3, v2
	s_cbranch_vccz .LBB158_671
; %bb.670:
	s_and_b32 s0, s19, 0xffff
	s_delay_alu instid0(SALU_CYCLE_1)
	v_dual_mov_b32 v5, 0 :: v_dual_mov_b32 v4, s0
	s_mov_b32 s0, 0
	global_store_b64 v[0:1], v[4:5], off
.LBB158_671:
	s_and_not1_b32 vcc_lo, exec_lo, s0
	s_cbranch_vccnz .LBB158_673
; %bb.672:
	s_and_b32 s0, 0xffff, s19
	s_delay_alu instid0(SALU_CYCLE_1)
	v_mov_b32_e32 v4, s0
	global_store_b32 v[0:1], v4, off
.LBB158_673:
	s_mov_b32 s0, 0
.LBB158_674:
	s_delay_alu instid0(SALU_CYCLE_1)
	s_and_not1_b32 vcc_lo, exec_lo, s0
	s_cbranch_vccnz .LBB158_676
; %bb.675:
	v_mov_b32_e32 v4, s19
	global_store_b16 v[0:1], v4, off
.LBB158_676:
	s_mov_b32 s0, 0
.LBB158_677:
	s_delay_alu instid0(SALU_CYCLE_1)
	s_and_not1_b32 vcc_lo, exec_lo, s0
	s_cbranch_vccnz .LBB158_682
; %bb.678:
	v_cmp_lt_i16_e32 vcc_lo, 0, v2
	s_mov_b32 s0, -1
	s_cbranch_vccz .LBB158_680
; %bb.679:
	v_mov_b32_e32 v4, s19
	s_mov_b32 s0, 0
	global_store_b8 v[0:1], v4, off
.LBB158_680:
	s_and_not1_b32 vcc_lo, exec_lo, s0
	s_cbranch_vccnz .LBB158_682
; %bb.681:
	v_mov_b32_e32 v4, s19
	global_store_b8 v[0:1], v4, off
.LBB158_682:
	s_branch .LBB158_839
.LBB158_683:
	s_mov_b32 s0, 0
	s_mov_b32 s4, 0
                                        ; implicit-def: $vgpr2
                                        ; implicit-def: $vgpr0_vgpr1
.LBB158_684:
	s_and_not1_b32 s1, s1, exec_lo
	s_and_b32 s3, s3, exec_lo
	s_and_b32 s0, s0, exec_lo
	;; [unrolled: 1-line block ×3, first 2 shown]
	s_or_b32 s1, s1, s3
.LBB158_685:
	s_or_b32 exec_lo, exec_lo, s2
	s_and_saveexec_b32 s2, s1
	s_cbranch_execz .LBB158_688
; %bb.686:
	; divergent unreachable
	s_or_b32 exec_lo, exec_lo, s2
	s_and_saveexec_b32 s1, s12
	s_delay_alu instid0(SALU_CYCLE_1)
	s_xor_b32 s1, exec_lo, s1
	s_cbranch_execnz .LBB158_689
.LBB158_687:
	s_or_b32 exec_lo, exec_lo, s1
	s_and_saveexec_b32 s1, s0
	s_cbranch_execnz .LBB158_690
	s_branch .LBB158_727
.LBB158_688:
	s_or_b32 exec_lo, exec_lo, s2
	s_and_saveexec_b32 s1, s12
	s_delay_alu instid0(SALU_CYCLE_1)
	s_xor_b32 s1, exec_lo, s1
	s_cbranch_execz .LBB158_687
.LBB158_689:
	v_cmp_ne_u16_e64 s2, s19, 0
	s_delay_alu instid0(VALU_DEP_1)
	v_cndmask_b32_e64 v3, 0, 1, s2
	global_store_b8 v[0:1], v3, off
	s_or_b32 exec_lo, exec_lo, s1
	s_and_saveexec_b32 s1, s0
	s_cbranch_execz .LBB158_727
.LBB158_690:
	v_cmp_gt_i16_e32 vcc_lo, 5, v2
	s_mov_b32 s0, -1
	s_cbranch_vccnz .LBB158_711
; %bb.691:
	v_cmp_gt_i16_e32 vcc_lo, 8, v2
	s_cbranch_vccnz .LBB158_701
; %bb.692:
	v_cmp_gt_i16_e32 vcc_lo, 9, v2
	s_cbranch_vccnz .LBB158_698
; %bb.693:
	v_cmp_lt_i16_e32 vcc_lo, 9, v2
	s_cbranch_vccz .LBB158_695
; %bb.694:
	s_and_b32 s0, 0xffff, s19
	v_mov_b32_e32 v5, 0
	v_cvt_f64_u32_e32 v[3:4], s0
	s_mov_b32 s0, 0
	s_delay_alu instid0(VALU_DEP_2)
	v_mov_b32_e32 v6, v5
	global_store_b128 v[0:1], v[3:6], off
.LBB158_695:
	s_and_not1_b32 vcc_lo, exec_lo, s0
	s_cbranch_vccnz .LBB158_697
; %bb.696:
	s_and_b32 s0, 0xffff, s19
	v_mov_b32_e32 v4, 0
	v_cvt_f32_u32_e32 v3, s0
	global_store_b64 v[0:1], v[3:4], off
.LBB158_697:
	s_mov_b32 s0, 0
.LBB158_698:
	s_delay_alu instid0(SALU_CYCLE_1)
	s_and_not1_b32 vcc_lo, exec_lo, s0
	s_cbranch_vccnz .LBB158_700
; %bb.699:
	v_cvt_f16_u16_e32 v3, s19
	s_delay_alu instid0(VALU_DEP_1)
	v_and_b32_e32 v3, 0xffff, v3
	global_store_b32 v[0:1], v3, off
.LBB158_700:
	s_mov_b32 s0, 0
.LBB158_701:
	s_delay_alu instid0(SALU_CYCLE_1)
	s_and_not1_b32 vcc_lo, exec_lo, s0
	s_cbranch_vccnz .LBB158_710
; %bb.702:
	v_cmp_gt_i16_e32 vcc_lo, 6, v2
	s_mov_b32 s0, -1
	s_cbranch_vccnz .LBB158_708
; %bb.703:
	v_cmp_lt_i16_e32 vcc_lo, 6, v2
	s_cbranch_vccz .LBB158_705
; %bb.704:
	s_and_b32 s0, 0xffff, s19
	s_delay_alu instid0(SALU_CYCLE_1)
	v_cvt_f64_u32_e32 v[3:4], s0
	s_mov_b32 s0, 0
	global_store_b64 v[0:1], v[3:4], off
.LBB158_705:
	s_and_not1_b32 vcc_lo, exec_lo, s0
	s_cbranch_vccnz .LBB158_707
; %bb.706:
	s_and_b32 s0, 0xffff, s19
	s_delay_alu instid0(SALU_CYCLE_1)
	v_cvt_f32_u32_e32 v3, s0
	global_store_b32 v[0:1], v3, off
.LBB158_707:
	s_mov_b32 s0, 0
.LBB158_708:
	s_delay_alu instid0(SALU_CYCLE_1)
	s_and_not1_b32 vcc_lo, exec_lo, s0
	s_cbranch_vccnz .LBB158_710
; %bb.709:
	v_cvt_f16_u16_e32 v3, s19
	global_store_b16 v[0:1], v3, off
.LBB158_710:
	s_mov_b32 s0, 0
.LBB158_711:
	s_delay_alu instid0(SALU_CYCLE_1)
	s_and_not1_b32 vcc_lo, exec_lo, s0
	s_cbranch_vccnz .LBB158_727
; %bb.712:
	v_cmp_gt_i16_e32 vcc_lo, 2, v2
	s_mov_b32 s0, -1
	s_cbranch_vccnz .LBB158_722
; %bb.713:
	v_cmp_gt_i16_e32 vcc_lo, 3, v2
	s_cbranch_vccnz .LBB158_719
; %bb.714:
	v_cmp_lt_i16_e32 vcc_lo, 3, v2
	s_cbranch_vccz .LBB158_716
; %bb.715:
	s_and_b32 s0, s19, 0xffff
	s_delay_alu instid0(SALU_CYCLE_1)
	v_dual_mov_b32 v4, 0 :: v_dual_mov_b32 v3, s0
	s_mov_b32 s0, 0
	global_store_b64 v[0:1], v[3:4], off
.LBB158_716:
	s_and_not1_b32 vcc_lo, exec_lo, s0
	s_cbranch_vccnz .LBB158_718
; %bb.717:
	s_and_b32 s0, 0xffff, s19
	s_delay_alu instid0(SALU_CYCLE_1)
	v_mov_b32_e32 v3, s0
	global_store_b32 v[0:1], v3, off
.LBB158_718:
	s_mov_b32 s0, 0
.LBB158_719:
	s_delay_alu instid0(SALU_CYCLE_1)
	s_and_not1_b32 vcc_lo, exec_lo, s0
	s_cbranch_vccnz .LBB158_721
; %bb.720:
	v_mov_b32_e32 v3, s19
	global_store_b16 v[0:1], v3, off
.LBB158_721:
	s_mov_b32 s0, 0
.LBB158_722:
	s_delay_alu instid0(SALU_CYCLE_1)
	s_and_not1_b32 vcc_lo, exec_lo, s0
	s_cbranch_vccnz .LBB158_727
; %bb.723:
	v_cmp_lt_i16_e32 vcc_lo, 0, v2
	s_mov_b32 s0, -1
	s_cbranch_vccz .LBB158_725
; %bb.724:
	v_mov_b32_e32 v2, s19
	s_mov_b32 s0, 0
	global_store_b8 v[0:1], v2, off
.LBB158_725:
	s_and_not1_b32 vcc_lo, exec_lo, s0
	s_cbranch_vccnz .LBB158_727
; %bb.726:
	v_mov_b32_e32 v2, s19
	global_store_b8 v[0:1], v2, off
	s_nop 0
	s_sendmsg sendmsg(MSG_DEALLOC_VGPRS)
	s_endpgm
.LBB158_727:
	s_nop 0
	s_sendmsg sendmsg(MSG_DEALLOC_VGPRS)
	s_endpgm
.LBB158_728:
	s_cbranch_execnz .LBB158_730
; %bb.729:
	s_or_b32 s3, s3, exec_lo
	s_cbranch_execz .LBB158_613
	s_branch .LBB158_614
.LBB158_730:
	s_trap 2
	s_sendmsg_rtn_b32 s0, sendmsg(MSG_RTN_GET_DOORBELL)
	s_mov_b32 ttmp2, m0
	s_waitcnt lgkmcnt(0)
	s_and_b32 s0, s0, 0x3ff
	s_delay_alu instid0(SALU_CYCLE_1) | instskip(NEXT) | instid1(SALU_CYCLE_1)
	s_bitset1_b32 s0, 10
	s_mov_b32 m0, s0
	s_sendmsg sendmsg(MSG_INTERRUPT)
	s_mov_b32 m0, ttmp2
.LBB158_731:                            ; =>This Inner Loop Header: Depth=1
	s_sethalt 5
	s_branch .LBB158_731
.LBB158_732:
	s_mov_b32 s7, -1
	s_mov_b32 s6, 0
                                        ; implicit-def: $sgpr8
.LBB158_733:
	v_mov_b32_e32 v5, s8
	s_and_not1_b32 vcc_lo, exec_lo, s7
                                        ; implicit-def: $sgpr7
	s_cbranch_vccnz .LBB158_735
; %bb.734:
	v_add_f32_e32 v4, 0x46000000, v4
	s_mov_b32 s7, 0
	s_delay_alu instid0(VALU_DEP_1) | instskip(NEXT) | instid1(VALU_DEP_1)
	v_and_b32_e32 v5, 0xff, v4
	v_cmp_ne_u32_e64 s6, 0, v5
.LBB158_735:
	v_mov_b32_e32 v6, s7
	s_delay_alu instid0(VALU_DEP_2)
	s_and_not1_b32 vcc_lo, exec_lo, s6
	s_cbranch_vccnz .LBB158_737
; %bb.736:
	v_mov_b32_e32 v6, v5
.LBB158_737:
	global_store_b8 v[0:1], v6, off
.LBB158_738:
	s_mov_b32 s6, -1
.LBB158_739:
	s_mov_b32 s7, 0
.LBB158_740:
	s_delay_alu instid0(SALU_CYCLE_1)
	s_and_b32 vcc_lo, exec_lo, s7
	s_cbranch_vccz .LBB158_834
; %bb.741:
	v_cmp_lt_i16_e32 vcc_lo, 22, v2
	s_mov_b32 s5, -1
	s_cbranch_vccz .LBB158_827
; %bb.742:
	v_cmp_gt_i16_e32 vcc_lo, 24, v2
	s_cbranch_vccnz .LBB158_814
; %bb.743:
	v_cmp_lt_i16_e32 vcc_lo, 24, v2
	s_cbranch_vccz .LBB158_801
; %bb.744:
	s_and_b32 s5, 0xffff, s19
	v_mov_b32_e32 v6, 0x80
	v_cvt_f32_u32_e32 v4, s5
	s_delay_alu instid0(VALU_DEP_1)
	v_cmp_lt_u32_e32 vcc_lo, 0x477fffff, v4
	v_readfirstlane_b32 s5, v4
	s_cbranch_vccnz .LBB158_800
; %bb.745:
	s_delay_alu instid0(VALU_DEP_1)
	s_cmp_gt_u32 s5, 0x37ffffff
	s_cbranch_scc0 .LBB158_795
; %bb.746:
	s_bfe_u32 s6, s5, 0x10015
	s_delay_alu instid0(SALU_CYCLE_1) | instskip(SKIP_2) | instid1(SALU_CYCLE_1)
	s_add_i32 s5, s5, s6
	s_mov_b32 s6, 0
	s_add_i32 s5, s5, 0x88fffff
	s_lshr_b32 s7, s5, 21
	s_mov_b32 s5, -1
	s_branch .LBB158_796
.LBB158_747:
	s_mov_b32 s28, 0
.LBB158_748:
	s_delay_alu instid0(SALU_CYCLE_1)
	s_and_b32 vcc_lo, exec_lo, s28
	s_cbranch_vccz .LBB158_751
; %bb.749:
	v_cmp_eq_u16_e32 vcc_lo, 29, v24
	s_mov_b32 s9, -1
	s_cbranch_vccz .LBB158_751
; %bb.750:
	v_dual_mov_b32 v2, s10 :: v_dual_mov_b32 v3, s11
	s_mov_b32 s9, 0
	s_mov_b32 s28, 0
	global_store_b64 v[6:7], v[2:3], off
	s_branch .LBB158_752
.LBB158_751:
	s_mov_b32 s28, 0
.LBB158_752:
	s_delay_alu instid0(SALU_CYCLE_1)
	s_and_b32 vcc_lo, exec_lo, s28
	s_cbranch_vccz .LBB158_764
; %bb.753:
	v_cmp_gt_i16_e32 vcc_lo, 27, v24
	s_mov_b32 s8, -1
	s_cbranch_vccnz .LBB158_759
; %bb.754:
	v_cmp_lt_i16_e32 vcc_lo, 27, v24
	s_cbranch_vccz .LBB158_756
; %bb.755:
	v_mov_b32_e32 v2, s10
	s_mov_b32 s8, 0
	global_store_b32 v[6:7], v2, off
.LBB158_756:
	s_and_not1_b32 vcc_lo, exec_lo, s8
	s_cbranch_vccnz .LBB158_758
; %bb.757:
	v_mov_b32_e32 v2, s19
	global_store_b16 v[6:7], v2, off
.LBB158_758:
	s_mov_b32 s8, 0
.LBB158_759:
	s_delay_alu instid0(SALU_CYCLE_1)
	s_and_not1_b32 vcc_lo, exec_lo, s8
	s_cbranch_vccnz .LBB158_764
; %bb.760:
	v_mov_b32_e32 v2, 0x80
	s_and_not1_b32 vcc_lo, exec_lo, s7
	s_cbranch_vccnz .LBB158_763
; %bb.761:
	v_mov_b32_e32 v2, 0
	s_or_b32 s7, s5, s20
	s_delay_alu instid0(SALU_CYCLE_1)
	s_and_not1_b32 vcc_lo, exec_lo, s7
	s_cbranch_vccnz .LBB158_763
; %bb.762:
	v_cndmask_b32_e64 v2, v20, v21, s5
.LBB158_763:
	global_store_b8 v[6:7], v2, off
.LBB158_764:
	s_mov_b32 s28, 0
.LBB158_765:
	s_delay_alu instid0(SALU_CYCLE_1)
	s_and_b32 vcc_lo, exec_lo, s28
	s_mov_b32 s5, 0
	s_cbranch_vccz .LBB158_786
; %bb.766:
	v_cmp_lt_i16_e32 vcc_lo, 22, v24
	s_mov_b32 s7, -1
	s_cbranch_vccz .LBB158_779
; %bb.767:
	v_cmp_gt_i16_e32 vcc_lo, 24, v24
	s_cbranch_vccnz .LBB158_776
; %bb.768:
	v_cmp_lt_i16_e32 vcc_lo, 24, v24
	s_cbranch_vccz .LBB158_773
; %bb.769:
	v_mov_b32_e32 v2, 0x80
	s_and_not1_b32 vcc_lo, exec_lo, s6
	s_cbranch_vccnz .LBB158_772
; %bb.770:
	v_mov_b32_e32 v2, 0
	s_or_b32 s6, s4, s15
	s_delay_alu instid0(SALU_CYCLE_1)
	s_and_not1_b32 vcc_lo, exec_lo, s6
	s_cbranch_vccnz .LBB158_772
; %bb.771:
	v_cndmask_b32_e64 v2, v12, v19, s4
.LBB158_772:
	s_mov_b32 s7, 0
	global_store_b8 v[6:7], v2, off
.LBB158_773:
	s_and_b32 vcc_lo, exec_lo, s7
	s_cbranch_vccz .LBB158_775
; %bb.774:
	v_cndmask_b32_e64 v2, v16, v17, s3
	s_delay_alu instid0(VALU_DEP_1)
	v_cndmask_b32_e64 v2, v2, v18, s2
	global_store_b8 v[6:7], v2, off
.LBB158_775:
	s_mov_b32 s7, 0
.LBB158_776:
	s_delay_alu instid0(SALU_CYCLE_1)
	s_and_not1_b32 vcc_lo, exec_lo, s7
	s_cbranch_vccnz .LBB158_778
; %bb.777:
	v_cndmask_b32_e64 v2, v13, v14, s1
	s_delay_alu instid0(VALU_DEP_1)
	v_cndmask_b32_e64 v2, v2, v15, s0
	global_store_b8 v[6:7], v2, off
.LBB158_778:
	s_mov_b32 s7, 0
.LBB158_779:
	s_delay_alu instid0(SALU_CYCLE_1)
	s_and_not1_b32 vcc_lo, exec_lo, s7
	s_mov_b32 s0, 0
	s_cbranch_vccnz .LBB158_787
; %bb.780:
	v_cmp_lt_i16_e32 vcc_lo, 14, v24
	s_mov_b32 s0, -1
	s_cbranch_vccz .LBB158_784
; %bb.781:
	v_cmp_eq_u16_e32 vcc_lo, 15, v24
	s_mov_b32 s9, -1
	s_cbranch_vccz .LBB158_783
; %bb.782:
	s_mov_b32 s9, 0
	global_store_b16 v[6:7], v11, off
.LBB158_783:
	s_mov_b32 s0, 0
.LBB158_784:
	s_delay_alu instid0(SALU_CYCLE_1)
	s_and_b32 vcc_lo, exec_lo, s0
	s_mov_b32 s0, 0
	s_cbranch_vccz .LBB158_787
; %bb.785:
	v_cmp_ne_u16_e32 vcc_lo, 11, v24
	s_and_not1_b32 s1, s9, exec_lo
	s_mov_b32 s0, -1
	s_and_b32 s2, vcc_lo, exec_lo
	s_delay_alu instid0(SALU_CYCLE_1)
	s_or_b32 s9, s1, s2
	s_branch .LBB158_787
.LBB158_786:
	s_mov_b32 s0, 0
.LBB158_787:
	s_and_not1_b32 s1, s27, exec_lo
	s_and_b32 s2, s9, exec_lo
	s_and_b32 s28, s5, exec_lo
	;; [unrolled: 1-line block ×3, first 2 shown]
	s_or_b32 s29, s1, s2
.LBB158_788:
	s_or_b32 exec_lo, exec_lo, s21
	s_delay_alu instid0(SALU_CYCLE_1)
	s_and_not1_b32 s0, s27, exec_lo
	s_and_b32 s1, s29, exec_lo
	s_and_b32 s28, s28, exec_lo
	;; [unrolled: 1-line block ×3, first 2 shown]
	s_or_b32 s27, s0, s1
.LBB158_789:
	s_or_b32 exec_lo, exec_lo, s26
	s_delay_alu instid0(SALU_CYCLE_1)
	s_and_not1_b32 s0, s24, exec_lo
	s_and_b32 s1, s27, exec_lo
	s_and_b32 s28, s28, exec_lo
	;; [unrolled: 1-line block ×3, first 2 shown]
	s_or_b32 s24, s0, s1
.LBB158_790:
	s_or_b32 exec_lo, exec_lo, s25
	s_delay_alu instid0(SALU_CYCLE_1)
	s_and_not1_b32 s0, s22, exec_lo
	s_and_b32 s1, s24, exec_lo
	s_and_b32 s9, s28, exec_lo
	s_and_b32 s24, s26, exec_lo
	s_or_b32 s22, s0, s1
	s_or_b32 exec_lo, exec_lo, s23
	s_mov_b32 s0, 0
	s_and_saveexec_b32 s1, s22
	s_cbranch_execz .LBB158_110
.LBB158_791:
	s_cbranch_execnz .LBB158_793
; %bb.792:
	s_mov_b32 s0, exec_lo
	s_and_not1_b32 s24, s24, exec_lo
	s_or_b32 exec_lo, exec_lo, s1
	s_and_saveexec_b32 s1, s24
	s_delay_alu instid0(SALU_CYCLE_1)
	s_xor_b32 s1, exec_lo, s1
	s_cbranch_execnz .LBB158_111
	s_branch .LBB158_112
.LBB158_793:
	s_trap 2
	s_sendmsg_rtn_b32 s0, sendmsg(MSG_RTN_GET_DOORBELL)
	s_mov_b32 ttmp2, m0
	s_waitcnt lgkmcnt(0)
	s_and_b32 s0, s0, 0x3ff
	s_delay_alu instid0(SALU_CYCLE_1) | instskip(NEXT) | instid1(SALU_CYCLE_1)
	s_bitset1_b32 s0, 10
	s_mov_b32 m0, s0
	s_sendmsg sendmsg(MSG_INTERRUPT)
	s_mov_b32 m0, ttmp2
.LBB158_794:                            ; =>This Inner Loop Header: Depth=1
	s_sethalt 5
	s_branch .LBB158_794
.LBB158_795:
	s_mov_b32 s6, -1
	s_mov_b32 s5, 0
                                        ; implicit-def: $sgpr7
.LBB158_796:
	v_mov_b32_e32 v5, s7
	s_and_not1_b32 vcc_lo, exec_lo, s6
                                        ; implicit-def: $sgpr6
	s_cbranch_vccnz .LBB158_798
; %bb.797:
	v_add_f32_e32 v4, 0x42800000, v4
	s_mov_b32 s6, 0
	s_delay_alu instid0(VALU_DEP_1) | instskip(NEXT) | instid1(VALU_DEP_1)
	v_and_b32_e32 v5, 0xff, v4
	v_cmp_ne_u32_e64 s5, 0, v5
.LBB158_798:
	v_mov_b32_e32 v6, s6
	s_delay_alu instid0(VALU_DEP_2)
	s_and_not1_b32 vcc_lo, exec_lo, s5
	s_cbranch_vccnz .LBB158_800
; %bb.799:
	v_mov_b32_e32 v6, v5
.LBB158_800:
	s_mov_b32 s5, 0
	global_store_b8 v[0:1], v6, off
.LBB158_801:
	s_and_b32 vcc_lo, exec_lo, s5
	s_cbranch_vccz .LBB158_813
; %bb.802:
	s_and_b32 s5, 0xffff, s19
	s_delay_alu instid0(SALU_CYCLE_1) | instskip(NEXT) | instid1(VALU_DEP_1)
	v_cvt_f32_u32_e32 v4, s5
	v_cmp_gt_u32_e32 vcc_lo, 0x43f00000, v4
	v_readfirstlane_b32 s5, v4
	s_cbranch_vccz .LBB158_805
; %bb.803:
	s_delay_alu instid0(VALU_DEP_1)
	s_cmp_gt_u32 s5, 0x3c7fffff
	s_cbranch_scc0 .LBB158_806
; %bb.804:
	s_bfe_u32 s6, s5, 0x10014
	s_delay_alu instid0(SALU_CYCLE_1) | instskip(NEXT) | instid1(SALU_CYCLE_1)
	s_add_i32 s6, s5, s6
	s_add_i32 s6, s6, 0x407ffff
	s_delay_alu instid0(SALU_CYCLE_1)
	s_and_b32 s7, s6, 0xff00000
	s_lshr_b32 s6, s6, 20
	s_cmp_lg_u32 s7, 0x7f00000
	s_cselect_b32 s7, s6, 0x7e
	s_mov_b32 s6, 0
	s_branch .LBB158_807
.LBB158_805:
	s_mov_b32 s6, -1
                                        ; implicit-def: $vgpr5
	s_branch .LBB158_810
.LBB158_806:
	s_mov_b32 s6, -1
                                        ; implicit-def: $sgpr7
.LBB158_807:
	v_mov_b32_e32 v5, s7
	s_and_not1_b32 vcc_lo, exec_lo, s6
	s_cbranch_vccnz .LBB158_809
; %bb.808:
	v_add_f32_e32 v5, 0x46800000, v4
.LBB158_809:
	s_mov_b32 s6, 0
.LBB158_810:
	s_delay_alu instid0(SALU_CYCLE_1)
	s_and_not1_b32 vcc_lo, exec_lo, s6
	s_cbranch_vccnz .LBB158_812
; %bb.811:
	s_cmp_gt_u32 s5, 0x7f800000
	s_movk_i32 s5, 0x7f
	s_delay_alu instid0(SALU_CYCLE_1) | instskip(NEXT) | instid1(SALU_CYCLE_1)
	s_cselect_b32 s5, s5, 0x7e
	v_mov_b32_e32 v5, s5
.LBB158_812:
	global_store_b8 v[0:1], v5, off
.LBB158_813:
	s_mov_b32 s5, 0
.LBB158_814:
	s_delay_alu instid0(SALU_CYCLE_1)
	s_and_not1_b32 vcc_lo, exec_lo, s5
	s_cbranch_vccnz .LBB158_826
; %bb.815:
	s_and_b32 s5, 0xffff, s19
	s_delay_alu instid0(SALU_CYCLE_1) | instskip(NEXT) | instid1(VALU_DEP_1)
	v_cvt_f32_u32_e32 v4, s5
	v_cmp_gt_u32_e32 vcc_lo, 0x47800000, v4
	v_readfirstlane_b32 s5, v4
	s_cbranch_vccz .LBB158_818
; %bb.816:
	s_delay_alu instid0(VALU_DEP_1)
	s_cmp_gt_u32 s5, 0x387fffff
	s_cbranch_scc0 .LBB158_819
; %bb.817:
	s_bfe_u32 s6, s5, 0x10015
	s_delay_alu instid0(SALU_CYCLE_1) | instskip(NEXT) | instid1(SALU_CYCLE_1)
	s_add_i32 s6, s5, s6
	s_add_i32 s6, s6, 0x80fffff
	s_delay_alu instid0(SALU_CYCLE_1)
	s_lshr_b32 s7, s6, 21
	s_mov_b32 s6, 0
	s_branch .LBB158_820
.LBB158_818:
	s_mov_b32 s6, -1
                                        ; implicit-def: $vgpr5
	s_branch .LBB158_823
.LBB158_819:
	s_mov_b32 s6, -1
                                        ; implicit-def: $sgpr7
.LBB158_820:
	v_mov_b32_e32 v5, s7
	s_and_not1_b32 vcc_lo, exec_lo, s6
	s_cbranch_vccnz .LBB158_822
; %bb.821:
	v_add_f32_e32 v5, 0x43000000, v4
.LBB158_822:
	s_mov_b32 s6, 0
.LBB158_823:
	s_delay_alu instid0(SALU_CYCLE_1)
	s_and_not1_b32 vcc_lo, exec_lo, s6
	s_cbranch_vccnz .LBB158_825
; %bb.824:
	s_cmp_gt_u32 s5, 0x7f800000
	s_movk_i32 s5, 0x7f
	s_delay_alu instid0(SALU_CYCLE_1) | instskip(NEXT) | instid1(SALU_CYCLE_1)
	s_cselect_b32 s5, s5, 0x7c
	v_mov_b32_e32 v5, s5
.LBB158_825:
	global_store_b8 v[0:1], v5, off
.LBB158_826:
	s_mov_b32 s5, 0
	s_mov_b32 s6, -1
.LBB158_827:
	s_and_not1_b32 vcc_lo, exec_lo, s5
	s_mov_b32 s5, 0
	s_cbranch_vccnz .LBB158_834
; %bb.828:
	v_cmp_lt_i16_e32 vcc_lo, 14, v2
	s_mov_b32 s5, -1
	s_cbranch_vccz .LBB158_832
; %bb.829:
	v_cmp_eq_u16_e32 vcc_lo, 15, v2
	s_mov_b32 s0, -1
	s_cbranch_vccz .LBB158_831
; %bb.830:
	s_and_b32 s0, 0xffff, s19
	s_mov_b32 s6, -1
	v_cvt_f32_u32_e32 v4, s0
	s_mov_b32 s0, 0
	s_delay_alu instid0(VALU_DEP_1) | instskip(NEXT) | instid1(VALU_DEP_1)
	v_bfe_u32 v5, v4, 16, 1
	v_add_nc_u32_e32 v4, v4, v5
	s_delay_alu instid0(VALU_DEP_1)
	v_add_nc_u32_e32 v4, 0x7fff, v4
	global_store_d16_hi_b16 v[0:1], v4, off
.LBB158_831:
	s_mov_b32 s5, 0
.LBB158_832:
	s_delay_alu instid0(SALU_CYCLE_1)
	s_and_b32 vcc_lo, exec_lo, s5
	s_mov_b32 s5, 0
	s_cbranch_vccz .LBB158_834
; %bb.833:
	v_cmp_ne_u16_e64 s0, 11, v2
	s_mov_b32 s5, -1
.LBB158_834:
	s_delay_alu instid0(VALU_DEP_1)
	s_and_b32 vcc_lo, exec_lo, s0
	s_cbranch_vccnz .LBB158_869
; %bb.835:
	s_and_not1_b32 vcc_lo, exec_lo, s5
	s_cbranch_vccnz .LBB158_837
.LBB158_836:
	v_cmp_ne_u16_e64 s0, s19, 0
	s_mov_b32 s6, -1
	s_delay_alu instid0(VALU_DEP_1)
	v_cndmask_b32_e64 v4, 0, 1, s0
	global_store_b8 v[0:1], v4, off
.LBB158_837:
.LBB158_838:
	s_and_not1_b32 vcc_lo, exec_lo, s6
	s_cbranch_vccnz .LBB158_683
.LBB158_839:
	v_add_nc_u32_e32 v0, s4, v3
	v_cmp_gt_i16_e32 vcc_lo, 11, v2
	s_delay_alu instid0(VALU_DEP_2) | instskip(SKIP_1) | instid1(VALU_DEP_1)
	v_ashrrev_i32_e32 v1, 31, v0
	v_add_co_u32 v0, s0, s16, v0
	v_add_co_ci_u32_e64 v1, s0, s17, v1, s0
	s_cbranch_vccnz .LBB158_868
; %bb.840:
	v_cmp_lt_i16_e32 vcc_lo, 25, v2
	s_mov_b32 s5, -1
	s_mov_b32 s4, 0
	s_mov_b32 s0, 0
	s_cbranch_vccz .LBB158_880
; %bb.841:
	v_cmp_lt_i16_e32 vcc_lo, 28, v2
	s_cbranch_vccz .LBB158_857
; %bb.842:
	v_cmp_lt_i16_e32 vcc_lo, 43, v2
	;; [unrolled: 3-line block ×3, first 2 shown]
	s_cbranch_vccz .LBB158_847
; %bb.844:
	v_cmp_eq_u16_e32 vcc_lo, 46, v2
	s_mov_b32 s0, -1
	s_cbranch_vccz .LBB158_846
; %bb.845:
	s_and_b32 s0, 0xffff, s19
	s_delay_alu instid0(SALU_CYCLE_1) | instskip(SKIP_1) | instid1(VALU_DEP_1)
	v_cvt_f32_u32_e32 v3, s0
	s_mov_b32 s0, 0
	v_bfe_u32 v4, v3, 16, 1
	s_delay_alu instid0(VALU_DEP_1) | instskip(NEXT) | instid1(VALU_DEP_1)
	v_add_nc_u32_e32 v3, v3, v4
	v_add_nc_u32_e32 v3, 0x7fff, v3
	s_delay_alu instid0(VALU_DEP_1)
	v_lshrrev_b32_e32 v3, 16, v3
	global_store_b32 v[0:1], v3, off
.LBB158_846:
	s_mov_b32 s5, 0
.LBB158_847:
	s_delay_alu instid0(SALU_CYCLE_1)
	s_and_b32 vcc_lo, exec_lo, s5
	s_cbranch_vccz .LBB158_852
; %bb.848:
	v_cmp_eq_u16_e32 vcc_lo, 44, v2
	s_mov_b32 s0, -1
	s_cbranch_vccz .LBB158_852
; %bb.849:
	s_and_b32 s0, 0xffff, s19
	s_delay_alu instid0(SALU_CYCLE_1) | instskip(NEXT) | instid1(VALU_DEP_1)
	v_cvt_f32_u32_e32 v3, s0
	v_readfirstlane_b32 s5, v3
	v_mov_b32_e32 v3, 0xff
	s_delay_alu instid0(VALU_DEP_2) | instskip(NEXT) | instid1(SALU_CYCLE_1)
	s_lshr_b32 s0, s5, 23
	s_cmpk_eq_i32 s0, 0xff
	s_cbranch_scc1 .LBB158_851
; %bb.850:
	s_bitcmp1_b32 s5, 22
	s_cselect_b32 s6, -1, 0
	s_and_b32 s5, s5, 0x3fffff
	s_delay_alu instid0(SALU_CYCLE_1) | instskip(NEXT) | instid1(SALU_CYCLE_1)
	s_or_b32 s5, s0, s5
	s_cmp_lg_u32 s5, 0
	s_cselect_b32 s5, -1, 0
	s_delay_alu instid0(SALU_CYCLE_1) | instskip(NEXT) | instid1(SALU_CYCLE_1)
	s_and_b32 s5, s6, s5
	v_cndmask_b32_e64 v3, 0, 1, s5
	s_delay_alu instid0(VALU_DEP_1)
	v_add_nc_u32_e32 v3, s0, v3
.LBB158_851:
	s_mov_b32 s0, 0
	global_store_b8 v[0:1], v3, off
.LBB158_852:
	s_mov_b32 s5, 0
.LBB158_853:
	s_delay_alu instid0(SALU_CYCLE_1)
	s_and_b32 vcc_lo, exec_lo, s5
	s_cbranch_vccz .LBB158_856
; %bb.854:
	v_cmp_eq_u16_e32 vcc_lo, 29, v2
	s_mov_b32 s0, -1
	s_cbranch_vccz .LBB158_856
; %bb.855:
	s_and_b32 s0, s19, 0xffff
	s_delay_alu instid0(SALU_CYCLE_1)
	v_dual_mov_b32 v4, 0 :: v_dual_mov_b32 v3, s0
	s_mov_b32 s0, 0
	global_store_b64 v[0:1], v[3:4], off
.LBB158_856:
	s_mov_b32 s5, 0
.LBB158_857:
	s_delay_alu instid0(SALU_CYCLE_1)
	s_and_b32 vcc_lo, exec_lo, s5
	s_cbranch_vccz .LBB158_879
; %bb.858:
	v_cmp_gt_i16_e32 vcc_lo, 27, v2
	s_mov_b32 s5, -1
	s_cbranch_vccnz .LBB158_864
; %bb.859:
	v_cmp_lt_i16_e32 vcc_lo, 27, v2
	s_cbranch_vccz .LBB158_861
; %bb.860:
	s_and_b32 s5, 0xffff, s19
	s_delay_alu instid0(SALU_CYCLE_1)
	v_mov_b32_e32 v3, s5
	s_mov_b32 s5, 0
	global_store_b32 v[0:1], v3, off
.LBB158_861:
	s_and_not1_b32 vcc_lo, exec_lo, s5
	s_cbranch_vccnz .LBB158_863
; %bb.862:
	v_mov_b32_e32 v3, s19
	global_store_b16 v[0:1], v3, off
.LBB158_863:
	s_mov_b32 s5, 0
.LBB158_864:
	s_delay_alu instid0(SALU_CYCLE_1)
	s_and_not1_b32 vcc_lo, exec_lo, s5
	s_cbranch_vccnz .LBB158_879
; %bb.865:
	s_and_b32 s5, 0xffff, s19
	v_mov_b32_e32 v5, 0x80
	v_cvt_f32_u32_e32 v3, s5
	s_delay_alu instid0(VALU_DEP_1)
	v_cmp_lt_u32_e32 vcc_lo, 0x437fffff, v3
	v_readfirstlane_b32 s5, v3
	s_cbranch_vccnz .LBB158_878
; %bb.866:
	s_delay_alu instid0(VALU_DEP_1)
	s_cmp_gt_u32 s5, 0x3bffffff
	s_cbranch_scc0 .LBB158_873
; %bb.867:
	s_bfe_u32 s6, s5, 0x10014
	s_delay_alu instid0(SALU_CYCLE_1) | instskip(SKIP_2) | instid1(SALU_CYCLE_1)
	s_add_i32 s5, s5, s6
	s_mov_b32 s6, 0
	s_add_i32 s5, s5, 0x487ffff
	s_lshr_b32 s7, s5, 20
	s_mov_b32 s5, -1
	s_branch .LBB158_874
.LBB158_868:
	s_mov_b32 s4, 0
	s_mov_b32 s0, -1
	s_branch .LBB158_684
.LBB158_869:
	s_cbranch_execnz .LBB158_871
; %bb.870:
	s_or_b32 s3, s3, exec_lo
	s_cbranch_execz .LBB158_836
	s_branch .LBB158_837
.LBB158_871:
	s_trap 2
	s_sendmsg_rtn_b32 s0, sendmsg(MSG_RTN_GET_DOORBELL)
	s_mov_b32 ttmp2, m0
	s_waitcnt lgkmcnt(0)
	s_and_b32 s0, s0, 0x3ff
	s_delay_alu instid0(SALU_CYCLE_1) | instskip(NEXT) | instid1(SALU_CYCLE_1)
	s_bitset1_b32 s0, 10
	s_mov_b32 m0, s0
	s_sendmsg sendmsg(MSG_INTERRUPT)
	s_mov_b32 m0, ttmp2
.LBB158_872:                            ; =>This Inner Loop Header: Depth=1
	s_sethalt 5
	s_branch .LBB158_872
.LBB158_873:
	s_mov_b32 s6, -1
	s_mov_b32 s5, 0
                                        ; implicit-def: $sgpr7
.LBB158_874:
	v_mov_b32_e32 v4, s7
	s_and_not1_b32 vcc_lo, exec_lo, s6
                                        ; implicit-def: $sgpr6
	s_cbranch_vccnz .LBB158_876
; %bb.875:
	v_add_f32_e32 v3, 0x46000000, v3
	s_mov_b32 s6, 0
	s_delay_alu instid0(VALU_DEP_1) | instskip(NEXT) | instid1(VALU_DEP_1)
	v_and_b32_e32 v4, 0xff, v3
	v_cmp_ne_u32_e64 s5, 0, v4
.LBB158_876:
	v_mov_b32_e32 v5, s6
	s_delay_alu instid0(VALU_DEP_2)
	s_and_not1_b32 vcc_lo, exec_lo, s5
	s_cbranch_vccnz .LBB158_878
; %bb.877:
	v_mov_b32_e32 v5, v4
.LBB158_878:
	global_store_b8 v[0:1], v5, off
.LBB158_879:
	s_mov_b32 s5, 0
.LBB158_880:
	s_delay_alu instid0(SALU_CYCLE_1)
	s_and_b32 vcc_lo, exec_lo, s5
	s_cbranch_vccz .LBB158_926
; %bb.881:
	v_cmp_lt_i16_e32 vcc_lo, 22, v2
	s_mov_b32 s4, -1
	s_cbranch_vccz .LBB158_919
; %bb.882:
	v_cmp_gt_i16_e32 vcc_lo, 24, v2
	s_cbranch_vccnz .LBB158_906
; %bb.883:
	v_cmp_lt_i16_e32 vcc_lo, 24, v2
	s_cbranch_vccz .LBB158_893
; %bb.884:
	s_and_b32 s4, 0xffff, s19
	v_mov_b32_e32 v5, 0x80
	v_cvt_f32_u32_e32 v3, s4
	s_delay_alu instid0(VALU_DEP_1)
	v_cmp_lt_u32_e32 vcc_lo, 0x477fffff, v3
	v_readfirstlane_b32 s4, v3
	s_cbranch_vccnz .LBB158_892
; %bb.885:
	s_delay_alu instid0(VALU_DEP_1)
	s_cmp_gt_u32 s4, 0x37ffffff
	s_cbranch_scc0 .LBB158_887
; %bb.886:
	s_bfe_u32 s5, s4, 0x10015
	s_delay_alu instid0(SALU_CYCLE_1) | instskip(SKIP_2) | instid1(SALU_CYCLE_1)
	s_add_i32 s4, s4, s5
	s_mov_b32 s5, 0
	s_add_i32 s4, s4, 0x88fffff
	s_lshr_b32 s6, s4, 21
	s_mov_b32 s4, -1
	s_branch .LBB158_888
.LBB158_887:
	s_mov_b32 s5, -1
	s_mov_b32 s4, 0
                                        ; implicit-def: $sgpr6
.LBB158_888:
	v_mov_b32_e32 v4, s6
	s_and_not1_b32 vcc_lo, exec_lo, s5
                                        ; implicit-def: $sgpr5
	s_cbranch_vccnz .LBB158_890
; %bb.889:
	v_add_f32_e32 v3, 0x42800000, v3
	s_mov_b32 s5, 0
	s_delay_alu instid0(VALU_DEP_1) | instskip(NEXT) | instid1(VALU_DEP_1)
	v_and_b32_e32 v4, 0xff, v3
	v_cmp_ne_u32_e64 s4, 0, v4
.LBB158_890:
	v_mov_b32_e32 v5, s5
	s_delay_alu instid0(VALU_DEP_2)
	s_and_not1_b32 vcc_lo, exec_lo, s4
	s_cbranch_vccnz .LBB158_892
; %bb.891:
	v_mov_b32_e32 v5, v4
.LBB158_892:
	s_mov_b32 s4, 0
	global_store_b8 v[0:1], v5, off
.LBB158_893:
	s_and_b32 vcc_lo, exec_lo, s4
	s_cbranch_vccz .LBB158_905
; %bb.894:
	s_and_b32 s4, 0xffff, s19
	s_delay_alu instid0(SALU_CYCLE_1) | instskip(NEXT) | instid1(VALU_DEP_1)
	v_cvt_f32_u32_e32 v3, s4
	v_cmp_gt_u32_e32 vcc_lo, 0x43f00000, v3
	v_readfirstlane_b32 s4, v3
	s_cbranch_vccz .LBB158_897
; %bb.895:
	s_delay_alu instid0(VALU_DEP_1)
	s_cmp_gt_u32 s4, 0x3c7fffff
	s_cbranch_scc0 .LBB158_898
; %bb.896:
	s_bfe_u32 s5, s4, 0x10014
	s_delay_alu instid0(SALU_CYCLE_1) | instskip(NEXT) | instid1(SALU_CYCLE_1)
	s_add_i32 s5, s4, s5
	s_add_i32 s5, s5, 0x407ffff
	s_delay_alu instid0(SALU_CYCLE_1)
	s_and_b32 s6, s5, 0xff00000
	s_lshr_b32 s5, s5, 20
	s_cmp_lg_u32 s6, 0x7f00000
	s_cselect_b32 s6, s5, 0x7e
	s_mov_b32 s5, 0
	s_branch .LBB158_899
.LBB158_897:
	s_mov_b32 s5, -1
                                        ; implicit-def: $vgpr4
	s_branch .LBB158_902
.LBB158_898:
	s_mov_b32 s5, -1
                                        ; implicit-def: $sgpr6
.LBB158_899:
	v_mov_b32_e32 v4, s6
	s_and_not1_b32 vcc_lo, exec_lo, s5
	s_cbranch_vccnz .LBB158_901
; %bb.900:
	v_add_f32_e32 v4, 0x46800000, v3
.LBB158_901:
	s_mov_b32 s5, 0
.LBB158_902:
	s_delay_alu instid0(SALU_CYCLE_1)
	s_and_not1_b32 vcc_lo, exec_lo, s5
	s_cbranch_vccnz .LBB158_904
; %bb.903:
	s_cmp_gt_u32 s4, 0x7f800000
	s_movk_i32 s4, 0x7f
	s_delay_alu instid0(SALU_CYCLE_1) | instskip(NEXT) | instid1(SALU_CYCLE_1)
	s_cselect_b32 s4, s4, 0x7e
	v_mov_b32_e32 v4, s4
.LBB158_904:
	global_store_b8 v[0:1], v4, off
.LBB158_905:
	s_mov_b32 s4, 0
.LBB158_906:
	s_delay_alu instid0(SALU_CYCLE_1)
	s_and_not1_b32 vcc_lo, exec_lo, s4
	s_cbranch_vccnz .LBB158_918
; %bb.907:
	s_and_b32 s4, 0xffff, s19
	s_delay_alu instid0(SALU_CYCLE_1) | instskip(NEXT) | instid1(VALU_DEP_1)
	v_cvt_f32_u32_e32 v3, s4
	v_cmp_gt_u32_e32 vcc_lo, 0x47800000, v3
	v_readfirstlane_b32 s4, v3
	s_cbranch_vccz .LBB158_910
; %bb.908:
	s_delay_alu instid0(VALU_DEP_1)
	s_cmp_gt_u32 s4, 0x387fffff
	s_cbranch_scc0 .LBB158_911
; %bb.909:
	s_bfe_u32 s5, s4, 0x10015
	s_delay_alu instid0(SALU_CYCLE_1) | instskip(NEXT) | instid1(SALU_CYCLE_1)
	s_add_i32 s5, s4, s5
	s_add_i32 s5, s5, 0x80fffff
	s_delay_alu instid0(SALU_CYCLE_1)
	s_lshr_b32 s6, s5, 21
	s_mov_b32 s5, 0
	s_branch .LBB158_912
.LBB158_910:
	s_mov_b32 s5, -1
                                        ; implicit-def: $vgpr4
	s_branch .LBB158_915
.LBB158_911:
	s_mov_b32 s5, -1
                                        ; implicit-def: $sgpr6
.LBB158_912:
	v_mov_b32_e32 v4, s6
	s_and_not1_b32 vcc_lo, exec_lo, s5
	s_cbranch_vccnz .LBB158_914
; %bb.913:
	v_add_f32_e32 v4, 0x43000000, v3
.LBB158_914:
	s_mov_b32 s5, 0
.LBB158_915:
	s_delay_alu instid0(SALU_CYCLE_1)
	s_and_not1_b32 vcc_lo, exec_lo, s5
	s_cbranch_vccnz .LBB158_917
; %bb.916:
	s_cmp_gt_u32 s4, 0x7f800000
	s_movk_i32 s4, 0x7f
	s_delay_alu instid0(SALU_CYCLE_1) | instskip(NEXT) | instid1(SALU_CYCLE_1)
	s_cselect_b32 s4, s4, 0x7c
	v_mov_b32_e32 v4, s4
.LBB158_917:
	global_store_b8 v[0:1], v4, off
.LBB158_918:
	s_mov_b32 s4, 0
.LBB158_919:
	s_delay_alu instid0(SALU_CYCLE_1)
	s_and_not1_b32 vcc_lo, exec_lo, s4
	s_mov_b32 s4, 0
	s_cbranch_vccnz .LBB158_926
; %bb.920:
	v_cmp_lt_i16_e32 vcc_lo, 14, v2
	s_mov_b32 s4, -1
	s_cbranch_vccz .LBB158_924
; %bb.921:
	v_cmp_eq_u16_e32 vcc_lo, 15, v2
	s_mov_b32 s0, -1
	s_cbranch_vccz .LBB158_923
; %bb.922:
	s_and_b32 s0, 0xffff, s19
	s_delay_alu instid0(SALU_CYCLE_1) | instskip(SKIP_1) | instid1(VALU_DEP_1)
	v_cvt_f32_u32_e32 v3, s0
	s_mov_b32 s0, 0
	v_bfe_u32 v4, v3, 16, 1
	s_delay_alu instid0(VALU_DEP_1) | instskip(NEXT) | instid1(VALU_DEP_1)
	v_add_nc_u32_e32 v3, v3, v4
	v_add_nc_u32_e32 v3, 0x7fff, v3
	global_store_d16_hi_b16 v[0:1], v3, off
.LBB158_923:
	s_mov_b32 s4, 0
.LBB158_924:
	s_delay_alu instid0(SALU_CYCLE_1)
	s_and_b32 vcc_lo, exec_lo, s4
	s_mov_b32 s4, 0
	s_cbranch_vccz .LBB158_926
; %bb.925:
	v_cmp_ne_u16_e64 s0, 11, v2
	s_mov_b32 s4, -1
.LBB158_926:
	s_delay_alu instid0(VALU_DEP_1)
	s_and_b32 vcc_lo, exec_lo, s0
	s_cbranch_vccnz .LBB158_928
.LBB158_927:
	s_mov_b32 s0, 0
	s_branch .LBB158_684
.LBB158_928:
	s_cbranch_execnz .LBB158_930
; %bb.929:
	s_mov_b32 s4, 0
	s_or_b32 s3, s3, exec_lo
	s_branch .LBB158_927
.LBB158_930:
	s_trap 2
	s_sendmsg_rtn_b32 s0, sendmsg(MSG_RTN_GET_DOORBELL)
	s_mov_b32 ttmp2, m0
	s_waitcnt lgkmcnt(0)
	s_and_b32 s0, s0, 0x3ff
	s_delay_alu instid0(SALU_CYCLE_1) | instskip(NEXT) | instid1(SALU_CYCLE_1)
	s_bitset1_b32 s0, 10
	s_mov_b32 m0, s0
	s_sendmsg sendmsg(MSG_INTERRUPT)
	s_mov_b32 m0, ttmp2
.LBB158_931:                            ; =>This Inner Loop Header: Depth=1
	s_sethalt 5
	s_branch .LBB158_931
	.section	.rodata,"a",@progbits
	.p2align	6, 0x0
	.amdhsa_kernel _ZN2at6native32elementwise_kernel_manual_unrollILi128ELi4EZNS0_15gpu_kernel_implINS0_11FillFunctorItEEEEvRNS_18TensorIteratorBaseERKT_EUlibE_EEviT1_
		.amdhsa_group_segment_fixed_size 0
		.amdhsa_private_segment_fixed_size 0
		.amdhsa_kernarg_size 24
		.amdhsa_user_sgpr_count 15
		.amdhsa_user_sgpr_dispatch_ptr 0
		.amdhsa_user_sgpr_queue_ptr 0
		.amdhsa_user_sgpr_kernarg_segment_ptr 1
		.amdhsa_user_sgpr_dispatch_id 0
		.amdhsa_user_sgpr_private_segment_size 0
		.amdhsa_wavefront_size32 1
		.amdhsa_uses_dynamic_stack 0
		.amdhsa_enable_private_segment 0
		.amdhsa_system_sgpr_workgroup_id_x 1
		.amdhsa_system_sgpr_workgroup_id_y 0
		.amdhsa_system_sgpr_workgroup_id_z 0
		.amdhsa_system_sgpr_workgroup_info 0
		.amdhsa_system_vgpr_workitem_id 0
		.amdhsa_next_free_vgpr 25
		.amdhsa_next_free_sgpr 30
		.amdhsa_reserve_vcc 1
		.amdhsa_float_round_mode_32 0
		.amdhsa_float_round_mode_16_64 0
		.amdhsa_float_denorm_mode_32 3
		.amdhsa_float_denorm_mode_16_64 3
		.amdhsa_dx10_clamp 1
		.amdhsa_ieee_mode 1
		.amdhsa_fp16_overflow 0
		.amdhsa_workgroup_processor_mode 1
		.amdhsa_memory_ordered 1
		.amdhsa_forward_progress 0
		.amdhsa_shared_vgpr_count 0
		.amdhsa_exception_fp_ieee_invalid_op 0
		.amdhsa_exception_fp_denorm_src 0
		.amdhsa_exception_fp_ieee_div_zero 0
		.amdhsa_exception_fp_ieee_overflow 0
		.amdhsa_exception_fp_ieee_underflow 0
		.amdhsa_exception_fp_ieee_inexact 0
		.amdhsa_exception_int_div_zero 0
	.end_amdhsa_kernel
	.section	.text._ZN2at6native32elementwise_kernel_manual_unrollILi128ELi4EZNS0_15gpu_kernel_implINS0_11FillFunctorItEEEEvRNS_18TensorIteratorBaseERKT_EUlibE_EEviT1_,"axG",@progbits,_ZN2at6native32elementwise_kernel_manual_unrollILi128ELi4EZNS0_15gpu_kernel_implINS0_11FillFunctorItEEEEvRNS_18TensorIteratorBaseERKT_EUlibE_EEviT1_,comdat
.Lfunc_end158:
	.size	_ZN2at6native32elementwise_kernel_manual_unrollILi128ELi4EZNS0_15gpu_kernel_implINS0_11FillFunctorItEEEEvRNS_18TensorIteratorBaseERKT_EUlibE_EEviT1_, .Lfunc_end158-_ZN2at6native32elementwise_kernel_manual_unrollILi128ELi4EZNS0_15gpu_kernel_implINS0_11FillFunctorItEEEEvRNS_18TensorIteratorBaseERKT_EUlibE_EEviT1_
                                        ; -- End function
	.section	.AMDGPU.csdata,"",@progbits
; Kernel info:
; codeLenInByte = 13576
; NumSgprs: 32
; NumVgprs: 25
; ScratchSize: 0
; MemoryBound: 0
; FloatMode: 240
; IeeeMode: 1
; LDSByteSize: 0 bytes/workgroup (compile time only)
; SGPRBlocks: 3
; VGPRBlocks: 3
; NumSGPRsForWavesPerEU: 32
; NumVGPRsForWavesPerEU: 25
; Occupancy: 16
; WaveLimiterHint : 0
; COMPUTE_PGM_RSRC2:SCRATCH_EN: 0
; COMPUTE_PGM_RSRC2:USER_SGPR: 15
; COMPUTE_PGM_RSRC2:TRAP_HANDLER: 0
; COMPUTE_PGM_RSRC2:TGID_X_EN: 1
; COMPUTE_PGM_RSRC2:TGID_Y_EN: 0
; COMPUTE_PGM_RSRC2:TGID_Z_EN: 0
; COMPUTE_PGM_RSRC2:TIDIG_COMP_CNT: 0
	.section	.text._ZN2at6native32elementwise_kernel_manual_unrollILi128ELi4EZNS0_15gpu_kernel_implINS0_11FillFunctorItEEEEvRNS_18TensorIteratorBaseERKT_EUlibE0_EEviT1_,"axG",@progbits,_ZN2at6native32elementwise_kernel_manual_unrollILi128ELi4EZNS0_15gpu_kernel_implINS0_11FillFunctorItEEEEvRNS_18TensorIteratorBaseERKT_EUlibE0_EEviT1_,comdat
	.protected	_ZN2at6native32elementwise_kernel_manual_unrollILi128ELi4EZNS0_15gpu_kernel_implINS0_11FillFunctorItEEEEvRNS_18TensorIteratorBaseERKT_EUlibE0_EEviT1_ ; -- Begin function _ZN2at6native32elementwise_kernel_manual_unrollILi128ELi4EZNS0_15gpu_kernel_implINS0_11FillFunctorItEEEEvRNS_18TensorIteratorBaseERKT_EUlibE0_EEviT1_
	.globl	_ZN2at6native32elementwise_kernel_manual_unrollILi128ELi4EZNS0_15gpu_kernel_implINS0_11FillFunctorItEEEEvRNS_18TensorIteratorBaseERKT_EUlibE0_EEviT1_
	.p2align	8
	.type	_ZN2at6native32elementwise_kernel_manual_unrollILi128ELi4EZNS0_15gpu_kernel_implINS0_11FillFunctorItEEEEvRNS_18TensorIteratorBaseERKT_EUlibE0_EEviT1_,@function
_ZN2at6native32elementwise_kernel_manual_unrollILi128ELi4EZNS0_15gpu_kernel_implINS0_11FillFunctorItEEEEvRNS_18TensorIteratorBaseERKT_EUlibE0_EEviT1_: ; @_ZN2at6native32elementwise_kernel_manual_unrollILi128ELi4EZNS0_15gpu_kernel_implINS0_11FillFunctorItEEEEvRNS_18TensorIteratorBaseERKT_EUlibE0_EEviT1_
; %bb.0:
	s_clause 0x1
	s_load_b32 s11, s[0:1], 0x8
	s_load_b32 s42, s[0:1], 0x0
	v_lshl_or_b32 v9, s15, 9, v0
	s_or_b32 s16, s0, 8
	s_mov_b32 s28, -1
	s_mov_b32 s34, 0
	s_mov_b32 s17, s1
	v_or_b32_e32 v4, 0x180, v9
	s_mov_b32 s6, 0
	s_mov_b32 s2, exec_lo
	s_waitcnt lgkmcnt(0)
	s_add_i32 s33, s11, -1
	s_delay_alu instid0(SALU_CYCLE_1)
	s_cmp_gt_u32 s33, 1
	s_cselect_b32 s35, -1, 0
	v_cmpx_le_i32_e64 s42, v4
	s_xor_b32 s36, exec_lo, s2
	s_cbranch_execz .LBB159_159
; %bb.1:
	s_clause 0x1
	s_load_b32 s37, s[16:17], 0x110
	s_load_b32 s2, s[0:1], 0x118
	s_cmp_lg_u32 s11, 0
	s_clause 0x1
	s_load_b64 s[22:23], s[16:17], 0xc4
	s_load_b64 s[20:21], s[16:17], 0x108
	s_cselect_b32 s44, -1, 0
	s_add_u32 s26, s16, 0xc4
	s_addc_u32 s27, s17, 0
	s_min_u32 s43, s33, 15
	s_cmp_gt_u32 s11, 1
	s_clause 0x1
	s_load_b128 s[12:15], s[16:17], 0x4
	s_load_b64 s[24:25], s[16:17], 0x14
	s_cselect_b32 s41, -1, 0
	s_mov_b32 s47, 0
	s_mov_b32 s45, 0
	s_mov_b32 s46, exec_lo
	s_waitcnt lgkmcnt(0)
	s_and_b32 s18, s37, 0xffff
	s_lshr_b32 s40, s2, 16
	v_cvt_f32_u32_e32 v4, s18
	v_cvt_f64_u32_e32 v[0:1], s18
	v_cmp_ne_u16_e64 s19, s37, 0
	s_delay_alu instid0(VALU_DEP_3)
	v_lshrrev_b32_e32 v2, 23, v4
	v_and_b32_e32 v5, 0x3fffff, v4
	v_and_b32_e32 v3, 0x400000, v4
	v_bfe_u32 v6, v4, 20, 1
	v_add_f32_e32 v14, 0x42800000, v4
	v_bfe_u32 v7, v4, 21, 1
	v_or_b32_e32 v5, v2, v5
	v_cmp_ne_u32_e32 vcc_lo, 0, v3
	v_add_nc_u32_e32 v3, v4, v6
	v_cmp_eq_u32_e64 s10, 0xff, v2
	v_dual_add_f32 v21, 0x46000000, v4 :: v_dual_add_nc_u32 v6, v4, v7
	v_cmp_ne_u32_e64 s3, 0, v5
	s_delay_alu instid0(VALU_DEP_4) | instskip(SKIP_1) | instid1(VALU_DEP_4)
	v_add_nc_u32_e32 v5, 0x487ffff, v3
	v_add_nc_u32_e32 v3, 0x407ffff, v3
	v_readfirstlane_b32 s5, v21
	v_readfirstlane_b32 s6, v14
	s_and_b32 s3, vcc_lo, s3
	v_lshrrev_b32_e32 v22, 20, v5
	v_cndmask_b32_e64 v8, 0, 1, s3
	v_bfe_u32 v5, v4, 16, 1
	v_add_f32_e32 v18, 0x46800000, v4
	s_and_b32 s5, s5, 0xff
	v_add_nc_u32_e32 v7, 0x88fffff, v6
	v_add_nc_u32_e32 v23, v2, v8
	v_and_b32_e32 v2, 0xff00000, v3
	v_lshrrev_b32_e32 v3, 20, v3
	v_cvt_f16_u16_e32 v8, s37
	s_cmp_lg_u32 s5, 0
	v_cmp_gt_u32_e64 s9, 0x43800000, v4
	v_cmp_ne_u32_e32 vcc_lo, 0x7f00000, v2
	v_add_nc_u32_e32 v2, 0x80fffff, v6
	s_cselect_b32 s39, -1, 0
	s_and_b32 s3, s6, 0xff
	v_cmp_lt_u32_e64 s8, 0x3bffffff, v4
	v_cndmask_b32_e32 v17, 0x7e, v3, vcc_lo
	v_add_nc_u32_e32 v3, v4, v5
	v_mov_b32_e32 v5, 0x7f
	v_lshrrev_b32_e32 v13, 21, v2
	v_cmp_lt_u32_e32 vcc_lo, 0x7f800000, v4
	v_cmp_lt_u32_e64 s2, 0x477fffff, v4
	v_add_nc_u32_e32 v2, 0x7fff, v3
	v_cmp_gt_u32_e64 s7, 0x47800000, v4
	v_cmp_lt_u32_e64 s4, 0x37ffffff, v4
	v_cndmask_b32_e32 v16, 0x7c, v5, vcc_lo
	v_lshrrev_b32_e32 v20, 21, v7
	s_cmp_lg_u32 s3, 0
	v_cmp_lt_u32_e64 s5, 0x43efffff, v4
	v_cmp_gt_u32_e64 s6, 0x3c800000, v4
	v_cmp_gt_u32_e64 s3, 0x38800000, v4
	v_cndmask_b32_e32 v19, 0x7e, v5, vcc_lo
	v_add_f32_e32 v15, 0x43000000, v4
	v_lshrrev_b32_e32 v12, 16, v2
	v_cndmask_b32_e64 v11, 0, 1, s19
	v_and_b32_e32 v10, 0xffff, v8
	s_mov_b32 s19, s47
	s_cselect_b32 s38, -1, 0
	v_cmpx_gt_i32_e64 s42, v9
	s_cbranch_execz .LBB159_110
; %bb.2:
	s_and_not1_b32 vcc_lo, exec_lo, s35
	s_cbranch_vccnz .LBB159_7
; %bb.3:
	v_mov_b32_e32 v2, 0
	s_and_not1_b32 vcc_lo, exec_lo, s44
	s_cbranch_vccnz .LBB159_12
; %bb.4:
	s_add_i32 s48, s43, 1
	s_cmp_eq_u32 s33, 2
	s_cbranch_scc1 .LBB159_8
; %bb.5:
	v_dual_mov_b32 v2, 0 :: v_dual_mov_b32 v3, v9
	s_and_b32 s45, s48, 28
	s_mov_b32 s49, 0
	s_mov_b64 s[28:29], s[16:17]
	s_mov_b64 s[30:31], s[26:27]
.LBB159_6:                              ; =>This Inner Loop Header: Depth=1
	s_clause 0x1
	s_load_b256 s[52:59], s[28:29], 0x4
	s_load_b128 s[60:63], s[28:29], 0x24
	s_load_b128 s[64:67], s[30:31], 0x0
	s_add_u32 s28, s28, 48
	s_addc_u32 s29, s29, 0
	s_add_i32 s49, s49, 4
	s_add_u32 s30, s30, 16
	s_addc_u32 s31, s31, 0
	s_cmp_lg_u32 s45, s49
	s_waitcnt lgkmcnt(0)
	v_mul_hi_u32 v5, s53, v3
	s_delay_alu instid0(VALU_DEP_1) | instskip(NEXT) | instid1(VALU_DEP_1)
	v_add_nc_u32_e32 v5, v3, v5
	v_lshrrev_b32_e32 v5, s54, v5
	s_delay_alu instid0(VALU_DEP_1) | instskip(SKIP_1) | instid1(VALU_DEP_2)
	v_mul_hi_u32 v6, s56, v5
	v_mul_lo_u32 v25, v5, s52
	v_add_nc_u32_e32 v6, v5, v6
	s_delay_alu instid0(VALU_DEP_2) | instskip(NEXT) | instid1(VALU_DEP_2)
	v_sub_nc_u32_e32 v25, v3, v25
	v_lshrrev_b32_e32 v6, s57, v6
	s_delay_alu instid0(VALU_DEP_2) | instskip(NEXT) | instid1(VALU_DEP_2)
	v_mul_lo_u32 v25, v25, s64
	v_mul_hi_u32 v7, s59, v6
	v_mul_lo_u32 v26, v6, s55
	s_delay_alu instid0(VALU_DEP_2) | instskip(NEXT) | instid1(VALU_DEP_2)
	v_add_nc_u32_e32 v7, v6, v7
	v_sub_nc_u32_e32 v5, v5, v26
	s_delay_alu instid0(VALU_DEP_2) | instskip(NEXT) | instid1(VALU_DEP_2)
	v_lshrrev_b32_e32 v7, s60, v7
	v_mul_lo_u32 v5, v5, s65
	s_delay_alu instid0(VALU_DEP_2) | instskip(NEXT) | instid1(VALU_DEP_2)
	v_mul_hi_u32 v24, s62, v7
	v_add3_u32 v2, v25, v2, v5
	s_delay_alu instid0(VALU_DEP_2) | instskip(NEXT) | instid1(VALU_DEP_1)
	v_add_nc_u32_e32 v24, v7, v24
	v_lshrrev_b32_e32 v3, s63, v24
	v_mul_lo_u32 v24, v7, s58
	s_delay_alu instid0(VALU_DEP_2) | instskip(NEXT) | instid1(VALU_DEP_2)
	v_mul_lo_u32 v27, v3, s61
	v_sub_nc_u32_e32 v6, v6, v24
	s_delay_alu instid0(VALU_DEP_2) | instskip(NEXT) | instid1(VALU_DEP_2)
	v_sub_nc_u32_e32 v7, v7, v27
	v_mul_lo_u32 v6, v6, s66
	s_delay_alu instid0(VALU_DEP_2) | instskip(NEXT) | instid1(VALU_DEP_1)
	v_mul_lo_u32 v7, v7, s67
	v_add3_u32 v2, v6, v2, v7
	s_cbranch_scc1 .LBB159_6
	s_branch .LBB159_9
.LBB159_7:
                                        ; implicit-def: $vgpr2
	s_and_not1_b32 vcc_lo, exec_lo, s28
	s_cbranch_vccz .LBB159_13
	s_branch .LBB159_15
.LBB159_8:
	v_mov_b32_e32 v3, v9
.LBB159_9:
	s_and_b32 s48, s48, 3
	s_delay_alu instid0(SALU_CYCLE_1)
	s_cmp_eq_u32 s48, 0
	s_cbranch_scc1 .LBB159_12
; %bb.10:
	s_lshl_b32 s28, s45, 2
	s_mul_i32 s30, s45, 12
	s_add_u32 s28, s28, s16
	s_addc_u32 s29, s17, 0
	s_add_u32 s28, s28, 0xc4
	s_addc_u32 s29, s29, 0
	s_add_u32 s30, s16, s30
	s_addc_u32 s31, s17, 0
	.p2align	6
.LBB159_11:                             ; =>This Inner Loop Header: Depth=1
	s_clause 0x1
	s_load_b64 s[50:51], s[30:31], 0x4
	s_load_b32 s45, s[30:31], 0xc
	s_load_b32 s49, s[28:29], 0x0
	s_add_u32 s30, s30, 12
	s_addc_u32 s31, s31, 0
	s_add_u32 s28, s28, 4
	s_addc_u32 s29, s29, 0
	s_add_i32 s48, s48, -1
	s_delay_alu instid0(SALU_CYCLE_1) | instskip(SKIP_2) | instid1(VALU_DEP_1)
	s_cmp_lg_u32 s48, 0
	s_waitcnt lgkmcnt(0)
	v_mul_hi_u32 v5, s51, v3
	v_add_nc_u32_e32 v5, v3, v5
	s_delay_alu instid0(VALU_DEP_1) | instskip(NEXT) | instid1(VALU_DEP_1)
	v_lshrrev_b32_e32 v7, s45, v5
	v_mul_lo_u32 v5, v7, s50
	s_delay_alu instid0(VALU_DEP_1) | instskip(NEXT) | instid1(VALU_DEP_1)
	v_sub_nc_u32_e32 v3, v3, v5
	v_mad_u64_u32 v[5:6], null, v3, s49, v[2:3]
	s_delay_alu instid0(VALU_DEP_1)
	v_dual_mov_b32 v3, v7 :: v_dual_mov_b32 v2, v5
	s_cbranch_scc1 .LBB159_11
.LBB159_12:
	s_cbranch_execnz .LBB159_15
.LBB159_13:
	v_mul_hi_u32 v2, s13, v9
	s_and_not1_b32 vcc_lo, exec_lo, s41
	s_delay_alu instid0(VALU_DEP_1) | instskip(NEXT) | instid1(VALU_DEP_1)
	v_add_nc_u32_e32 v2, v9, v2
	v_lshrrev_b32_e32 v3, s14, v2
	s_delay_alu instid0(VALU_DEP_1) | instskip(NEXT) | instid1(VALU_DEP_1)
	v_mul_lo_u32 v2, v3, s12
	v_sub_nc_u32_e32 v2, v9, v2
	s_delay_alu instid0(VALU_DEP_1)
	v_mul_lo_u32 v2, v2, s22
	s_cbranch_vccnz .LBB159_15
; %bb.14:
	v_mul_hi_u32 v5, s24, v3
	s_delay_alu instid0(VALU_DEP_1) | instskip(NEXT) | instid1(VALU_DEP_1)
	v_add_nc_u32_e32 v5, v3, v5
	v_lshrrev_b32_e32 v5, s25, v5
	s_delay_alu instid0(VALU_DEP_1) | instskip(NEXT) | instid1(VALU_DEP_1)
	v_mul_lo_u32 v5, v5, s15
	v_sub_nc_u32_e32 v3, v3, v5
	s_delay_alu instid0(VALU_DEP_1) | instskip(NEXT) | instid1(VALU_DEP_1)
	v_mad_u64_u32 v[5:6], null, v3, s23, v[2:3]
	v_mov_b32_e32 v2, v5
.LBB159_15:
	v_and_b32_e64 v24, 0xff, s40
	s_delay_alu instid0(VALU_DEP_2) | instskip(NEXT) | instid1(VALU_DEP_1)
	v_add_co_u32 v6, s29, s20, v2
	v_add_co_ci_u32_e64 v7, null, s21, 0, s29
	s_delay_alu instid0(VALU_DEP_3)
	v_cmp_gt_i16_e32 vcc_lo, 11, v24
	s_mov_b32 s28, 0
	s_mov_b32 s30, -1
	s_mov_b32 s29, 0
	s_cbranch_vccnz .LBB159_69
; %bb.16:
	v_cmp_lt_i16_e32 vcc_lo, 25, v24
	s_cbranch_vccz .LBB159_44
; %bb.17:
	v_cmp_lt_i16_e32 vcc_lo, 28, v24
	s_cbranch_vccz .LBB159_30
	;; [unrolled: 3-line block ×4, first 2 shown]
; %bb.20:
	v_cmp_eq_u16_e32 vcc_lo, 46, v24
	s_mov_b32 s30, 0
	s_mov_b32 s28, -1
	s_cbranch_vccz .LBB159_22
; %bb.21:
	s_mov_b32 s29, -1
	s_mov_b32 s28, 0
	global_store_b32 v[6:7], v12, off
.LBB159_22:
	s_and_b32 vcc_lo, exec_lo, s30
	s_cbranch_vccz .LBB159_25
; %bb.23:
	v_cmp_eq_u16_e32 vcc_lo, 44, v24
	s_mov_b32 s28, -1
	s_cbranch_vccz .LBB159_25
; %bb.24:
	v_cndmask_b32_e64 v2, v23, 0xff, s10
	s_mov_b32 s29, -1
	s_mov_b32 s28, 0
	global_store_b8 v[6:7], v2, off
.LBB159_25:
	s_mov_b32 s30, 0
.LBB159_26:
	s_delay_alu instid0(SALU_CYCLE_1)
	s_and_b32 vcc_lo, exec_lo, s30
	s_cbranch_vccz .LBB159_29
; %bb.27:
	v_cmp_eq_u16_e32 vcc_lo, 29, v24
	s_mov_b32 s28, -1
	s_cbranch_vccz .LBB159_29
; %bb.28:
	v_dual_mov_b32 v2, s18 :: v_dual_mov_b32 v3, s19
	s_mov_b32 s29, -1
	s_mov_b32 s28, 0
	global_store_b64 v[6:7], v[2:3], off
.LBB159_29:
	s_mov_b32 s30, 0
.LBB159_30:
	s_delay_alu instid0(SALU_CYCLE_1)
	s_and_b32 vcc_lo, exec_lo, s30
	s_cbranch_vccz .LBB159_43
; %bb.31:
	v_cmp_gt_i16_e32 vcc_lo, 27, v24
	s_mov_b32 s29, -1
	s_cbranch_vccnz .LBB159_37
; %bb.32:
	v_cmp_lt_i16_e32 vcc_lo, 27, v24
	s_cbranch_vccz .LBB159_34
; %bb.33:
	v_mov_b32_e32 v2, s18
	s_mov_b32 s29, 0
	global_store_b32 v[6:7], v2, off
.LBB159_34:
	s_and_not1_b32 vcc_lo, exec_lo, s29
	s_cbranch_vccnz .LBB159_36
; %bb.35:
	v_mov_b32_e32 v2, s37
	global_store_b16 v[6:7], v2, off
.LBB159_36:
	s_mov_b32 s29, 0
.LBB159_37:
	s_delay_alu instid0(SALU_CYCLE_1)
	s_and_not1_b32 vcc_lo, exec_lo, s29
	s_cbranch_vccnz .LBB159_42
; %bb.38:
	v_mov_b32_e32 v2, 0x80
	s_and_not1_b32 vcc_lo, exec_lo, s9
	s_cbranch_vccnz .LBB159_41
; %bb.39:
	v_mov_b32_e32 v2, 0
	s_or_b32 s29, s8, s39
	s_delay_alu instid0(SALU_CYCLE_1)
	s_and_not1_b32 vcc_lo, exec_lo, s29
	s_cbranch_vccnz .LBB159_41
; %bb.40:
	v_cndmask_b32_e64 v2, v21, v22, s8
.LBB159_41:
	global_store_b8 v[6:7], v2, off
.LBB159_42:
	s_mov_b32 s29, -1
.LBB159_43:
	s_mov_b32 s30, 0
.LBB159_44:
	s_delay_alu instid0(SALU_CYCLE_1)
	s_and_b32 vcc_lo, exec_lo, s30
	s_cbranch_vccz .LBB159_66
; %bb.45:
	v_cmp_lt_i16_e32 vcc_lo, 22, v24
	s_mov_b32 s30, -1
	s_cbranch_vccz .LBB159_58
; %bb.46:
	v_cmp_gt_i16_e32 vcc_lo, 24, v24
	s_mov_b32 s29, -1
	s_cbranch_vccnz .LBB159_55
; %bb.47:
	v_cmp_lt_i16_e32 vcc_lo, 24, v24
	s_cbranch_vccz .LBB159_52
; %bb.48:
	v_mov_b32_e32 v2, 0x80
	s_and_not1_b32 vcc_lo, exec_lo, s7
	s_cbranch_vccnz .LBB159_51
; %bb.49:
	v_mov_b32_e32 v2, 0
	s_or_b32 s29, s4, s38
	s_delay_alu instid0(SALU_CYCLE_1)
	s_and_not1_b32 vcc_lo, exec_lo, s29
	s_cbranch_vccnz .LBB159_51
; %bb.50:
	v_cndmask_b32_e64 v2, v14, v20, s4
.LBB159_51:
	s_mov_b32 s29, 0
	global_store_b8 v[6:7], v2, off
.LBB159_52:
	s_and_b32 vcc_lo, exec_lo, s29
	s_cbranch_vccz .LBB159_54
; %bb.53:
	v_cndmask_b32_e64 v2, v17, v18, s6
	s_delay_alu instid0(VALU_DEP_1)
	v_cndmask_b32_e64 v2, v2, v19, s5
	global_store_b8 v[6:7], v2, off
.LBB159_54:
	s_mov_b32 s29, 0
.LBB159_55:
	s_delay_alu instid0(SALU_CYCLE_1)
	s_and_not1_b32 vcc_lo, exec_lo, s29
	s_cbranch_vccnz .LBB159_57
; %bb.56:
	v_cndmask_b32_e64 v2, v13, v15, s3
	s_delay_alu instid0(VALU_DEP_1)
	v_cndmask_b32_e64 v2, v2, v16, s2
	global_store_b8 v[6:7], v2, off
.LBB159_57:
	s_mov_b32 s30, 0
	s_mov_b32 s29, -1
.LBB159_58:
	s_and_not1_b32 vcc_lo, exec_lo, s30
	s_cbranch_vccnz .LBB159_66
; %bb.59:
	v_cmp_lt_i16_e32 vcc_lo, 14, v24
	s_mov_b32 s30, -1
	s_cbranch_vccz .LBB159_63
; %bb.60:
	v_cmp_eq_u16_e32 vcc_lo, 15, v24
	s_mov_b32 s28, -1
	s_cbranch_vccz .LBB159_62
; %bb.61:
	s_mov_b32 s29, -1
	s_mov_b32 s28, 0
	global_store_b16 v[6:7], v12, off
.LBB159_62:
	s_mov_b32 s30, 0
.LBB159_63:
	s_delay_alu instid0(SALU_CYCLE_1)
	s_and_b32 vcc_lo, exec_lo, s30
	s_cbranch_vccz .LBB159_66
; %bb.64:
	v_cmp_eq_u16_e32 vcc_lo, 11, v24
	s_mov_b32 s28, -1
	s_cbranch_vccz .LBB159_66
; %bb.65:
	s_mov_b32 s29, -1
	s_mov_b32 s28, 0
	global_store_b8 v[6:7], v11, off
.LBB159_66:
.LBB159_67:
	s_and_not1_b32 vcc_lo, exec_lo, s29
	s_cbranch_vccnz .LBB159_108
.LBB159_68:
	v_add_nc_u32_e32 v9, 0x80, v9
	s_mov_b32 s29, -1
	s_branch .LBB159_109
.LBB159_69:
	s_and_b32 vcc_lo, exec_lo, s30
	s_cbranch_vccz .LBB159_67
; %bb.70:
	v_cmp_gt_i16_e32 vcc_lo, 5, v24
	s_mov_b32 s29, -1
	s_cbranch_vccnz .LBB159_91
; %bb.71:
	v_cmp_gt_i16_e32 vcc_lo, 8, v24
	s_cbranch_vccnz .LBB159_81
; %bb.72:
	v_cmp_gt_i16_e32 vcc_lo, 9, v24
	s_cbranch_vccnz .LBB159_78
; %bb.73:
	v_cmp_lt_i16_e32 vcc_lo, 9, v24
	s_cbranch_vccz .LBB159_75
; %bb.74:
	v_mov_b32_e32 v2, 0
	s_mov_b32 s29, 0
	s_delay_alu instid0(VALU_DEP_1)
	v_mov_b32_e32 v3, v2
	global_store_b128 v[6:7], v[0:3], off
.LBB159_75:
	s_and_not1_b32 vcc_lo, exec_lo, s29
	s_cbranch_vccnz .LBB159_77
; %bb.76:
	v_mov_b32_e32 v5, 0
	global_store_b64 v[6:7], v[4:5], off
.LBB159_77:
	s_mov_b32 s29, 0
.LBB159_78:
	s_delay_alu instid0(SALU_CYCLE_1)
	s_and_not1_b32 vcc_lo, exec_lo, s29
	s_cbranch_vccnz .LBB159_80
; %bb.79:
	global_store_b32 v[6:7], v10, off
.LBB159_80:
	s_mov_b32 s29, 0
.LBB159_81:
	s_delay_alu instid0(SALU_CYCLE_1)
	s_and_not1_b32 vcc_lo, exec_lo, s29
	s_cbranch_vccnz .LBB159_90
; %bb.82:
	v_cmp_gt_i16_e32 vcc_lo, 6, v24
	s_mov_b32 s29, -1
	s_cbranch_vccnz .LBB159_88
; %bb.83:
	v_cmp_lt_i16_e32 vcc_lo, 6, v24
	s_cbranch_vccz .LBB159_85
; %bb.84:
	s_mov_b32 s29, 0
	global_store_b64 v[6:7], v[0:1], off
.LBB159_85:
	s_and_not1_b32 vcc_lo, exec_lo, s29
	s_cbranch_vccnz .LBB159_87
; %bb.86:
	global_store_b32 v[6:7], v4, off
.LBB159_87:
	s_mov_b32 s29, 0
.LBB159_88:
	s_delay_alu instid0(SALU_CYCLE_1)
	s_and_not1_b32 vcc_lo, exec_lo, s29
	s_cbranch_vccnz .LBB159_90
; %bb.89:
	global_store_b16 v[6:7], v8, off
.LBB159_90:
	s_mov_b32 s29, 0
.LBB159_91:
	s_delay_alu instid0(SALU_CYCLE_1)
	s_and_not1_b32 vcc_lo, exec_lo, s29
	s_cbranch_vccnz .LBB159_107
; %bb.92:
	v_cmp_gt_i16_e32 vcc_lo, 2, v24
	s_mov_b32 s29, -1
	s_cbranch_vccnz .LBB159_102
; %bb.93:
	v_cmp_gt_i16_e32 vcc_lo, 3, v24
	s_cbranch_vccnz .LBB159_99
; %bb.94:
	v_cmp_lt_i16_e32 vcc_lo, 3, v24
	s_cbranch_vccz .LBB159_96
; %bb.95:
	v_dual_mov_b32 v2, s18 :: v_dual_mov_b32 v3, s19
	s_mov_b32 s29, 0
	global_store_b64 v[6:7], v[2:3], off
.LBB159_96:
	s_and_not1_b32 vcc_lo, exec_lo, s29
	s_cbranch_vccnz .LBB159_98
; %bb.97:
	v_mov_b32_e32 v2, s18
	global_store_b32 v[6:7], v2, off
.LBB159_98:
	s_mov_b32 s29, 0
.LBB159_99:
	s_delay_alu instid0(SALU_CYCLE_1)
	s_and_not1_b32 vcc_lo, exec_lo, s29
	s_cbranch_vccnz .LBB159_101
; %bb.100:
	v_mov_b32_e32 v2, s37
	global_store_b16 v[6:7], v2, off
.LBB159_101:
	s_mov_b32 s29, 0
.LBB159_102:
	s_delay_alu instid0(SALU_CYCLE_1)
	s_and_not1_b32 vcc_lo, exec_lo, s29
	s_cbranch_vccnz .LBB159_107
; %bb.103:
	v_cmp_lt_i16_e32 vcc_lo, 0, v24
	s_mov_b32 s29, -1
	s_cbranch_vccz .LBB159_105
; %bb.104:
	v_mov_b32_e32 v2, s37
	s_mov_b32 s29, 0
	global_store_b8 v[6:7], v2, off
.LBB159_105:
	s_and_not1_b32 vcc_lo, exec_lo, s29
	s_cbranch_vccnz .LBB159_107
; %bb.106:
	v_mov_b32_e32 v2, s37
	global_store_b8 v[6:7], v2, off
.LBB159_107:
	s_branch .LBB159_68
.LBB159_108:
	s_mov_b32 s29, 0
                                        ; implicit-def: $vgpr9
.LBB159_109:
	s_and_b32 s45, s28, exec_lo
	s_or_not1_b32 s28, s29, exec_lo
.LBB159_110:
	s_or_b32 exec_lo, exec_lo, s46
	s_mov_b32 s29, 0
                                        ; implicit-def: $vgpr24
                                        ; implicit-def: $vgpr6_vgpr7
	s_and_saveexec_b32 s46, s28
	s_cbranch_execz .LBB159_117
; %bb.111:
	s_mov_b32 s30, -1
	s_mov_b32 s47, s45
	s_mov_b32 s48, exec_lo
	v_cmpx_gt_i32_e64 s42, v9
	s_cbranch_execz .LBB159_362
; %bb.112:
	s_and_not1_b32 vcc_lo, exec_lo, s35
	s_cbranch_vccnz .LBB159_240
; %bb.113:
	v_mov_b32_e32 v2, 0
	s_and_not1_b32 vcc_lo, exec_lo, s44
	s_cbranch_vccnz .LBB159_245
; %bb.114:
	s_add_i32 s49, s43, 1
	s_cmp_eq_u32 s33, 2
	s_mov_b32 s47, 0
	s_cbranch_scc1 .LBB159_241
; %bb.115:
	v_dual_mov_b32 v2, 0 :: v_dual_mov_b32 v3, v9
	s_and_b32 s47, s49, 28
	s_mov_b32 s50, 0
	s_mov_b64 s[28:29], s[16:17]
	s_mov_b64 s[30:31], s[26:27]
.LBB159_116:                            ; =>This Inner Loop Header: Depth=1
	s_clause 0x1
	s_load_b256 s[52:59], s[28:29], 0x4
	s_load_b128 s[60:63], s[28:29], 0x24
	s_load_b128 s[64:67], s[30:31], 0x0
	s_add_u32 s28, s28, 48
	s_addc_u32 s29, s29, 0
	s_add_i32 s50, s50, 4
	s_add_u32 s30, s30, 16
	s_addc_u32 s31, s31, 0
	s_cmp_eq_u32 s47, s50
	s_waitcnt lgkmcnt(0)
	v_mul_hi_u32 v5, s53, v3
	s_delay_alu instid0(VALU_DEP_1) | instskip(NEXT) | instid1(VALU_DEP_1)
	v_add_nc_u32_e32 v5, v3, v5
	v_lshrrev_b32_e32 v5, s54, v5
	s_delay_alu instid0(VALU_DEP_1) | instskip(SKIP_1) | instid1(VALU_DEP_2)
	v_mul_hi_u32 v6, s56, v5
	v_mul_lo_u32 v25, v5, s52
	v_add_nc_u32_e32 v6, v5, v6
	s_delay_alu instid0(VALU_DEP_2) | instskip(NEXT) | instid1(VALU_DEP_2)
	v_sub_nc_u32_e32 v25, v3, v25
	v_lshrrev_b32_e32 v6, s57, v6
	s_delay_alu instid0(VALU_DEP_2) | instskip(NEXT) | instid1(VALU_DEP_2)
	v_mul_lo_u32 v25, v25, s64
	v_mul_hi_u32 v7, s59, v6
	v_mul_lo_u32 v26, v6, s55
	s_delay_alu instid0(VALU_DEP_2) | instskip(NEXT) | instid1(VALU_DEP_2)
	v_add_nc_u32_e32 v7, v6, v7
	v_sub_nc_u32_e32 v5, v5, v26
	s_delay_alu instid0(VALU_DEP_2) | instskip(NEXT) | instid1(VALU_DEP_2)
	v_lshrrev_b32_e32 v7, s60, v7
	v_mul_lo_u32 v5, v5, s65
	s_delay_alu instid0(VALU_DEP_2) | instskip(NEXT) | instid1(VALU_DEP_2)
	v_mul_hi_u32 v24, s62, v7
	v_add3_u32 v2, v25, v2, v5
	s_delay_alu instid0(VALU_DEP_2) | instskip(NEXT) | instid1(VALU_DEP_1)
	v_add_nc_u32_e32 v24, v7, v24
	v_lshrrev_b32_e32 v3, s63, v24
	v_mul_lo_u32 v24, v7, s58
	s_delay_alu instid0(VALU_DEP_2) | instskip(NEXT) | instid1(VALU_DEP_2)
	v_mul_lo_u32 v27, v3, s61
	v_sub_nc_u32_e32 v6, v6, v24
	s_delay_alu instid0(VALU_DEP_2) | instskip(NEXT) | instid1(VALU_DEP_2)
	v_sub_nc_u32_e32 v7, v7, v27
	v_mul_lo_u32 v6, v6, s66
	s_delay_alu instid0(VALU_DEP_2) | instskip(NEXT) | instid1(VALU_DEP_1)
	v_mul_lo_u32 v7, v7, s67
	v_add3_u32 v2, v6, v2, v7
	s_cbranch_scc0 .LBB159_116
	s_branch .LBB159_242
.LBB159_117:
	s_or_b32 exec_lo, exec_lo, s46
	s_mov_b32 s2, 0
	s_and_saveexec_b32 s3, s45
	s_cbranch_execnz .LBB159_677
.LBB159_118:
	s_or_b32 exec_lo, exec_lo, s3
	s_and_saveexec_b32 s3, s47
	s_delay_alu instid0(SALU_CYCLE_1)
	s_xor_b32 s3, exec_lo, s3
	s_cbranch_execz .LBB159_120
.LBB159_119:
	global_store_b8 v[6:7], v11, off
.LBB159_120:
	s_or_b32 exec_lo, exec_lo, s3
	s_and_saveexec_b32 s3, s29
	s_delay_alu instid0(SALU_CYCLE_1)
	s_xor_b32 s3, exec_lo, s3
	s_cbranch_execz .LBB159_158
; %bb.121:
	v_cmp_gt_i16_e32 vcc_lo, 5, v24
	s_mov_b32 s4, -1
	s_cbranch_vccnz .LBB159_142
; %bb.122:
	v_cmp_gt_i16_e32 vcc_lo, 8, v24
	s_cbranch_vccnz .LBB159_132
; %bb.123:
	v_cmp_gt_i16_e32 vcc_lo, 9, v24
	s_cbranch_vccnz .LBB159_129
; %bb.124:
	v_cmp_lt_i16_e32 vcc_lo, 9, v24
	s_cbranch_vccz .LBB159_126
; %bb.125:
	v_mov_b32_e32 v2, 0
	s_mov_b32 s4, 0
	s_delay_alu instid0(VALU_DEP_1)
	v_mov_b32_e32 v3, v2
	global_store_b128 v[6:7], v[0:3], off
.LBB159_126:
	s_and_not1_b32 vcc_lo, exec_lo, s4
	s_cbranch_vccnz .LBB159_128
; %bb.127:
	v_mov_b32_e32 v5, 0
	global_store_b64 v[6:7], v[4:5], off
.LBB159_128:
	s_mov_b32 s4, 0
.LBB159_129:
	s_delay_alu instid0(SALU_CYCLE_1)
	s_and_not1_b32 vcc_lo, exec_lo, s4
	s_cbranch_vccnz .LBB159_131
; %bb.130:
	global_store_b32 v[6:7], v10, off
.LBB159_131:
	s_mov_b32 s4, 0
.LBB159_132:
	s_delay_alu instid0(SALU_CYCLE_1)
	s_and_not1_b32 vcc_lo, exec_lo, s4
	s_cbranch_vccnz .LBB159_141
; %bb.133:
	v_cmp_gt_i16_e32 vcc_lo, 6, v24
	s_mov_b32 s4, -1
	s_cbranch_vccnz .LBB159_139
; %bb.134:
	v_cmp_lt_i16_e32 vcc_lo, 6, v24
	s_cbranch_vccz .LBB159_136
; %bb.135:
	s_mov_b32 s4, 0
	global_store_b64 v[6:7], v[0:1], off
.LBB159_136:
	s_and_not1_b32 vcc_lo, exec_lo, s4
	s_cbranch_vccnz .LBB159_138
; %bb.137:
	global_store_b32 v[6:7], v4, off
.LBB159_138:
	s_mov_b32 s4, 0
.LBB159_139:
	s_delay_alu instid0(SALU_CYCLE_1)
	s_and_not1_b32 vcc_lo, exec_lo, s4
	s_cbranch_vccnz .LBB159_141
; %bb.140:
	global_store_b16 v[6:7], v8, off
.LBB159_141:
	s_mov_b32 s4, 0
.LBB159_142:
	s_delay_alu instid0(SALU_CYCLE_1)
	s_and_not1_b32 vcc_lo, exec_lo, s4
	s_cbranch_vccnz .LBB159_158
; %bb.143:
	v_cmp_gt_i16_e32 vcc_lo, 2, v24
	s_mov_b32 s4, -1
	s_cbranch_vccnz .LBB159_153
; %bb.144:
	v_cmp_gt_i16_e32 vcc_lo, 3, v24
	s_cbranch_vccnz .LBB159_150
; %bb.145:
	v_cmp_lt_i16_e32 vcc_lo, 3, v24
	s_cbranch_vccz .LBB159_147
; %bb.146:
	v_dual_mov_b32 v0, s18 :: v_dual_mov_b32 v1, s19
	s_mov_b32 s4, 0
	global_store_b64 v[6:7], v[0:1], off
.LBB159_147:
	s_and_not1_b32 vcc_lo, exec_lo, s4
	s_cbranch_vccnz .LBB159_149
; %bb.148:
	v_mov_b32_e32 v0, s18
	global_store_b32 v[6:7], v0, off
.LBB159_149:
	s_mov_b32 s4, 0
.LBB159_150:
	s_delay_alu instid0(SALU_CYCLE_1)
	s_and_not1_b32 vcc_lo, exec_lo, s4
	s_cbranch_vccnz .LBB159_152
; %bb.151:
	v_mov_b32_e32 v0, s37
	global_store_b16 v[6:7], v0, off
.LBB159_152:
	s_mov_b32 s4, 0
.LBB159_153:
	s_delay_alu instid0(SALU_CYCLE_1)
	s_and_not1_b32 vcc_lo, exec_lo, s4
	s_cbranch_vccnz .LBB159_158
; %bb.154:
	v_cmp_lt_i16_e32 vcc_lo, 0, v24
	s_mov_b32 s4, -1
	s_cbranch_vccz .LBB159_156
; %bb.155:
	v_mov_b32_e32 v0, s37
	s_mov_b32 s4, 0
	global_store_b8 v[6:7], v0, off
.LBB159_156:
	s_and_not1_b32 vcc_lo, exec_lo, s4
	s_cbranch_vccnz .LBB159_158
; %bb.157:
	v_mov_b32_e32 v0, s37
	global_store_b8 v[6:7], v0, off
.LBB159_158:
	s_or_b32 exec_lo, exec_lo, s3
	s_delay_alu instid0(SALU_CYCLE_1)
	s_and_b32 s6, s2, exec_lo
                                        ; implicit-def: $vgpr4
                                        ; implicit-def: $vgpr9
.LBB159_159:
	s_or_saveexec_b32 s7, s36
	s_mov_b32 s5, 0
                                        ; implicit-def: $vgpr5
                                        ; implicit-def: $vgpr0_vgpr1
                                        ; implicit-def: $sgpr2
	s_xor_b32 exec_lo, exec_lo, s7
	s_cbranch_execz .LBB159_925
; %bb.160:
	v_cndmask_b32_e64 v0, 0, 1, s35
	s_and_not1_b32 vcc_lo, exec_lo, s35
	s_cbranch_vccnz .LBB159_166
; %bb.161:
	v_mov_b32_e32 v3, 0
	s_cmp_eq_u32 s11, 0
	s_mov_b32 s8, 0
	s_cbranch_scc1 .LBB159_170
; %bb.162:
	s_min_u32 s9, s33, 15
	v_mov_b32_e32 v3, 0
	s_add_i32 s9, s9, 1
	s_cmp_eq_u32 s33, 2
	s_mov_b32 s10, 0
	s_cbranch_scc1 .LBB159_167
; %bb.163:
	v_mov_b32_e32 v3, 0
	v_mov_b32_e32 v1, v9
	s_add_u32 s2, s16, 0xc4
	s_addc_u32 s3, s17, 0
	s_and_b32 s10, s9, 28
	s_mov_b32 s12, 0
	s_mov_b64 s[4:5], s[16:17]
.LBB159_164:                            ; =>This Inner Loop Header: Depth=1
	s_clause 0x1
	s_load_b256 s[20:27], s[4:5], 0x4
	s_load_b128 s[28:31], s[4:5], 0x24
	s_load_b128 s[36:39], s[2:3], 0x0
	s_add_u32 s4, s4, 48
	s_addc_u32 s5, s5, 0
	s_add_i32 s12, s12, 4
	s_add_u32 s2, s2, 16
	s_addc_u32 s3, s3, 0
	s_cmp_lg_u32 s10, s12
	s_waitcnt lgkmcnt(0)
	v_mul_hi_u32 v2, s21, v1
	s_delay_alu instid0(VALU_DEP_1) | instskip(NEXT) | instid1(VALU_DEP_1)
	v_add_nc_u32_e32 v2, v1, v2
	v_lshrrev_b32_e32 v2, s22, v2
	s_delay_alu instid0(VALU_DEP_1) | instskip(SKIP_1) | instid1(VALU_DEP_2)
	v_mul_hi_u32 v5, s24, v2
	v_mul_lo_u32 v8, v2, s20
	v_add_nc_u32_e32 v5, v2, v5
	s_delay_alu instid0(VALU_DEP_2) | instskip(NEXT) | instid1(VALU_DEP_2)
	v_sub_nc_u32_e32 v8, v1, v8
	v_lshrrev_b32_e32 v5, s25, v5
	s_delay_alu instid0(VALU_DEP_2) | instskip(NEXT) | instid1(VALU_DEP_2)
	v_mul_lo_u32 v8, v8, s36
	v_mul_hi_u32 v6, s27, v5
	v_mul_lo_u32 v10, v5, s23
	s_delay_alu instid0(VALU_DEP_2) | instskip(NEXT) | instid1(VALU_DEP_2)
	v_add_nc_u32_e32 v6, v5, v6
	v_sub_nc_u32_e32 v2, v2, v10
	s_delay_alu instid0(VALU_DEP_2) | instskip(NEXT) | instid1(VALU_DEP_2)
	v_lshrrev_b32_e32 v6, s28, v6
	v_mul_lo_u32 v2, v2, s37
	s_delay_alu instid0(VALU_DEP_2) | instskip(NEXT) | instid1(VALU_DEP_2)
	v_mul_hi_u32 v7, s30, v6
	v_add3_u32 v2, v8, v3, v2
	s_delay_alu instid0(VALU_DEP_2) | instskip(NEXT) | instid1(VALU_DEP_1)
	v_add_nc_u32_e32 v7, v6, v7
	v_lshrrev_b32_e32 v1, s31, v7
	v_mul_lo_u32 v7, v6, s26
	s_delay_alu instid0(VALU_DEP_2) | instskip(NEXT) | instid1(VALU_DEP_2)
	v_mul_lo_u32 v11, v1, s29
	v_sub_nc_u32_e32 v5, v5, v7
	s_delay_alu instid0(VALU_DEP_2) | instskip(NEXT) | instid1(VALU_DEP_2)
	v_sub_nc_u32_e32 v6, v6, v11
	v_mul_lo_u32 v5, v5, s38
	s_delay_alu instid0(VALU_DEP_2) | instskip(NEXT) | instid1(VALU_DEP_1)
	v_mul_lo_u32 v6, v6, s39
	v_add3_u32 v3, v5, v2, v6
	s_cbranch_scc1 .LBB159_164
; %bb.165:
	s_and_b32 s9, s9, 3
	s_delay_alu instid0(SALU_CYCLE_1)
	s_cmp_eq_u32 s9, 0
	s_cbranch_scc0 .LBB159_168
	s_branch .LBB159_170
.LBB159_166:
	s_mov_b32 s8, -1
                                        ; implicit-def: $vgpr3
	s_branch .LBB159_170
.LBB159_167:
	v_mov_b32_e32 v1, v9
	s_and_b32 s9, s9, 3
	s_delay_alu instid0(SALU_CYCLE_1)
	s_cmp_eq_u32 s9, 0
	s_cbranch_scc1 .LBB159_170
.LBB159_168:
	s_lshl_b32 s2, s10, 2
	s_mul_i32 s4, s10, 12
	s_add_u32 s2, s2, s16
	s_addc_u32 s3, 0, s17
	s_add_u32 s2, s2, 0xc4
	s_addc_u32 s3, s3, 0
	;; [unrolled: 2-line block ×3, first 2 shown]
	.p2align	6
.LBB159_169:                            ; =>This Inner Loop Header: Depth=1
	s_clause 0x1
	s_load_b64 s[12:13], s[4:5], 0x4
	s_load_b32 s10, s[4:5], 0xc
	s_add_u32 s4, s4, 12
	s_addc_u32 s5, s5, 0
	s_waitcnt lgkmcnt(0)
	v_mul_hi_u32 v2, s13, v1
	s_load_b32 s13, s[2:3], 0x0
	s_add_u32 s2, s2, 4
	s_addc_u32 s3, s3, 0
	s_add_i32 s9, s9, -1
	s_delay_alu instid0(SALU_CYCLE_1) | instskip(NEXT) | instid1(VALU_DEP_1)
	s_cmp_lg_u32 s9, 0
	v_add_nc_u32_e32 v2, v1, v2
	s_delay_alu instid0(VALU_DEP_1) | instskip(NEXT) | instid1(VALU_DEP_1)
	v_lshrrev_b32_e32 v2, s10, v2
	v_mul_lo_u32 v5, v2, s12
	s_delay_alu instid0(VALU_DEP_1) | instskip(SKIP_1) | instid1(VALU_DEP_1)
	v_sub_nc_u32_e32 v1, v1, v5
	s_waitcnt lgkmcnt(0)
	v_mad_u64_u32 v[5:6], null, v1, s13, v[3:4]
	v_mov_b32_e32 v1, v2
	s_delay_alu instid0(VALU_DEP_2)
	v_mov_b32_e32 v3, v5
	s_cbranch_scc1 .LBB159_169
.LBB159_170:
	s_and_not1_b32 vcc_lo, exec_lo, s8
	s_cbranch_vccnz .LBB159_173
; %bb.171:
	s_clause 0x1
	s_load_b128 s[12:15], s[16:17], 0x4
	s_load_b32 s2, s[16:17], 0xc4
	s_cmp_lt_u32 s11, 2
	s_waitcnt lgkmcnt(0)
	v_mul_hi_u32 v1, s13, v9
	s_delay_alu instid0(VALU_DEP_1) | instskip(NEXT) | instid1(VALU_DEP_1)
	v_add_nc_u32_e32 v1, v9, v1
	v_lshrrev_b32_e32 v1, s14, v1
	s_delay_alu instid0(VALU_DEP_1) | instskip(NEXT) | instid1(VALU_DEP_1)
	v_mul_lo_u32 v2, v1, s12
	v_sub_nc_u32_e32 v2, v9, v2
	s_delay_alu instid0(VALU_DEP_1)
	v_mul_lo_u32 v3, v2, s2
	s_cbranch_scc1 .LBB159_173
; %bb.172:
	s_clause 0x1
	s_load_b128 s[12:15], s[16:17], 0x10
	s_load_b32 s2, s[16:17], 0xc8
	s_waitcnt lgkmcnt(0)
	v_mul_hi_u32 v2, s13, v1
	s_delay_alu instid0(VALU_DEP_1) | instskip(NEXT) | instid1(VALU_DEP_1)
	v_add_nc_u32_e32 v2, v1, v2
	v_lshrrev_b32_e32 v2, s14, v2
	s_delay_alu instid0(VALU_DEP_1) | instskip(NEXT) | instid1(VALU_DEP_1)
	v_mul_lo_u32 v2, v2, s12
	v_sub_nc_u32_e32 v5, v1, v2
	s_delay_alu instid0(VALU_DEP_1) | instskip(NEXT) | instid1(VALU_DEP_1)
	v_mad_u64_u32 v[1:2], null, v5, s2, v[3:4]
	v_mov_b32_e32 v3, v1
.LBB159_173:
	v_cmp_ne_u32_e32 vcc_lo, 1, v0
	v_add_nc_u32_e32 v1, 0x80, v9
	s_cbranch_vccnz .LBB159_179
; %bb.174:
	v_mov_b32_e32 v2, 0
	s_cmp_eq_u32 s11, 0
	s_mov_b32 s8, 0
	s_cbranch_scc1 .LBB159_183
; %bb.175:
	s_min_u32 s9, s33, 15
	v_mov_b32_e32 v2, 0
	s_add_i32 s9, s9, 1
	s_cmp_eq_u32 s33, 2
	s_mov_b32 s10, 0
	s_cbranch_scc1 .LBB159_180
; %bb.176:
	v_dual_mov_b32 v2, 0 :: v_dual_mov_b32 v5, v1
	s_add_u32 s2, s16, 0xc4
	s_addc_u32 s3, s17, 0
	s_and_b32 s10, s9, 28
	s_mov_b32 s12, 0
	s_mov_b64 s[4:5], s[16:17]
.LBB159_177:                            ; =>This Inner Loop Header: Depth=1
	s_clause 0x1
	s_load_b256 s[20:27], s[4:5], 0x4
	s_load_b128 s[28:31], s[4:5], 0x24
	s_load_b128 s[36:39], s[2:3], 0x0
	s_add_u32 s4, s4, 48
	s_addc_u32 s5, s5, 0
	s_add_i32 s12, s12, 4
	s_add_u32 s2, s2, 16
	s_addc_u32 s3, s3, 0
	s_cmp_lg_u32 s10, s12
	s_waitcnt lgkmcnt(0)
	v_mul_hi_u32 v6, s21, v5
	s_delay_alu instid0(VALU_DEP_1) | instskip(NEXT) | instid1(VALU_DEP_1)
	v_add_nc_u32_e32 v6, v5, v6
	v_lshrrev_b32_e32 v6, s22, v6
	s_delay_alu instid0(VALU_DEP_1) | instskip(SKIP_1) | instid1(VALU_DEP_2)
	v_mul_hi_u32 v7, s24, v6
	v_mul_lo_u32 v11, v6, s20
	v_add_nc_u32_e32 v7, v6, v7
	s_delay_alu instid0(VALU_DEP_2) | instskip(NEXT) | instid1(VALU_DEP_2)
	v_sub_nc_u32_e32 v11, v5, v11
	v_lshrrev_b32_e32 v7, s25, v7
	s_delay_alu instid0(VALU_DEP_2) | instskip(NEXT) | instid1(VALU_DEP_2)
	v_mul_lo_u32 v11, v11, s36
	v_mul_hi_u32 v8, s27, v7
	v_mul_lo_u32 v12, v7, s23
	s_delay_alu instid0(VALU_DEP_2) | instskip(NEXT) | instid1(VALU_DEP_2)
	v_add_nc_u32_e32 v8, v7, v8
	v_sub_nc_u32_e32 v6, v6, v12
	s_delay_alu instid0(VALU_DEP_2) | instskip(NEXT) | instid1(VALU_DEP_2)
	v_lshrrev_b32_e32 v8, s28, v8
	v_mul_lo_u32 v6, v6, s37
	s_delay_alu instid0(VALU_DEP_2) | instskip(NEXT) | instid1(VALU_DEP_2)
	v_mul_hi_u32 v10, s30, v8
	v_add3_u32 v2, v11, v2, v6
	s_delay_alu instid0(VALU_DEP_2) | instskip(NEXT) | instid1(VALU_DEP_1)
	v_add_nc_u32_e32 v10, v8, v10
	v_lshrrev_b32_e32 v5, s31, v10
	v_mul_lo_u32 v10, v8, s26
	s_delay_alu instid0(VALU_DEP_2) | instskip(NEXT) | instid1(VALU_DEP_2)
	v_mul_lo_u32 v13, v5, s29
	v_sub_nc_u32_e32 v7, v7, v10
	s_delay_alu instid0(VALU_DEP_2) | instskip(NEXT) | instid1(VALU_DEP_2)
	v_sub_nc_u32_e32 v8, v8, v13
	v_mul_lo_u32 v7, v7, s38
	s_delay_alu instid0(VALU_DEP_2) | instskip(NEXT) | instid1(VALU_DEP_1)
	v_mul_lo_u32 v8, v8, s39
	v_add3_u32 v2, v7, v2, v8
	s_cbranch_scc1 .LBB159_177
; %bb.178:
	s_and_b32 s9, s9, 3
	s_delay_alu instid0(SALU_CYCLE_1)
	s_cmp_eq_u32 s9, 0
	s_cbranch_scc0 .LBB159_181
	s_branch .LBB159_183
.LBB159_179:
	s_mov_b32 s8, -1
                                        ; implicit-def: $vgpr2
	s_branch .LBB159_183
.LBB159_180:
	v_mov_b32_e32 v5, v1
	s_and_b32 s9, s9, 3
	s_delay_alu instid0(SALU_CYCLE_1)
	s_cmp_eq_u32 s9, 0
	s_cbranch_scc1 .LBB159_183
.LBB159_181:
	s_lshl_b32 s2, s10, 2
	s_mul_i32 s4, s10, 12
	s_add_u32 s2, s2, s16
	s_addc_u32 s3, 0, s17
	s_add_u32 s2, s2, 0xc4
	s_addc_u32 s3, s3, 0
	;; [unrolled: 2-line block ×3, first 2 shown]
	.p2align	6
.LBB159_182:                            ; =>This Inner Loop Header: Depth=1
	s_clause 0x1
	s_load_b64 s[12:13], s[4:5], 0x4
	s_load_b32 s10, s[4:5], 0xc
	s_add_u32 s4, s4, 12
	s_addc_u32 s5, s5, 0
	s_waitcnt lgkmcnt(0)
	v_mul_hi_u32 v6, s13, v5
	s_load_b32 s13, s[2:3], 0x0
	s_add_u32 s2, s2, 4
	s_addc_u32 s3, s3, 0
	s_add_i32 s9, s9, -1
	s_delay_alu instid0(SALU_CYCLE_1) | instskip(NEXT) | instid1(VALU_DEP_1)
	s_cmp_lg_u32 s9, 0
	v_add_nc_u32_e32 v6, v5, v6
	s_delay_alu instid0(VALU_DEP_1) | instskip(NEXT) | instid1(VALU_DEP_1)
	v_lshrrev_b32_e32 v8, s10, v6
	v_mul_lo_u32 v6, v8, s12
	s_delay_alu instid0(VALU_DEP_1) | instskip(SKIP_1) | instid1(VALU_DEP_1)
	v_sub_nc_u32_e32 v5, v5, v6
	s_waitcnt lgkmcnt(0)
	v_mad_u64_u32 v[6:7], null, v5, s13, v[2:3]
	s_delay_alu instid0(VALU_DEP_1)
	v_dual_mov_b32 v5, v8 :: v_dual_mov_b32 v2, v6
	s_cbranch_scc1 .LBB159_182
.LBB159_183:
	s_and_not1_b32 vcc_lo, exec_lo, s8
	s_cbranch_vccnz .LBB159_186
; %bb.184:
	s_clause 0x1
	s_load_b128 s[12:15], s[16:17], 0x4
	s_load_b32 s2, s[16:17], 0xc4
	s_cmp_lt_u32 s11, 2
	s_waitcnt lgkmcnt(0)
	v_mul_hi_u32 v2, s13, v1
	s_delay_alu instid0(VALU_DEP_1) | instskip(NEXT) | instid1(VALU_DEP_1)
	v_add_nc_u32_e32 v2, v1, v2
	v_lshrrev_b32_e32 v5, s14, v2
	s_delay_alu instid0(VALU_DEP_1) | instskip(NEXT) | instid1(VALU_DEP_1)
	v_mul_lo_u32 v2, v5, s12
	v_sub_nc_u32_e32 v1, v1, v2
	s_delay_alu instid0(VALU_DEP_1)
	v_mul_lo_u32 v2, v1, s2
	s_cbranch_scc1 .LBB159_186
; %bb.185:
	s_clause 0x1
	s_load_b128 s[12:15], s[16:17], 0x10
	s_load_b32 s2, s[16:17], 0xc8
	s_waitcnt lgkmcnt(0)
	v_mul_hi_u32 v1, s13, v5
	s_delay_alu instid0(VALU_DEP_1) | instskip(NEXT) | instid1(VALU_DEP_1)
	v_add_nc_u32_e32 v1, v5, v1
	v_lshrrev_b32_e32 v1, s14, v1
	s_delay_alu instid0(VALU_DEP_1) | instskip(NEXT) | instid1(VALU_DEP_1)
	v_mul_lo_u32 v1, v1, s12
	v_sub_nc_u32_e32 v1, v5, v1
	s_delay_alu instid0(VALU_DEP_1) | instskip(NEXT) | instid1(VALU_DEP_1)
	v_mad_u64_u32 v[5:6], null, v1, s2, v[2:3]
	v_mov_b32_e32 v2, v5
.LBB159_186:
	v_cmp_ne_u32_e32 vcc_lo, 1, v0
	v_add_nc_u32_e32 v5, 0x100, v9
	s_cbranch_vccnz .LBB159_192
; %bb.187:
	v_mov_b32_e32 v1, 0
	s_cmp_eq_u32 s11, 0
	s_mov_b32 s8, 0
	s_cbranch_scc1 .LBB159_196
; %bb.188:
	s_min_u32 s9, s33, 15
	v_mov_b32_e32 v1, 0
	s_add_i32 s9, s9, 1
	s_cmp_eq_u32 s33, 2
	s_mov_b32 s10, 0
	s_cbranch_scc1 .LBB159_193
; %bb.189:
	v_dual_mov_b32 v1, 0 :: v_dual_mov_b32 v6, v5
	s_add_u32 s2, s16, 0xc4
	s_addc_u32 s3, s17, 0
	s_and_b32 s10, s9, 28
	s_mov_b32 s12, 0
	s_mov_b64 s[4:5], s[16:17]
.LBB159_190:                            ; =>This Inner Loop Header: Depth=1
	s_clause 0x1
	s_load_b256 s[20:27], s[4:5], 0x4
	s_load_b128 s[28:31], s[4:5], 0x24
	s_load_b128 s[36:39], s[2:3], 0x0
	s_add_u32 s4, s4, 48
	s_addc_u32 s5, s5, 0
	s_add_i32 s12, s12, 4
	s_add_u32 s2, s2, 16
	s_addc_u32 s3, s3, 0
	s_cmp_lg_u32 s10, s12
	s_waitcnt lgkmcnt(0)
	v_mul_hi_u32 v7, s21, v6
	s_delay_alu instid0(VALU_DEP_1) | instskip(NEXT) | instid1(VALU_DEP_1)
	v_add_nc_u32_e32 v7, v6, v7
	v_lshrrev_b32_e32 v7, s22, v7
	s_delay_alu instid0(VALU_DEP_1) | instskip(SKIP_1) | instid1(VALU_DEP_2)
	v_mul_hi_u32 v8, s24, v7
	v_mul_lo_u32 v11, v7, s20
	v_add_nc_u32_e32 v8, v7, v8
	s_delay_alu instid0(VALU_DEP_2) | instskip(NEXT) | instid1(VALU_DEP_2)
	v_sub_nc_u32_e32 v11, v6, v11
	v_lshrrev_b32_e32 v8, s25, v8
	s_delay_alu instid0(VALU_DEP_2) | instskip(NEXT) | instid1(VALU_DEP_2)
	v_mul_lo_u32 v11, v11, s36
	v_mul_hi_u32 v9, s27, v8
	v_mul_lo_u32 v12, v8, s23
	s_delay_alu instid0(VALU_DEP_2) | instskip(NEXT) | instid1(VALU_DEP_2)
	v_add_nc_u32_e32 v9, v8, v9
	v_sub_nc_u32_e32 v7, v7, v12
	s_delay_alu instid0(VALU_DEP_2) | instskip(NEXT) | instid1(VALU_DEP_2)
	v_lshrrev_b32_e32 v9, s28, v9
	v_mul_lo_u32 v7, v7, s37
	s_delay_alu instid0(VALU_DEP_2) | instskip(NEXT) | instid1(VALU_DEP_2)
	v_mul_hi_u32 v10, s30, v9
	v_add3_u32 v1, v11, v1, v7
	s_delay_alu instid0(VALU_DEP_2) | instskip(NEXT) | instid1(VALU_DEP_1)
	v_add_nc_u32_e32 v10, v9, v10
	v_lshrrev_b32_e32 v6, s31, v10
	v_mul_lo_u32 v10, v9, s26
	s_delay_alu instid0(VALU_DEP_2) | instskip(NEXT) | instid1(VALU_DEP_2)
	v_mul_lo_u32 v13, v6, s29
	v_sub_nc_u32_e32 v8, v8, v10
	s_delay_alu instid0(VALU_DEP_2) | instskip(NEXT) | instid1(VALU_DEP_2)
	v_sub_nc_u32_e32 v9, v9, v13
	v_mul_lo_u32 v8, v8, s38
	s_delay_alu instid0(VALU_DEP_2) | instskip(NEXT) | instid1(VALU_DEP_1)
	v_mul_lo_u32 v9, v9, s39
	v_add3_u32 v1, v8, v1, v9
	s_cbranch_scc1 .LBB159_190
; %bb.191:
	s_and_b32 s9, s9, 3
	s_delay_alu instid0(SALU_CYCLE_1)
	s_cmp_eq_u32 s9, 0
	s_cbranch_scc0 .LBB159_194
	s_branch .LBB159_196
.LBB159_192:
	s_mov_b32 s8, -1
                                        ; implicit-def: $vgpr1
	s_branch .LBB159_196
.LBB159_193:
	v_mov_b32_e32 v6, v5
	s_and_b32 s9, s9, 3
	s_delay_alu instid0(SALU_CYCLE_1)
	s_cmp_eq_u32 s9, 0
	s_cbranch_scc1 .LBB159_196
.LBB159_194:
	s_lshl_b32 s2, s10, 2
	s_mul_i32 s4, s10, 12
	s_add_u32 s2, s2, s16
	s_addc_u32 s3, 0, s17
	s_add_u32 s2, s2, 0xc4
	s_addc_u32 s3, s3, 0
	;; [unrolled: 2-line block ×3, first 2 shown]
	.p2align	6
.LBB159_195:                            ; =>This Inner Loop Header: Depth=1
	s_clause 0x1
	s_load_b64 s[12:13], s[4:5], 0x4
	s_load_b32 s10, s[4:5], 0xc
	s_add_u32 s4, s4, 12
	s_addc_u32 s5, s5, 0
	s_waitcnt lgkmcnt(0)
	v_mul_hi_u32 v7, s13, v6
	s_load_b32 s13, s[2:3], 0x0
	s_add_u32 s2, s2, 4
	s_addc_u32 s3, s3, 0
	s_add_i32 s9, s9, -1
	s_delay_alu instid0(SALU_CYCLE_1) | instskip(NEXT) | instid1(VALU_DEP_1)
	s_cmp_lg_u32 s9, 0
	v_add_nc_u32_e32 v7, v6, v7
	s_delay_alu instid0(VALU_DEP_1) | instskip(NEXT) | instid1(VALU_DEP_1)
	v_lshrrev_b32_e32 v9, s10, v7
	v_mul_lo_u32 v7, v9, s12
	s_delay_alu instid0(VALU_DEP_1) | instskip(SKIP_1) | instid1(VALU_DEP_1)
	v_sub_nc_u32_e32 v6, v6, v7
	s_waitcnt lgkmcnt(0)
	v_mad_u64_u32 v[7:8], null, v6, s13, v[1:2]
	s_delay_alu instid0(VALU_DEP_1)
	v_dual_mov_b32 v6, v9 :: v_dual_mov_b32 v1, v7
	s_cbranch_scc1 .LBB159_195
.LBB159_196:
	s_and_not1_b32 vcc_lo, exec_lo, s8
	s_cbranch_vccnz .LBB159_199
; %bb.197:
	s_clause 0x1
	s_load_b128 s[12:15], s[16:17], 0x4
	s_load_b32 s2, s[16:17], 0xc4
	s_cmp_lt_u32 s11, 2
	s_waitcnt lgkmcnt(0)
	v_mul_hi_u32 v1, s13, v5
	s_delay_alu instid0(VALU_DEP_1) | instskip(NEXT) | instid1(VALU_DEP_1)
	v_add_nc_u32_e32 v1, v5, v1
	v_lshrrev_b32_e32 v6, s14, v1
	s_delay_alu instid0(VALU_DEP_1) | instskip(NEXT) | instid1(VALU_DEP_1)
	v_mul_lo_u32 v1, v6, s12
	v_sub_nc_u32_e32 v1, v5, v1
	s_delay_alu instid0(VALU_DEP_1)
	v_mul_lo_u32 v1, v1, s2
	s_cbranch_scc1 .LBB159_199
; %bb.198:
	s_clause 0x1
	s_load_b128 s[12:15], s[16:17], 0x10
	s_load_b32 s2, s[16:17], 0xc8
	s_waitcnt lgkmcnt(0)
	v_mul_hi_u32 v5, s13, v6
	s_delay_alu instid0(VALU_DEP_1) | instskip(NEXT) | instid1(VALU_DEP_1)
	v_add_nc_u32_e32 v5, v6, v5
	v_lshrrev_b32_e32 v5, s14, v5
	s_delay_alu instid0(VALU_DEP_1) | instskip(NEXT) | instid1(VALU_DEP_1)
	v_mul_lo_u32 v5, v5, s12
	v_sub_nc_u32_e32 v7, v6, v5
	s_delay_alu instid0(VALU_DEP_1) | instskip(NEXT) | instid1(VALU_DEP_1)
	v_mad_u64_u32 v[5:6], null, v7, s2, v[1:2]
	v_mov_b32_e32 v1, v5
.LBB159_199:
	v_cmp_ne_u32_e32 vcc_lo, 1, v0
	s_cbranch_vccnz .LBB159_205
; %bb.200:
	v_mov_b32_e32 v0, 0
	s_cmp_eq_u32 s11, 0
	s_mov_b32 s8, 0
	s_cbranch_scc1 .LBB159_209
; %bb.201:
	s_min_u32 s9, s33, 15
	v_mov_b32_e32 v0, 0
	s_add_i32 s9, s9, 1
	s_cmp_eq_u32 s33, 2
	s_mov_b32 s10, 0
	s_cbranch_scc1 .LBB159_206
; %bb.202:
	v_dual_mov_b32 v0, 0 :: v_dual_mov_b32 v5, v4
	s_add_u32 s2, s16, 0xc4
	s_addc_u32 s3, s17, 0
	s_and_b32 s10, s9, 28
	s_mov_b32 s12, 0
	s_mov_b64 s[4:5], s[16:17]
.LBB159_203:                            ; =>This Inner Loop Header: Depth=1
	s_clause 0x1
	s_load_b256 s[20:27], s[4:5], 0x4
	s_load_b128 s[28:31], s[4:5], 0x24
	s_load_b128 s[36:39], s[2:3], 0x0
	s_add_u32 s4, s4, 48
	s_addc_u32 s5, s5, 0
	s_add_i32 s12, s12, 4
	s_add_u32 s2, s2, 16
	s_addc_u32 s3, s3, 0
	s_cmp_lg_u32 s10, s12
	s_waitcnt lgkmcnt(0)
	v_mul_hi_u32 v6, s21, v5
	s_delay_alu instid0(VALU_DEP_1) | instskip(NEXT) | instid1(VALU_DEP_1)
	v_add_nc_u32_e32 v6, v5, v6
	v_lshrrev_b32_e32 v6, s22, v6
	s_delay_alu instid0(VALU_DEP_1) | instskip(SKIP_1) | instid1(VALU_DEP_2)
	v_mul_hi_u32 v7, s24, v6
	v_mul_lo_u32 v10, v6, s20
	v_add_nc_u32_e32 v7, v6, v7
	s_delay_alu instid0(VALU_DEP_2) | instskip(NEXT) | instid1(VALU_DEP_2)
	v_sub_nc_u32_e32 v10, v5, v10
	v_lshrrev_b32_e32 v7, s25, v7
	s_delay_alu instid0(VALU_DEP_2) | instskip(NEXT) | instid1(VALU_DEP_2)
	v_mul_lo_u32 v10, v10, s36
	v_mul_hi_u32 v8, s27, v7
	v_mul_lo_u32 v11, v7, s23
	s_delay_alu instid0(VALU_DEP_2) | instskip(NEXT) | instid1(VALU_DEP_2)
	v_add_nc_u32_e32 v8, v7, v8
	v_sub_nc_u32_e32 v6, v6, v11
	s_delay_alu instid0(VALU_DEP_2) | instskip(NEXT) | instid1(VALU_DEP_2)
	v_lshrrev_b32_e32 v8, s28, v8
	v_mul_lo_u32 v6, v6, s37
	s_delay_alu instid0(VALU_DEP_2) | instskip(NEXT) | instid1(VALU_DEP_2)
	v_mul_hi_u32 v9, s30, v8
	v_add3_u32 v0, v10, v0, v6
	s_delay_alu instid0(VALU_DEP_2) | instskip(NEXT) | instid1(VALU_DEP_1)
	v_add_nc_u32_e32 v9, v8, v9
	v_lshrrev_b32_e32 v5, s31, v9
	v_mul_lo_u32 v9, v8, s26
	s_delay_alu instid0(VALU_DEP_2) | instskip(NEXT) | instid1(VALU_DEP_2)
	v_mul_lo_u32 v12, v5, s29
	v_sub_nc_u32_e32 v7, v7, v9
	s_delay_alu instid0(VALU_DEP_2) | instskip(NEXT) | instid1(VALU_DEP_2)
	v_sub_nc_u32_e32 v8, v8, v12
	v_mul_lo_u32 v7, v7, s38
	s_delay_alu instid0(VALU_DEP_2) | instskip(NEXT) | instid1(VALU_DEP_1)
	v_mul_lo_u32 v8, v8, s39
	v_add3_u32 v0, v7, v0, v8
	s_cbranch_scc1 .LBB159_203
; %bb.204:
	s_and_b32 s9, s9, 3
	s_delay_alu instid0(SALU_CYCLE_1)
	s_cmp_eq_u32 s9, 0
	s_cbranch_scc0 .LBB159_207
	s_branch .LBB159_209
.LBB159_205:
	s_mov_b32 s8, -1
                                        ; implicit-def: $vgpr0
	s_branch .LBB159_209
.LBB159_206:
	v_mov_b32_e32 v5, v4
	s_and_b32 s9, s9, 3
	s_delay_alu instid0(SALU_CYCLE_1)
	s_cmp_eq_u32 s9, 0
	s_cbranch_scc1 .LBB159_209
.LBB159_207:
	s_lshl_b32 s2, s10, 2
	s_mul_i32 s4, s10, 12
	s_add_u32 s2, s2, s16
	s_addc_u32 s3, 0, s17
	s_add_u32 s2, s2, 0xc4
	s_addc_u32 s3, s3, 0
	;; [unrolled: 2-line block ×3, first 2 shown]
	.p2align	6
.LBB159_208:                            ; =>This Inner Loop Header: Depth=1
	s_clause 0x1
	s_load_b64 s[12:13], s[4:5], 0x4
	s_load_b32 s10, s[4:5], 0xc
	s_add_u32 s4, s4, 12
	s_addc_u32 s5, s5, 0
	s_waitcnt lgkmcnt(0)
	v_mul_hi_u32 v6, s13, v5
	s_load_b32 s13, s[2:3], 0x0
	s_add_u32 s2, s2, 4
	s_addc_u32 s3, s3, 0
	s_add_i32 s9, s9, -1
	s_delay_alu instid0(SALU_CYCLE_1) | instskip(NEXT) | instid1(VALU_DEP_1)
	s_cmp_lg_u32 s9, 0
	v_add_nc_u32_e32 v6, v5, v6
	s_delay_alu instid0(VALU_DEP_1) | instskip(NEXT) | instid1(VALU_DEP_1)
	v_lshrrev_b32_e32 v8, s10, v6
	v_mul_lo_u32 v6, v8, s12
	s_delay_alu instid0(VALU_DEP_1) | instskip(SKIP_1) | instid1(VALU_DEP_1)
	v_sub_nc_u32_e32 v5, v5, v6
	s_waitcnt lgkmcnt(0)
	v_mad_u64_u32 v[6:7], null, v5, s13, v[0:1]
	s_delay_alu instid0(VALU_DEP_1)
	v_dual_mov_b32 v5, v8 :: v_dual_mov_b32 v0, v6
	s_cbranch_scc1 .LBB159_208
.LBB159_209:
	s_and_not1_b32 vcc_lo, exec_lo, s8
	s_cbranch_vccnz .LBB159_212
; %bb.210:
	s_clause 0x1
	s_load_b128 s[12:15], s[16:17], 0x4
	s_load_b32 s2, s[16:17], 0xc4
	s_cmp_lt_u32 s11, 2
	s_waitcnt lgkmcnt(0)
	v_mul_hi_u32 v0, s13, v4
	s_delay_alu instid0(VALU_DEP_1) | instskip(NEXT) | instid1(VALU_DEP_1)
	v_add_nc_u32_e32 v0, v4, v0
	v_lshrrev_b32_e32 v5, s14, v0
	s_delay_alu instid0(VALU_DEP_1) | instskip(NEXT) | instid1(VALU_DEP_1)
	v_mul_lo_u32 v0, v5, s12
	v_sub_nc_u32_e32 v0, v4, v0
	s_delay_alu instid0(VALU_DEP_1)
	v_mul_lo_u32 v0, v0, s2
	s_cbranch_scc1 .LBB159_212
; %bb.211:
	s_clause 0x1
	s_load_b128 s[8:11], s[16:17], 0x10
	s_load_b32 s2, s[16:17], 0xc8
	s_waitcnt lgkmcnt(0)
	v_mul_hi_u32 v4, s9, v5
	s_delay_alu instid0(VALU_DEP_1) | instskip(NEXT) | instid1(VALU_DEP_1)
	v_add_nc_u32_e32 v4, v5, v4
	v_lshrrev_b32_e32 v4, s10, v4
	s_delay_alu instid0(VALU_DEP_1) | instskip(NEXT) | instid1(VALU_DEP_1)
	v_mul_lo_u32 v4, v4, s8
	v_sub_nc_u32_e32 v6, v5, v4
	s_delay_alu instid0(VALU_DEP_1) | instskip(NEXT) | instid1(VALU_DEP_1)
	v_mad_u64_u32 v[4:5], null, v6, s2, v[0:1]
	v_mov_b32_e32 v0, v4
.LBB159_212:
	s_clause 0x2
	s_load_b32 s3, s[0:1], 0x118
	s_load_b64 s[0:1], s[16:17], 0x108
	s_load_b32 s2, s[16:17], 0x110
	s_mov_b32 s5, 0
	s_mov_b32 s4, -1
	s_waitcnt lgkmcnt(0)
	s_lshr_b32 s3, s3, 16
	s_delay_alu instid0(SALU_CYCLE_1) | instskip(SKIP_1) | instid1(VALU_DEP_1)
	v_and_b32_e64 v5, 0xff, s3
	v_add_co_u32 v3, s3, s0, v3
	v_add_co_ci_u32_e64 v4, null, s1, 0, s3
	s_delay_alu instid0(VALU_DEP_3)
	v_cmp_gt_i16_e32 vcc_lo, 11, v5
	s_mov_b32 s3, s6
	s_cbranch_vccnz .LBB159_471
; %bb.213:
	v_cmp_lt_i16_e32 vcc_lo, 25, v5
	s_mov_b32 s8, -1
	s_mov_b32 s4, 0
	s_mov_b32 s3, 0
	s_cbranch_vccz .LBB159_306
; %bb.214:
	v_cmp_lt_i16_e32 vcc_lo, 28, v5
	s_cbranch_vccz .LBB159_229
; %bb.215:
	v_cmp_lt_i16_e32 vcc_lo, 43, v5
	;; [unrolled: 3-line block ×3, first 2 shown]
	s_cbranch_vccz .LBB159_219
; %bb.217:
	v_cmp_eq_u16_e32 vcc_lo, 46, v5
	s_mov_b32 s3, -1
	s_mov_b32 s8, 0
	s_cbranch_vccz .LBB159_219
; %bb.218:
	s_and_b32 s3, 0xffff, s2
	s_mov_b32 s5, -1
	v_cvt_f32_u32_e32 v6, s3
	s_mov_b32 s3, 0
	s_delay_alu instid0(VALU_DEP_1) | instskip(NEXT) | instid1(VALU_DEP_1)
	v_bfe_u32 v7, v6, 16, 1
	v_add_nc_u32_e32 v6, v6, v7
	s_delay_alu instid0(VALU_DEP_1) | instskip(NEXT) | instid1(VALU_DEP_1)
	v_add_nc_u32_e32 v6, 0x7fff, v6
	v_lshrrev_b32_e32 v6, 16, v6
	global_store_b32 v[3:4], v6, off
.LBB159_219:
	s_and_b32 vcc_lo, exec_lo, s8
	s_cbranch_vccz .LBB159_224
; %bb.220:
	v_cmp_eq_u16_e32 vcc_lo, 44, v5
	s_mov_b32 s3, -1
	s_cbranch_vccz .LBB159_224
; %bb.221:
	s_and_b32 s3, 0xffff, s2
	s_delay_alu instid0(SALU_CYCLE_1) | instskip(NEXT) | instid1(VALU_DEP_1)
	v_cvt_f32_u32_e32 v6, s3
	v_readfirstlane_b32 s5, v6
	v_mov_b32_e32 v6, 0xff
	s_delay_alu instid0(VALU_DEP_2) | instskip(NEXT) | instid1(SALU_CYCLE_1)
	s_lshr_b32 s3, s5, 23
	s_cmpk_eq_i32 s3, 0xff
	s_cbranch_scc1 .LBB159_223
; %bb.222:
	s_bitcmp1_b32 s5, 22
	s_cselect_b32 s8, -1, 0
	s_and_b32 s5, s5, 0x3fffff
	s_delay_alu instid0(SALU_CYCLE_1) | instskip(NEXT) | instid1(SALU_CYCLE_1)
	s_or_b32 s5, s3, s5
	s_cmp_lg_u32 s5, 0
	s_cselect_b32 s5, -1, 0
	s_delay_alu instid0(SALU_CYCLE_1) | instskip(NEXT) | instid1(SALU_CYCLE_1)
	s_and_b32 s5, s8, s5
	v_cndmask_b32_e64 v6, 0, 1, s5
	s_delay_alu instid0(VALU_DEP_1)
	v_add_nc_u32_e32 v6, s3, v6
.LBB159_223:
	s_mov_b32 s3, 0
	s_mov_b32 s5, -1
	global_store_b8 v[3:4], v6, off
.LBB159_224:
	s_mov_b32 s8, 0
.LBB159_225:
	s_delay_alu instid0(SALU_CYCLE_1)
	s_and_b32 vcc_lo, exec_lo, s8
	s_cbranch_vccz .LBB159_228
; %bb.226:
	v_cmp_eq_u16_e32 vcc_lo, 29, v5
	s_mov_b32 s3, -1
	s_cbranch_vccz .LBB159_228
; %bb.227:
	s_and_b32 s3, s2, 0xffff
	s_mov_b32 s5, -1
	v_dual_mov_b32 v6, s3 :: v_dual_mov_b32 v7, 0
	s_mov_b32 s3, 0
	global_store_b64 v[3:4], v[6:7], off
.LBB159_228:
	s_mov_b32 s8, 0
.LBB159_229:
	s_delay_alu instid0(SALU_CYCLE_1)
	s_and_b32 vcc_lo, exec_lo, s8
	s_cbranch_vccz .LBB159_305
; %bb.230:
	v_cmp_gt_i16_e32 vcc_lo, 27, v5
	s_mov_b32 s5, -1
	s_cbranch_vccnz .LBB159_236
; %bb.231:
	v_cmp_lt_i16_e32 vcc_lo, 27, v5
	s_cbranch_vccz .LBB159_233
; %bb.232:
	s_and_b32 s5, 0xffff, s2
	s_delay_alu instid0(SALU_CYCLE_1)
	v_mov_b32_e32 v6, s5
	s_mov_b32 s5, 0
	global_store_b32 v[3:4], v6, off
.LBB159_233:
	s_and_not1_b32 vcc_lo, exec_lo, s5
	s_cbranch_vccnz .LBB159_235
; %bb.234:
	v_mov_b32_e32 v6, s2
	global_store_b16 v[3:4], v6, off
.LBB159_235:
	s_mov_b32 s5, 0
.LBB159_236:
	s_delay_alu instid0(SALU_CYCLE_1)
	s_and_not1_b32 vcc_lo, exec_lo, s5
	s_cbranch_vccnz .LBB159_304
; %bb.237:
	s_and_b32 s5, 0xffff, s2
	v_mov_b32_e32 v8, 0x80
	v_cvt_f32_u32_e32 v6, s5
	s_delay_alu instid0(VALU_DEP_1)
	v_cmp_lt_u32_e32 vcc_lo, 0x437fffff, v6
	v_readfirstlane_b32 s5, v6
	s_cbranch_vccnz .LBB159_303
; %bb.238:
	s_delay_alu instid0(VALU_DEP_1)
	s_cmp_gt_u32 s5, 0x3bffffff
	s_cbranch_scc0 .LBB159_298
; %bb.239:
	s_bfe_u32 s8, s5, 0x10014
	s_delay_alu instid0(SALU_CYCLE_1) | instskip(SKIP_2) | instid1(SALU_CYCLE_1)
	s_add_i32 s5, s5, s8
	s_mov_b32 s8, 0
	s_add_i32 s5, s5, 0x487ffff
	s_lshr_b32 s9, s5, 20
	s_mov_b32 s5, -1
	s_branch .LBB159_299
.LBB159_240:
                                        ; implicit-def: $vgpr2
	s_branch .LBB159_246
.LBB159_241:
	v_mov_b32_e32 v3, v9
.LBB159_242:
	s_and_b32 s49, s49, 3
	s_delay_alu instid0(SALU_CYCLE_1)
	s_cmp_eq_u32 s49, 0
	s_cbranch_scc1 .LBB159_245
; %bb.243:
	s_lshl_b32 s28, s47, 2
	s_mul_i32 s30, s47, 12
	s_add_u32 s28, s28, s16
	s_addc_u32 s29, s17, 0
	s_add_u32 s28, s28, 0xc4
	s_addc_u32 s29, s29, 0
	;; [unrolled: 2-line block ×3, first 2 shown]
	.p2align	6
.LBB159_244:                            ; =>This Inner Loop Header: Depth=1
	s_clause 0x1
	s_load_b64 s[50:51], s[30:31], 0x4
	s_load_b32 s47, s[30:31], 0xc
	s_add_u32 s30, s30, 12
	s_addc_u32 s31, s31, 0
	s_waitcnt lgkmcnt(0)
	v_mul_hi_u32 v5, s51, v3
	s_load_b32 s51, s[28:29], 0x0
	s_add_u32 s28, s28, 4
	s_addc_u32 s29, s29, 0
	s_add_i32 s49, s49, -1
	s_delay_alu instid0(SALU_CYCLE_1) | instskip(NEXT) | instid1(VALU_DEP_1)
	s_cmp_lg_u32 s49, 0
	v_add_nc_u32_e32 v5, v3, v5
	s_delay_alu instid0(VALU_DEP_1) | instskip(NEXT) | instid1(VALU_DEP_1)
	v_lshrrev_b32_e32 v7, s47, v5
	v_mul_lo_u32 v5, v7, s50
	s_delay_alu instid0(VALU_DEP_1) | instskip(SKIP_1) | instid1(VALU_DEP_1)
	v_sub_nc_u32_e32 v3, v3, v5
	s_waitcnt lgkmcnt(0)
	v_mad_u64_u32 v[5:6], null, v3, s51, v[2:3]
	s_delay_alu instid0(VALU_DEP_1)
	v_dual_mov_b32 v3, v7 :: v_dual_mov_b32 v2, v5
	s_cbranch_scc1 .LBB159_244
.LBB159_245:
	s_cbranch_execnz .LBB159_248
.LBB159_246:
	v_mul_hi_u32 v2, s13, v9
	s_and_not1_b32 vcc_lo, exec_lo, s41
	s_delay_alu instid0(VALU_DEP_1) | instskip(NEXT) | instid1(VALU_DEP_1)
	v_add_nc_u32_e32 v2, v9, v2
	v_lshrrev_b32_e32 v3, s14, v2
	s_delay_alu instid0(VALU_DEP_1) | instskip(NEXT) | instid1(VALU_DEP_1)
	v_mul_lo_u32 v2, v3, s12
	v_sub_nc_u32_e32 v2, v9, v2
	s_delay_alu instid0(VALU_DEP_1)
	v_mul_lo_u32 v2, v2, s22
	s_cbranch_vccnz .LBB159_248
; %bb.247:
	v_mul_hi_u32 v5, s24, v3
	s_delay_alu instid0(VALU_DEP_1) | instskip(NEXT) | instid1(VALU_DEP_1)
	v_add_nc_u32_e32 v5, v3, v5
	v_lshrrev_b32_e32 v5, s25, v5
	s_delay_alu instid0(VALU_DEP_1) | instskip(NEXT) | instid1(VALU_DEP_1)
	v_mul_lo_u32 v5, v5, s15
	v_sub_nc_u32_e32 v3, v3, v5
	s_delay_alu instid0(VALU_DEP_1) | instskip(NEXT) | instid1(VALU_DEP_1)
	v_mad_u64_u32 v[5:6], null, v3, s23, v[2:3]
	v_mov_b32_e32 v2, v5
.LBB159_248:
	v_and_b32_e64 v24, 0xff, s40
	s_delay_alu instid0(VALU_DEP_2) | instskip(NEXT) | instid1(VALU_DEP_1)
	v_add_co_u32 v6, s28, s20, v2
	v_add_co_ci_u32_e64 v7, null, s21, 0, s28
	s_delay_alu instid0(VALU_DEP_3)
	v_cmp_gt_i16_e32 vcc_lo, 11, v24
	s_mov_b32 s29, 0
	s_mov_b32 s30, -1
	s_mov_b32 s28, s45
	s_cbranch_vccnz .LBB159_255
; %bb.249:
	v_cmp_lt_i16_e32 vcc_lo, 25, v24
	s_cbranch_vccz .LBB159_295
; %bb.250:
	v_cmp_lt_i16_e32 vcc_lo, 28, v24
	s_cbranch_vccz .LBB159_296
	;; [unrolled: 3-line block ×4, first 2 shown]
; %bb.253:
	v_cmp_eq_u16_e32 vcc_lo, 46, v24
	s_mov_b32 s30, 0
	s_mov_b32 s28, -1
	s_cbranch_vccz .LBB159_314
; %bb.254:
	s_mov_b32 s29, -1
	s_mov_b32 s28, 0
	global_store_b32 v[6:7], v12, off
	s_branch .LBB159_314
.LBB159_255:
	s_and_b32 vcc_lo, exec_lo, s30
	s_cbranch_vccz .LBB159_359
; %bb.256:
	v_cmp_gt_i16_e32 vcc_lo, 5, v24
	s_mov_b32 s29, -1
	s_cbranch_vccnz .LBB159_277
; %bb.257:
	v_cmp_gt_i16_e32 vcc_lo, 8, v24
	s_cbranch_vccnz .LBB159_267
; %bb.258:
	v_cmp_gt_i16_e32 vcc_lo, 9, v24
	s_cbranch_vccnz .LBB159_264
; %bb.259:
	v_cmp_lt_i16_e32 vcc_lo, 9, v24
	s_cbranch_vccz .LBB159_261
; %bb.260:
	v_mov_b32_e32 v2, 0
	s_mov_b32 s29, 0
	s_delay_alu instid0(VALU_DEP_1)
	v_mov_b32_e32 v3, v2
	global_store_b128 v[6:7], v[0:3], off
.LBB159_261:
	s_and_not1_b32 vcc_lo, exec_lo, s29
	s_cbranch_vccnz .LBB159_263
; %bb.262:
	v_mov_b32_e32 v5, 0
	global_store_b64 v[6:7], v[4:5], off
.LBB159_263:
	s_mov_b32 s29, 0
.LBB159_264:
	s_delay_alu instid0(SALU_CYCLE_1)
	s_and_not1_b32 vcc_lo, exec_lo, s29
	s_cbranch_vccnz .LBB159_266
; %bb.265:
	global_store_b32 v[6:7], v10, off
.LBB159_266:
	s_mov_b32 s29, 0
.LBB159_267:
	s_delay_alu instid0(SALU_CYCLE_1)
	s_and_not1_b32 vcc_lo, exec_lo, s29
	s_cbranch_vccnz .LBB159_276
; %bb.268:
	v_cmp_gt_i16_e32 vcc_lo, 6, v24
	s_mov_b32 s29, -1
	s_cbranch_vccnz .LBB159_274
; %bb.269:
	v_cmp_lt_i16_e32 vcc_lo, 6, v24
	s_cbranch_vccz .LBB159_271
; %bb.270:
	s_mov_b32 s29, 0
	global_store_b64 v[6:7], v[0:1], off
.LBB159_271:
	s_and_not1_b32 vcc_lo, exec_lo, s29
	s_cbranch_vccnz .LBB159_273
; %bb.272:
	global_store_b32 v[6:7], v4, off
.LBB159_273:
	s_mov_b32 s29, 0
.LBB159_274:
	s_delay_alu instid0(SALU_CYCLE_1)
	s_and_not1_b32 vcc_lo, exec_lo, s29
	s_cbranch_vccnz .LBB159_276
; %bb.275:
	global_store_b16 v[6:7], v8, off
.LBB159_276:
	s_mov_b32 s29, 0
.LBB159_277:
	s_delay_alu instid0(SALU_CYCLE_1)
	s_and_not1_b32 vcc_lo, exec_lo, s29
	s_cbranch_vccnz .LBB159_293
; %bb.278:
	v_cmp_gt_i16_e32 vcc_lo, 2, v24
	s_mov_b32 s29, -1
	s_cbranch_vccnz .LBB159_288
; %bb.279:
	v_cmp_gt_i16_e32 vcc_lo, 3, v24
	s_cbranch_vccnz .LBB159_285
; %bb.280:
	v_cmp_lt_i16_e32 vcc_lo, 3, v24
	s_cbranch_vccz .LBB159_282
; %bb.281:
	v_dual_mov_b32 v2, s18 :: v_dual_mov_b32 v3, s19
	s_mov_b32 s29, 0
	global_store_b64 v[6:7], v[2:3], off
.LBB159_282:
	s_and_not1_b32 vcc_lo, exec_lo, s29
	s_cbranch_vccnz .LBB159_284
; %bb.283:
	v_mov_b32_e32 v2, s18
	global_store_b32 v[6:7], v2, off
.LBB159_284:
	s_mov_b32 s29, 0
.LBB159_285:
	s_delay_alu instid0(SALU_CYCLE_1)
	s_and_not1_b32 vcc_lo, exec_lo, s29
	s_cbranch_vccnz .LBB159_287
; %bb.286:
	v_mov_b32_e32 v2, s37
	global_store_b16 v[6:7], v2, off
.LBB159_287:
	s_mov_b32 s29, 0
.LBB159_288:
	s_delay_alu instid0(SALU_CYCLE_1)
	s_and_not1_b32 vcc_lo, exec_lo, s29
	s_cbranch_vccnz .LBB159_293
; %bb.289:
	v_cmp_lt_i16_e32 vcc_lo, 0, v24
	s_mov_b32 s29, -1
	s_cbranch_vccz .LBB159_291
; %bb.290:
	v_mov_b32_e32 v2, s37
	s_mov_b32 s29, 0
	global_store_b8 v[6:7], v2, off
.LBB159_291:
	s_and_not1_b32 vcc_lo, exec_lo, s29
	s_cbranch_vccnz .LBB159_293
; %bb.292:
	v_mov_b32_e32 v2, s37
	global_store_b8 v[6:7], v2, off
.LBB159_293:
	s_branch .LBB159_360
.LBB159_294:
	s_mov_b32 s29, 0
                                        ; implicit-def: $vgpr9
	s_branch .LBB159_361
.LBB159_295:
	s_mov_b32 s28, s45
	s_branch .LBB159_336
.LBB159_296:
	s_mov_b32 s28, s45
	s_branch .LBB159_322
.LBB159_297:
	s_mov_b32 s28, s45
	s_branch .LBB159_318
.LBB159_298:
	s_mov_b32 s8, -1
	s_mov_b32 s5, 0
                                        ; implicit-def: $sgpr9
.LBB159_299:
	v_mov_b32_e32 v7, s9
	s_and_not1_b32 vcc_lo, exec_lo, s8
                                        ; implicit-def: $sgpr8
	s_cbranch_vccnz .LBB159_301
; %bb.300:
	v_add_f32_e32 v6, 0x46000000, v6
	s_mov_b32 s8, 0
	s_delay_alu instid0(VALU_DEP_1) | instskip(NEXT) | instid1(VALU_DEP_1)
	v_and_b32_e32 v7, 0xff, v6
	v_cmp_ne_u32_e64 s5, 0, v7
.LBB159_301:
	v_mov_b32_e32 v8, s8
	s_delay_alu instid0(VALU_DEP_2)
	s_and_not1_b32 vcc_lo, exec_lo, s5
	s_cbranch_vccnz .LBB159_303
; %bb.302:
	v_mov_b32_e32 v8, v7
.LBB159_303:
	global_store_b8 v[3:4], v8, off
.LBB159_304:
	s_mov_b32 s5, -1
.LBB159_305:
	s_mov_b32 s8, 0
.LBB159_306:
	s_delay_alu instid0(SALU_CYCLE_1)
	s_and_b32 vcc_lo, exec_lo, s8
	s_cbranch_vccz .LBB159_467
; %bb.307:
	v_cmp_lt_i16_e32 vcc_lo, 22, v5
	s_mov_b32 s4, -1
	s_cbranch_vccz .LBB159_460
; %bb.308:
	v_cmp_gt_i16_e32 vcc_lo, 24, v5
	s_cbranch_vccnz .LBB159_447
; %bb.309:
	v_cmp_lt_i16_e32 vcc_lo, 24, v5
	s_cbranch_vccz .LBB159_434
; %bb.310:
	s_and_b32 s4, 0xffff, s2
	v_mov_b32_e32 v8, 0x80
	v_cvt_f32_u32_e32 v6, s4
	s_delay_alu instid0(VALU_DEP_1)
	v_cmp_lt_u32_e32 vcc_lo, 0x477fffff, v6
	v_readfirstlane_b32 s4, v6
	s_cbranch_vccnz .LBB159_433
; %bb.311:
	s_delay_alu instid0(VALU_DEP_1)
	s_cmp_gt_u32 s4, 0x37ffffff
	s_cbranch_scc0 .LBB159_428
; %bb.312:
	s_bfe_u32 s5, s4, 0x10015
	s_delay_alu instid0(SALU_CYCLE_1) | instskip(SKIP_2) | instid1(SALU_CYCLE_1)
	s_add_i32 s4, s4, s5
	s_mov_b32 s5, 0
	s_add_i32 s4, s4, 0x88fffff
	s_lshr_b32 s8, s4, 21
	s_mov_b32 s4, -1
	s_branch .LBB159_429
.LBB159_313:
	s_mov_b32 s28, s45
.LBB159_314:
	s_and_b32 vcc_lo, exec_lo, s30
	s_cbranch_vccz .LBB159_317
; %bb.315:
	v_cmp_eq_u16_e32 vcc_lo, 44, v24
	s_mov_b32 s28, -1
	s_cbranch_vccz .LBB159_317
; %bb.316:
	v_cndmask_b32_e64 v2, v23, 0xff, s10
	s_mov_b32 s29, -1
	s_mov_b32 s28, 0
	global_store_b8 v[6:7], v2, off
.LBB159_317:
	s_mov_b32 s30, 0
.LBB159_318:
	s_delay_alu instid0(SALU_CYCLE_1)
	s_and_b32 vcc_lo, exec_lo, s30
	s_cbranch_vccz .LBB159_321
; %bb.319:
	v_cmp_eq_u16_e32 vcc_lo, 29, v24
	s_mov_b32 s28, -1
	s_cbranch_vccz .LBB159_321
; %bb.320:
	v_dual_mov_b32 v2, s18 :: v_dual_mov_b32 v3, s19
	s_mov_b32 s29, -1
	s_mov_b32 s28, 0
	s_mov_b32 s30, 0
	global_store_b64 v[6:7], v[2:3], off
	s_branch .LBB159_322
.LBB159_321:
	s_mov_b32 s30, 0
.LBB159_322:
	s_delay_alu instid0(SALU_CYCLE_1)
	s_and_b32 vcc_lo, exec_lo, s30
	s_cbranch_vccz .LBB159_335
; %bb.323:
	v_cmp_gt_i16_e32 vcc_lo, 27, v24
	s_mov_b32 s29, -1
	s_cbranch_vccnz .LBB159_329
; %bb.324:
	v_cmp_lt_i16_e32 vcc_lo, 27, v24
	s_cbranch_vccz .LBB159_326
; %bb.325:
	v_mov_b32_e32 v2, s18
	s_mov_b32 s29, 0
	global_store_b32 v[6:7], v2, off
.LBB159_326:
	s_and_not1_b32 vcc_lo, exec_lo, s29
	s_cbranch_vccnz .LBB159_328
; %bb.327:
	v_mov_b32_e32 v2, s37
	global_store_b16 v[6:7], v2, off
.LBB159_328:
	s_mov_b32 s29, 0
.LBB159_329:
	s_delay_alu instid0(SALU_CYCLE_1)
	s_and_not1_b32 vcc_lo, exec_lo, s29
	s_cbranch_vccnz .LBB159_334
; %bb.330:
	v_mov_b32_e32 v2, 0x80
	s_and_not1_b32 vcc_lo, exec_lo, s9
	s_cbranch_vccnz .LBB159_333
; %bb.331:
	v_mov_b32_e32 v2, 0
	s_or_b32 s29, s8, s39
	s_delay_alu instid0(SALU_CYCLE_1)
	s_and_not1_b32 vcc_lo, exec_lo, s29
	s_cbranch_vccnz .LBB159_333
; %bb.332:
	v_cndmask_b32_e64 v2, v21, v22, s8
.LBB159_333:
	global_store_b8 v[6:7], v2, off
.LBB159_334:
	s_mov_b32 s29, -1
.LBB159_335:
	s_mov_b32 s30, 0
.LBB159_336:
	s_delay_alu instid0(SALU_CYCLE_1)
	s_and_b32 vcc_lo, exec_lo, s30
	s_cbranch_vccz .LBB159_358
; %bb.337:
	v_cmp_lt_i16_e32 vcc_lo, 22, v24
	s_mov_b32 s30, -1
	s_cbranch_vccz .LBB159_350
; %bb.338:
	v_cmp_gt_i16_e32 vcc_lo, 24, v24
	s_mov_b32 s29, -1
	s_cbranch_vccnz .LBB159_347
; %bb.339:
	v_cmp_lt_i16_e32 vcc_lo, 24, v24
	s_cbranch_vccz .LBB159_344
; %bb.340:
	v_mov_b32_e32 v2, 0x80
	s_and_not1_b32 vcc_lo, exec_lo, s7
	s_cbranch_vccnz .LBB159_343
; %bb.341:
	v_mov_b32_e32 v2, 0
	s_or_b32 s29, s4, s38
	s_delay_alu instid0(SALU_CYCLE_1)
	s_and_not1_b32 vcc_lo, exec_lo, s29
	s_cbranch_vccnz .LBB159_343
; %bb.342:
	v_cndmask_b32_e64 v2, v14, v20, s4
.LBB159_343:
	s_mov_b32 s29, 0
	global_store_b8 v[6:7], v2, off
.LBB159_344:
	s_and_b32 vcc_lo, exec_lo, s29
	s_cbranch_vccz .LBB159_346
; %bb.345:
	v_cndmask_b32_e64 v2, v17, v18, s6
	s_delay_alu instid0(VALU_DEP_1)
	v_cndmask_b32_e64 v2, v2, v19, s5
	global_store_b8 v[6:7], v2, off
.LBB159_346:
	s_mov_b32 s29, 0
.LBB159_347:
	s_delay_alu instid0(SALU_CYCLE_1)
	s_and_not1_b32 vcc_lo, exec_lo, s29
	s_cbranch_vccnz .LBB159_349
; %bb.348:
	v_cndmask_b32_e64 v2, v13, v15, s3
	s_delay_alu instid0(VALU_DEP_1)
	v_cndmask_b32_e64 v2, v2, v16, s2
	global_store_b8 v[6:7], v2, off
.LBB159_349:
	s_mov_b32 s30, 0
	s_mov_b32 s29, -1
.LBB159_350:
	s_and_not1_b32 vcc_lo, exec_lo, s30
	s_cbranch_vccnz .LBB159_358
; %bb.351:
	v_cmp_lt_i16_e32 vcc_lo, 14, v24
	s_mov_b32 s30, -1
	s_cbranch_vccz .LBB159_355
; %bb.352:
	v_cmp_eq_u16_e32 vcc_lo, 15, v24
	s_mov_b32 s28, -1
	s_cbranch_vccz .LBB159_354
; %bb.353:
	s_mov_b32 s29, -1
	s_mov_b32 s28, 0
	global_store_b16 v[6:7], v12, off
.LBB159_354:
	s_mov_b32 s30, 0
.LBB159_355:
	s_delay_alu instid0(SALU_CYCLE_1)
	s_and_b32 vcc_lo, exec_lo, s30
	s_cbranch_vccz .LBB159_358
; %bb.356:
	v_cmp_eq_u16_e32 vcc_lo, 11, v24
	s_mov_b32 s28, -1
	s_cbranch_vccz .LBB159_358
; %bb.357:
	s_mov_b32 s29, -1
	s_mov_b32 s28, 0
	global_store_b8 v[6:7], v11, off
.LBB159_358:
.LBB159_359:
	s_and_not1_b32 vcc_lo, exec_lo, s29
	s_cbranch_vccnz .LBB159_294
.LBB159_360:
	v_add_nc_u32_e32 v9, 0x80, v9
	s_mov_b32 s29, -1
.LBB159_361:
	s_and_not1_b32 s30, s45, exec_lo
	s_and_b32 s28, s28, exec_lo
	s_delay_alu instid0(SALU_CYCLE_1)
	s_or_b32 s47, s30, s28
	s_or_not1_b32 s30, s29, exec_lo
.LBB159_362:
	s_or_b32 exec_lo, exec_lo, s48
	s_mov_b32 s28, 0
	s_mov_b32 s29, 0
                                        ; implicit-def: $vgpr24
                                        ; implicit-def: $vgpr6_vgpr7
	s_and_saveexec_b32 s48, s30
	s_cbranch_execz .LBB159_676
; %bb.363:
	s_mov_b32 s50, -1
	s_mov_b32 s30, s47
	s_mov_b32 s49, exec_lo
	v_cmpx_gt_i32_e64 s42, v9
	s_cbranch_execz .LBB159_607
; %bb.364:
	s_and_not1_b32 vcc_lo, exec_lo, s35
	s_cbranch_vccnz .LBB159_369
; %bb.365:
	v_mov_b32_e32 v2, 0
	s_and_not1_b32 vcc_lo, exec_lo, s44
	s_cbranch_vccnz .LBB159_374
; %bb.366:
	s_add_i32 s51, s43, 1
	s_cmp_eq_u32 s33, 2
	s_mov_b32 s50, 0
	s_cbranch_scc1 .LBB159_370
; %bb.367:
	v_dual_mov_b32 v2, 0 :: v_dual_mov_b32 v3, v9
	s_and_b32 s50, s51, 28
	s_mov_b32 s52, 0
	s_mov_b64 s[28:29], s[16:17]
	s_mov_b64 s[30:31], s[26:27]
.LBB159_368:                            ; =>This Inner Loop Header: Depth=1
	s_clause 0x1
	s_load_b256 s[56:63], s[28:29], 0x4
	s_load_b128 s[64:67], s[28:29], 0x24
	s_load_b128 s[68:71], s[30:31], 0x0
	s_add_u32 s28, s28, 48
	s_addc_u32 s29, s29, 0
	s_add_i32 s52, s52, 4
	s_add_u32 s30, s30, 16
	s_addc_u32 s31, s31, 0
	s_cmp_eq_u32 s50, s52
	s_waitcnt lgkmcnt(0)
	v_mul_hi_u32 v5, s57, v3
	s_delay_alu instid0(VALU_DEP_1) | instskip(NEXT) | instid1(VALU_DEP_1)
	v_add_nc_u32_e32 v5, v3, v5
	v_lshrrev_b32_e32 v5, s58, v5
	s_delay_alu instid0(VALU_DEP_1) | instskip(SKIP_1) | instid1(VALU_DEP_2)
	v_mul_hi_u32 v6, s60, v5
	v_mul_lo_u32 v25, v5, s56
	v_add_nc_u32_e32 v6, v5, v6
	s_delay_alu instid0(VALU_DEP_2) | instskip(NEXT) | instid1(VALU_DEP_2)
	v_sub_nc_u32_e32 v25, v3, v25
	v_lshrrev_b32_e32 v6, s61, v6
	s_delay_alu instid0(VALU_DEP_2) | instskip(NEXT) | instid1(VALU_DEP_2)
	v_mul_lo_u32 v25, v25, s68
	v_mul_hi_u32 v7, s63, v6
	v_mul_lo_u32 v26, v6, s59
	s_delay_alu instid0(VALU_DEP_2) | instskip(NEXT) | instid1(VALU_DEP_2)
	v_add_nc_u32_e32 v7, v6, v7
	v_sub_nc_u32_e32 v5, v5, v26
	s_delay_alu instid0(VALU_DEP_2) | instskip(NEXT) | instid1(VALU_DEP_2)
	v_lshrrev_b32_e32 v7, s64, v7
	v_mul_lo_u32 v5, v5, s69
	s_delay_alu instid0(VALU_DEP_2) | instskip(NEXT) | instid1(VALU_DEP_2)
	v_mul_hi_u32 v24, s66, v7
	v_add3_u32 v2, v25, v2, v5
	s_delay_alu instid0(VALU_DEP_2) | instskip(NEXT) | instid1(VALU_DEP_1)
	v_add_nc_u32_e32 v24, v7, v24
	v_lshrrev_b32_e32 v3, s67, v24
	v_mul_lo_u32 v24, v7, s62
	s_delay_alu instid0(VALU_DEP_2) | instskip(NEXT) | instid1(VALU_DEP_2)
	v_mul_lo_u32 v27, v3, s65
	v_sub_nc_u32_e32 v6, v6, v24
	s_delay_alu instid0(VALU_DEP_2) | instskip(NEXT) | instid1(VALU_DEP_2)
	v_sub_nc_u32_e32 v7, v7, v27
	v_mul_lo_u32 v6, v6, s70
	s_delay_alu instid0(VALU_DEP_2) | instskip(NEXT) | instid1(VALU_DEP_1)
	v_mul_lo_u32 v7, v7, s71
	v_add3_u32 v2, v6, v2, v7
	s_cbranch_scc0 .LBB159_368
	s_branch .LBB159_371
.LBB159_369:
	s_mov_b32 s28, -1
                                        ; implicit-def: $vgpr2
	s_branch .LBB159_375
.LBB159_370:
	v_mov_b32_e32 v3, v9
.LBB159_371:
	s_and_b32 s51, s51, 3
	s_delay_alu instid0(SALU_CYCLE_1)
	s_cmp_eq_u32 s51, 0
	s_cbranch_scc1 .LBB159_374
; %bb.372:
	s_lshl_b32 s28, s50, 2
	s_mul_i32 s30, s50, 12
	s_add_u32 s28, s28, s16
	s_addc_u32 s29, s17, 0
	s_add_u32 s28, s28, 0xc4
	s_addc_u32 s29, s29, 0
	;; [unrolled: 2-line block ×3, first 2 shown]
	.p2align	6
.LBB159_373:                            ; =>This Inner Loop Header: Depth=1
	s_clause 0x1
	s_load_b64 s[52:53], s[30:31], 0x4
	s_load_b32 s50, s[30:31], 0xc
	s_add_u32 s30, s30, 12
	s_addc_u32 s31, s31, 0
	s_waitcnt lgkmcnt(0)
	v_mul_hi_u32 v5, s53, v3
	s_load_b32 s53, s[28:29], 0x0
	s_add_u32 s28, s28, 4
	s_addc_u32 s29, s29, 0
	s_add_i32 s51, s51, -1
	s_delay_alu instid0(SALU_CYCLE_1) | instskip(NEXT) | instid1(VALU_DEP_1)
	s_cmp_lg_u32 s51, 0
	v_add_nc_u32_e32 v5, v3, v5
	s_delay_alu instid0(VALU_DEP_1) | instskip(NEXT) | instid1(VALU_DEP_1)
	v_lshrrev_b32_e32 v7, s50, v5
	v_mul_lo_u32 v5, v7, s52
	s_delay_alu instid0(VALU_DEP_1) | instskip(SKIP_1) | instid1(VALU_DEP_1)
	v_sub_nc_u32_e32 v3, v3, v5
	s_waitcnt lgkmcnt(0)
	v_mad_u64_u32 v[5:6], null, v3, s53, v[2:3]
	s_delay_alu instid0(VALU_DEP_1)
	v_dual_mov_b32 v3, v7 :: v_dual_mov_b32 v2, v5
	s_cbranch_scc1 .LBB159_373
.LBB159_374:
	s_mov_b32 s28, 0
.LBB159_375:
	s_delay_alu instid0(SALU_CYCLE_1)
	s_and_not1_b32 vcc_lo, exec_lo, s28
	s_cbranch_vccnz .LBB159_378
; %bb.376:
	v_mul_hi_u32 v2, s13, v9
	s_and_not1_b32 vcc_lo, exec_lo, s41
	s_delay_alu instid0(VALU_DEP_1) | instskip(NEXT) | instid1(VALU_DEP_1)
	v_add_nc_u32_e32 v2, v9, v2
	v_lshrrev_b32_e32 v3, s14, v2
	s_delay_alu instid0(VALU_DEP_1) | instskip(NEXT) | instid1(VALU_DEP_1)
	v_mul_lo_u32 v2, v3, s12
	v_sub_nc_u32_e32 v2, v9, v2
	s_delay_alu instid0(VALU_DEP_1)
	v_mul_lo_u32 v2, v2, s22
	s_cbranch_vccnz .LBB159_378
; %bb.377:
	v_mul_hi_u32 v5, s24, v3
	s_delay_alu instid0(VALU_DEP_1) | instskip(NEXT) | instid1(VALU_DEP_1)
	v_add_nc_u32_e32 v5, v3, v5
	v_lshrrev_b32_e32 v5, s25, v5
	s_delay_alu instid0(VALU_DEP_1) | instskip(NEXT) | instid1(VALU_DEP_1)
	v_mul_lo_u32 v5, v5, s15
	v_sub_nc_u32_e32 v3, v3, v5
	s_delay_alu instid0(VALU_DEP_1) | instskip(NEXT) | instid1(VALU_DEP_1)
	v_mad_u64_u32 v[5:6], null, v3, s23, v[2:3]
	v_mov_b32_e32 v2, v5
.LBB159_378:
	v_and_b32_e64 v24, 0xff, s40
	s_delay_alu instid0(VALU_DEP_2) | instskip(NEXT) | instid1(VALU_DEP_1)
	v_add_co_u32 v6, s28, s20, v2
	v_add_co_ci_u32_e64 v7, null, s21, 0, s28
	s_delay_alu instid0(VALU_DEP_3)
	v_cmp_gt_i16_e32 vcc_lo, 11, v24
	s_mov_b32 s29, 0
	s_mov_b32 s30, -1
	s_mov_b32 s28, s47
	s_cbranch_vccnz .LBB159_385
; %bb.379:
	v_cmp_lt_i16_e32 vcc_lo, 25, v24
	s_cbranch_vccz .LBB159_425
; %bb.380:
	v_cmp_lt_i16_e32 vcc_lo, 28, v24
	s_cbranch_vccz .LBB159_426
	;; [unrolled: 3-line block ×4, first 2 shown]
; %bb.383:
	v_cmp_eq_u16_e32 vcc_lo, 46, v24
	s_mov_b32 s30, 0
	s_mov_b32 s28, -1
	s_cbranch_vccz .LBB159_559
; %bb.384:
	s_mov_b32 s29, -1
	s_mov_b32 s28, 0
	global_store_b32 v[6:7], v12, off
	s_branch .LBB159_559
.LBB159_385:
	s_and_b32 vcc_lo, exec_lo, s30
	s_cbranch_vccz .LBB159_604
; %bb.386:
	v_cmp_gt_i16_e32 vcc_lo, 5, v24
	s_mov_b32 s29, -1
	s_cbranch_vccnz .LBB159_407
; %bb.387:
	v_cmp_gt_i16_e32 vcc_lo, 8, v24
	s_cbranch_vccnz .LBB159_397
; %bb.388:
	v_cmp_gt_i16_e32 vcc_lo, 9, v24
	s_cbranch_vccnz .LBB159_394
; %bb.389:
	v_cmp_lt_i16_e32 vcc_lo, 9, v24
	s_cbranch_vccz .LBB159_391
; %bb.390:
	v_mov_b32_e32 v2, 0
	s_mov_b32 s29, 0
	s_delay_alu instid0(VALU_DEP_1)
	v_mov_b32_e32 v3, v2
	global_store_b128 v[6:7], v[0:3], off
.LBB159_391:
	s_and_not1_b32 vcc_lo, exec_lo, s29
	s_cbranch_vccnz .LBB159_393
; %bb.392:
	v_mov_b32_e32 v5, 0
	global_store_b64 v[6:7], v[4:5], off
.LBB159_393:
	s_mov_b32 s29, 0
.LBB159_394:
	s_delay_alu instid0(SALU_CYCLE_1)
	s_and_not1_b32 vcc_lo, exec_lo, s29
	s_cbranch_vccnz .LBB159_396
; %bb.395:
	global_store_b32 v[6:7], v10, off
.LBB159_396:
	s_mov_b32 s29, 0
.LBB159_397:
	s_delay_alu instid0(SALU_CYCLE_1)
	s_and_not1_b32 vcc_lo, exec_lo, s29
	s_cbranch_vccnz .LBB159_406
; %bb.398:
	v_cmp_gt_i16_e32 vcc_lo, 6, v24
	s_mov_b32 s29, -1
	s_cbranch_vccnz .LBB159_404
; %bb.399:
	v_cmp_lt_i16_e32 vcc_lo, 6, v24
	s_cbranch_vccz .LBB159_401
; %bb.400:
	s_mov_b32 s29, 0
	global_store_b64 v[6:7], v[0:1], off
.LBB159_401:
	s_and_not1_b32 vcc_lo, exec_lo, s29
	s_cbranch_vccnz .LBB159_403
; %bb.402:
	global_store_b32 v[6:7], v4, off
.LBB159_403:
	s_mov_b32 s29, 0
.LBB159_404:
	s_delay_alu instid0(SALU_CYCLE_1)
	s_and_not1_b32 vcc_lo, exec_lo, s29
	s_cbranch_vccnz .LBB159_406
; %bb.405:
	global_store_b16 v[6:7], v8, off
.LBB159_406:
	s_mov_b32 s29, 0
.LBB159_407:
	s_delay_alu instid0(SALU_CYCLE_1)
	s_and_not1_b32 vcc_lo, exec_lo, s29
	s_cbranch_vccnz .LBB159_423
; %bb.408:
	v_cmp_gt_i16_e32 vcc_lo, 2, v24
	s_mov_b32 s29, -1
	s_cbranch_vccnz .LBB159_418
; %bb.409:
	v_cmp_gt_i16_e32 vcc_lo, 3, v24
	s_cbranch_vccnz .LBB159_415
; %bb.410:
	v_cmp_lt_i16_e32 vcc_lo, 3, v24
	s_cbranch_vccz .LBB159_412
; %bb.411:
	v_dual_mov_b32 v2, s18 :: v_dual_mov_b32 v3, s19
	s_mov_b32 s29, 0
	global_store_b64 v[6:7], v[2:3], off
.LBB159_412:
	s_and_not1_b32 vcc_lo, exec_lo, s29
	s_cbranch_vccnz .LBB159_414
; %bb.413:
	v_mov_b32_e32 v2, s18
	global_store_b32 v[6:7], v2, off
.LBB159_414:
	s_mov_b32 s29, 0
.LBB159_415:
	s_delay_alu instid0(SALU_CYCLE_1)
	s_and_not1_b32 vcc_lo, exec_lo, s29
	s_cbranch_vccnz .LBB159_417
; %bb.416:
	v_mov_b32_e32 v2, s37
	global_store_b16 v[6:7], v2, off
.LBB159_417:
	s_mov_b32 s29, 0
.LBB159_418:
	s_delay_alu instid0(SALU_CYCLE_1)
	s_and_not1_b32 vcc_lo, exec_lo, s29
	s_cbranch_vccnz .LBB159_423
; %bb.419:
	v_cmp_lt_i16_e32 vcc_lo, 0, v24
	s_mov_b32 s29, -1
	s_cbranch_vccz .LBB159_421
; %bb.420:
	v_mov_b32_e32 v2, s37
	s_mov_b32 s29, 0
	global_store_b8 v[6:7], v2, off
.LBB159_421:
	s_and_not1_b32 vcc_lo, exec_lo, s29
	s_cbranch_vccnz .LBB159_423
; %bb.422:
	v_mov_b32_e32 v2, s37
	global_store_b8 v[6:7], v2, off
.LBB159_423:
	s_branch .LBB159_605
.LBB159_424:
	s_mov_b32 s29, 0
                                        ; implicit-def: $vgpr9
	s_branch .LBB159_606
.LBB159_425:
	s_mov_b32 s28, s47
	s_branch .LBB159_581
.LBB159_426:
	s_mov_b32 s28, s47
	s_branch .LBB159_567
.LBB159_427:
	s_mov_b32 s28, s47
	s_branch .LBB159_563
.LBB159_428:
	s_mov_b32 s5, -1
	s_mov_b32 s4, 0
                                        ; implicit-def: $sgpr8
.LBB159_429:
	v_mov_b32_e32 v7, s8
	s_and_not1_b32 vcc_lo, exec_lo, s5
                                        ; implicit-def: $sgpr5
	s_cbranch_vccnz .LBB159_431
; %bb.430:
	v_add_f32_e32 v6, 0x42800000, v6
	s_mov_b32 s5, 0
	s_delay_alu instid0(VALU_DEP_1) | instskip(NEXT) | instid1(VALU_DEP_1)
	v_and_b32_e32 v7, 0xff, v6
	v_cmp_ne_u32_e64 s4, 0, v7
.LBB159_431:
	v_mov_b32_e32 v8, s5
	s_delay_alu instid0(VALU_DEP_2)
	s_and_not1_b32 vcc_lo, exec_lo, s4
	s_cbranch_vccnz .LBB159_433
; %bb.432:
	v_mov_b32_e32 v8, v7
.LBB159_433:
	s_mov_b32 s4, 0
	global_store_b8 v[3:4], v8, off
.LBB159_434:
	s_and_b32 vcc_lo, exec_lo, s4
	s_cbranch_vccz .LBB159_446
; %bb.435:
	s_and_b32 s4, 0xffff, s2
	s_delay_alu instid0(SALU_CYCLE_1) | instskip(NEXT) | instid1(VALU_DEP_1)
	v_cvt_f32_u32_e32 v6, s4
	v_cmp_gt_u32_e32 vcc_lo, 0x43f00000, v6
	v_readfirstlane_b32 s4, v6
	s_cbranch_vccz .LBB159_438
; %bb.436:
	s_delay_alu instid0(VALU_DEP_1)
	s_cmp_gt_u32 s4, 0x3c7fffff
	s_cbranch_scc0 .LBB159_439
; %bb.437:
	s_bfe_u32 s5, s4, 0x10014
	s_delay_alu instid0(SALU_CYCLE_1) | instskip(NEXT) | instid1(SALU_CYCLE_1)
	s_add_i32 s5, s4, s5
	s_add_i32 s5, s5, 0x407ffff
	s_delay_alu instid0(SALU_CYCLE_1)
	s_and_b32 s8, s5, 0xff00000
	s_lshr_b32 s5, s5, 20
	s_cmp_lg_u32 s8, 0x7f00000
	s_cselect_b32 s8, s5, 0x7e
	s_mov_b32 s5, 0
	s_branch .LBB159_440
.LBB159_438:
	s_mov_b32 s5, -1
                                        ; implicit-def: $vgpr7
	s_branch .LBB159_443
.LBB159_439:
	s_mov_b32 s5, -1
                                        ; implicit-def: $sgpr8
.LBB159_440:
	v_mov_b32_e32 v7, s8
	s_and_not1_b32 vcc_lo, exec_lo, s5
	s_cbranch_vccnz .LBB159_442
; %bb.441:
	v_add_f32_e32 v7, 0x46800000, v6
.LBB159_442:
	s_mov_b32 s5, 0
.LBB159_443:
	s_delay_alu instid0(SALU_CYCLE_1)
	s_and_not1_b32 vcc_lo, exec_lo, s5
	s_cbranch_vccnz .LBB159_445
; %bb.444:
	s_cmp_gt_u32 s4, 0x7f800000
	s_movk_i32 s4, 0x7f
	s_delay_alu instid0(SALU_CYCLE_1) | instskip(NEXT) | instid1(SALU_CYCLE_1)
	s_cselect_b32 s4, s4, 0x7e
	v_mov_b32_e32 v7, s4
.LBB159_445:
	global_store_b8 v[3:4], v7, off
.LBB159_446:
	s_mov_b32 s4, 0
.LBB159_447:
	s_delay_alu instid0(SALU_CYCLE_1)
	s_and_not1_b32 vcc_lo, exec_lo, s4
	s_cbranch_vccnz .LBB159_459
; %bb.448:
	s_and_b32 s4, 0xffff, s2
	s_delay_alu instid0(SALU_CYCLE_1) | instskip(NEXT) | instid1(VALU_DEP_1)
	v_cvt_f32_u32_e32 v6, s4
	v_cmp_gt_u32_e32 vcc_lo, 0x47800000, v6
	v_readfirstlane_b32 s4, v6
	s_cbranch_vccz .LBB159_451
; %bb.449:
	s_delay_alu instid0(VALU_DEP_1)
	s_cmp_gt_u32 s4, 0x387fffff
	s_cbranch_scc0 .LBB159_452
; %bb.450:
	s_bfe_u32 s5, s4, 0x10015
	s_delay_alu instid0(SALU_CYCLE_1) | instskip(NEXT) | instid1(SALU_CYCLE_1)
	s_add_i32 s5, s4, s5
	s_add_i32 s5, s5, 0x80fffff
	s_delay_alu instid0(SALU_CYCLE_1)
	s_lshr_b32 s8, s5, 21
	s_mov_b32 s5, 0
	s_branch .LBB159_453
.LBB159_451:
	s_mov_b32 s5, -1
                                        ; implicit-def: $vgpr7
	s_branch .LBB159_456
.LBB159_452:
	s_mov_b32 s5, -1
                                        ; implicit-def: $sgpr8
.LBB159_453:
	v_mov_b32_e32 v7, s8
	s_and_not1_b32 vcc_lo, exec_lo, s5
	s_cbranch_vccnz .LBB159_455
; %bb.454:
	v_add_f32_e32 v7, 0x43000000, v6
.LBB159_455:
	s_mov_b32 s5, 0
.LBB159_456:
	s_delay_alu instid0(SALU_CYCLE_1)
	s_and_not1_b32 vcc_lo, exec_lo, s5
	s_cbranch_vccnz .LBB159_458
; %bb.457:
	s_cmp_gt_u32 s4, 0x7f800000
	s_movk_i32 s4, 0x7f
	s_delay_alu instid0(SALU_CYCLE_1) | instskip(NEXT) | instid1(SALU_CYCLE_1)
	s_cselect_b32 s4, s4, 0x7c
	v_mov_b32_e32 v7, s4
.LBB159_458:
	global_store_b8 v[3:4], v7, off
.LBB159_459:
	s_mov_b32 s4, 0
	s_mov_b32 s5, -1
.LBB159_460:
	s_and_not1_b32 vcc_lo, exec_lo, s4
	s_mov_b32 s4, 0
	s_cbranch_vccnz .LBB159_467
; %bb.461:
	v_cmp_lt_i16_e32 vcc_lo, 14, v5
	s_mov_b32 s4, -1
	s_cbranch_vccz .LBB159_465
; %bb.462:
	v_cmp_eq_u16_e32 vcc_lo, 15, v5
	s_mov_b32 s3, -1
	s_cbranch_vccz .LBB159_464
; %bb.463:
	s_and_b32 s3, 0xffff, s2
	s_mov_b32 s5, -1
	v_cvt_f32_u32_e32 v6, s3
	s_mov_b32 s3, 0
	s_delay_alu instid0(VALU_DEP_1) | instskip(NEXT) | instid1(VALU_DEP_1)
	v_bfe_u32 v7, v6, 16, 1
	v_add_nc_u32_e32 v6, v6, v7
	s_delay_alu instid0(VALU_DEP_1)
	v_add_nc_u32_e32 v6, 0x7fff, v6
	global_store_d16_hi_b16 v[3:4], v6, off
.LBB159_464:
	s_mov_b32 s4, 0
.LBB159_465:
	s_delay_alu instid0(SALU_CYCLE_1)
	s_and_b32 vcc_lo, exec_lo, s4
	s_mov_b32 s4, 0
	s_cbranch_vccz .LBB159_467
; %bb.466:
	v_cmp_ne_u16_e64 s3, 11, v5
	s_mov_b32 s4, -1
.LBB159_467:
	s_delay_alu instid0(VALU_DEP_1)
	s_and_b32 vcc_lo, exec_lo, s3
	s_mov_b32 s3, s6
	s_cbranch_vccnz .LBB159_539
; %bb.468:
	s_and_not1_b32 vcc_lo, exec_lo, s4
	s_cbranch_vccnz .LBB159_470
.LBB159_469:
	v_cmp_ne_u16_e64 s4, s2, 0
	s_mov_b32 s5, -1
	s_delay_alu instid0(VALU_DEP_1)
	v_cndmask_b32_e64 v6, 0, 1, s4
	global_store_b8 v[3:4], v6, off
.LBB159_470:
	s_mov_b32 s4, 0
.LBB159_471:
	s_delay_alu instid0(SALU_CYCLE_1)
	s_and_b32 vcc_lo, exec_lo, s4
	s_cbranch_vccz .LBB159_510
; %bb.472:
	v_cmp_gt_i16_e32 vcc_lo, 5, v5
	s_mov_b32 s4, -1
	s_cbranch_vccnz .LBB159_493
; %bb.473:
	v_cmp_gt_i16_e32 vcc_lo, 8, v5
	s_cbranch_vccnz .LBB159_483
; %bb.474:
	v_cmp_gt_i16_e32 vcc_lo, 9, v5
	s_cbranch_vccnz .LBB159_480
; %bb.475:
	v_cmp_lt_i16_e32 vcc_lo, 9, v5
	s_cbranch_vccz .LBB159_477
; %bb.476:
	s_and_b32 s4, 0xffff, s2
	v_mov_b32_e32 v8, 0
	v_cvt_f64_u32_e32 v[6:7], s4
	s_mov_b32 s4, 0
	s_delay_alu instid0(VALU_DEP_2)
	v_mov_b32_e32 v9, v8
	global_store_b128 v[3:4], v[6:9], off
.LBB159_477:
	s_and_not1_b32 vcc_lo, exec_lo, s4
	s_cbranch_vccnz .LBB159_479
; %bb.478:
	s_and_b32 s4, 0xffff, s2
	v_mov_b32_e32 v7, 0
	v_cvt_f32_u32_e32 v6, s4
	global_store_b64 v[3:4], v[6:7], off
.LBB159_479:
	s_mov_b32 s4, 0
.LBB159_480:
	s_delay_alu instid0(SALU_CYCLE_1)
	s_and_not1_b32 vcc_lo, exec_lo, s4
	s_cbranch_vccnz .LBB159_482
; %bb.481:
	v_cvt_f16_u16_e32 v6, s2
	s_delay_alu instid0(VALU_DEP_1)
	v_and_b32_e32 v6, 0xffff, v6
	global_store_b32 v[3:4], v6, off
.LBB159_482:
	s_mov_b32 s4, 0
.LBB159_483:
	s_delay_alu instid0(SALU_CYCLE_1)
	s_and_not1_b32 vcc_lo, exec_lo, s4
	s_cbranch_vccnz .LBB159_492
; %bb.484:
	v_cmp_gt_i16_e32 vcc_lo, 6, v5
	s_mov_b32 s4, -1
	s_cbranch_vccnz .LBB159_490
; %bb.485:
	v_cmp_lt_i16_e32 vcc_lo, 6, v5
	s_cbranch_vccz .LBB159_487
; %bb.486:
	s_and_b32 s4, 0xffff, s2
	s_delay_alu instid0(SALU_CYCLE_1)
	v_cvt_f64_u32_e32 v[6:7], s4
	s_mov_b32 s4, 0
	global_store_b64 v[3:4], v[6:7], off
.LBB159_487:
	s_and_not1_b32 vcc_lo, exec_lo, s4
	s_cbranch_vccnz .LBB159_489
; %bb.488:
	s_and_b32 s4, 0xffff, s2
	s_delay_alu instid0(SALU_CYCLE_1)
	v_cvt_f32_u32_e32 v6, s4
	global_store_b32 v[3:4], v6, off
.LBB159_489:
	s_mov_b32 s4, 0
.LBB159_490:
	s_delay_alu instid0(SALU_CYCLE_1)
	s_and_not1_b32 vcc_lo, exec_lo, s4
	s_cbranch_vccnz .LBB159_492
; %bb.491:
	v_cvt_f16_u16_e32 v6, s2
	global_store_b16 v[3:4], v6, off
.LBB159_492:
	s_mov_b32 s4, 0
.LBB159_493:
	s_delay_alu instid0(SALU_CYCLE_1)
	s_and_not1_b32 vcc_lo, exec_lo, s4
	s_cbranch_vccnz .LBB159_509
; %bb.494:
	v_cmp_gt_i16_e32 vcc_lo, 2, v5
	s_mov_b32 s4, -1
	s_cbranch_vccnz .LBB159_504
; %bb.495:
	v_cmp_gt_i16_e32 vcc_lo, 3, v5
	s_cbranch_vccnz .LBB159_501
; %bb.496:
	v_cmp_lt_i16_e32 vcc_lo, 3, v5
	s_cbranch_vccz .LBB159_498
; %bb.497:
	s_and_b32 s4, s2, 0xffff
	s_delay_alu instid0(SALU_CYCLE_1)
	v_dual_mov_b32 v7, 0 :: v_dual_mov_b32 v6, s4
	s_mov_b32 s4, 0
	global_store_b64 v[3:4], v[6:7], off
.LBB159_498:
	s_and_not1_b32 vcc_lo, exec_lo, s4
	s_cbranch_vccnz .LBB159_500
; %bb.499:
	s_and_b32 s4, 0xffff, s2
	s_delay_alu instid0(SALU_CYCLE_1)
	v_mov_b32_e32 v6, s4
	global_store_b32 v[3:4], v6, off
.LBB159_500:
	s_mov_b32 s4, 0
.LBB159_501:
	s_delay_alu instid0(SALU_CYCLE_1)
	s_and_not1_b32 vcc_lo, exec_lo, s4
	s_cbranch_vccnz .LBB159_503
; %bb.502:
	v_mov_b32_e32 v6, s2
	global_store_b16 v[3:4], v6, off
.LBB159_503:
	s_mov_b32 s4, 0
.LBB159_504:
	s_delay_alu instid0(SALU_CYCLE_1)
	s_and_not1_b32 vcc_lo, exec_lo, s4
	s_cbranch_vccnz .LBB159_509
; %bb.505:
	v_cmp_lt_i16_e32 vcc_lo, 0, v5
	s_mov_b32 s4, -1
	s_cbranch_vccz .LBB159_507
; %bb.506:
	v_mov_b32_e32 v6, s2
	s_mov_b32 s4, 0
	global_store_b8 v[3:4], v6, off
.LBB159_507:
	s_and_not1_b32 vcc_lo, exec_lo, s4
	s_cbranch_vccnz .LBB159_509
; %bb.508:
	v_mov_b32_e32 v6, s2
	global_store_b8 v[3:4], v6, off
.LBB159_509:
	s_mov_b32 s5, -1
.LBB159_510:
	s_delay_alu instid0(SALU_CYCLE_1)
	s_and_not1_b32 vcc_lo, exec_lo, s5
	s_cbranch_vccnz .LBB159_923
; %bb.511:
	v_cmp_gt_i16_e32 vcc_lo, 11, v5
	v_add_co_u32 v2, s4, s0, v2
	s_delay_alu instid0(VALU_DEP_1)
	v_add_co_ci_u32_e64 v3, null, s1, 0, s4
	s_mov_b32 s8, 0
	s_mov_b32 s4, -1
	s_cbranch_vccnz .LBB159_724
; %bb.512:
	v_cmp_lt_i16_e32 vcc_lo, 25, v5
	s_mov_b32 s9, -1
	s_mov_b32 s5, 0
	s_mov_b32 s4, 0
	s_cbranch_vccz .LBB159_551
; %bb.513:
	v_cmp_lt_i16_e32 vcc_lo, 28, v5
	s_cbranch_vccz .LBB159_528
; %bb.514:
	v_cmp_lt_i16_e32 vcc_lo, 43, v5
	;; [unrolled: 3-line block ×3, first 2 shown]
	s_cbranch_vccz .LBB159_518
; %bb.516:
	v_cmp_eq_u16_e32 vcc_lo, 46, v5
	s_mov_b32 s4, -1
	s_mov_b32 s9, 0
	s_cbranch_vccz .LBB159_518
; %bb.517:
	s_and_b32 s4, 0xffff, s2
	s_mov_b32 s8, -1
	v_cvt_f32_u32_e32 v4, s4
	s_mov_b32 s4, 0
	s_delay_alu instid0(VALU_DEP_1) | instskip(NEXT) | instid1(VALU_DEP_1)
	v_bfe_u32 v6, v4, 16, 1
	v_add_nc_u32_e32 v4, v4, v6
	s_delay_alu instid0(VALU_DEP_1) | instskip(NEXT) | instid1(VALU_DEP_1)
	v_add_nc_u32_e32 v4, 0x7fff, v4
	v_lshrrev_b32_e32 v4, 16, v4
	global_store_b32 v[2:3], v4, off
.LBB159_518:
	s_and_b32 vcc_lo, exec_lo, s9
	s_cbranch_vccz .LBB159_523
; %bb.519:
	v_cmp_eq_u16_e32 vcc_lo, 44, v5
	s_mov_b32 s4, -1
	s_cbranch_vccz .LBB159_523
; %bb.520:
	s_and_b32 s4, 0xffff, s2
	s_delay_alu instid0(SALU_CYCLE_1) | instskip(NEXT) | instid1(VALU_DEP_1)
	v_cvt_f32_u32_e32 v4, s4
	v_readfirstlane_b32 s8, v4
	v_mov_b32_e32 v4, 0xff
	s_delay_alu instid0(VALU_DEP_2) | instskip(NEXT) | instid1(SALU_CYCLE_1)
	s_lshr_b32 s4, s8, 23
	s_cmpk_eq_i32 s4, 0xff
	s_cbranch_scc1 .LBB159_522
; %bb.521:
	s_bitcmp1_b32 s8, 22
	s_cselect_b32 s9, -1, 0
	s_and_b32 s8, s8, 0x3fffff
	s_delay_alu instid0(SALU_CYCLE_1) | instskip(NEXT) | instid1(SALU_CYCLE_1)
	s_or_b32 s8, s4, s8
	s_cmp_lg_u32 s8, 0
	s_cselect_b32 s8, -1, 0
	s_delay_alu instid0(SALU_CYCLE_1) | instskip(NEXT) | instid1(SALU_CYCLE_1)
	s_and_b32 s8, s9, s8
	v_cndmask_b32_e64 v4, 0, 1, s8
	s_delay_alu instid0(VALU_DEP_1)
	v_add_nc_u32_e32 v4, s4, v4
.LBB159_522:
	s_mov_b32 s4, 0
	s_mov_b32 s8, -1
	global_store_b8 v[2:3], v4, off
.LBB159_523:
	s_mov_b32 s9, 0
.LBB159_524:
	s_delay_alu instid0(SALU_CYCLE_1)
	s_and_b32 vcc_lo, exec_lo, s9
	s_cbranch_vccz .LBB159_527
; %bb.525:
	v_cmp_eq_u16_e32 vcc_lo, 29, v5
	s_mov_b32 s4, -1
	s_cbranch_vccz .LBB159_527
; %bb.526:
	s_and_b32 s4, s2, 0xffff
	s_mov_b32 s8, -1
	v_dual_mov_b32 v6, s4 :: v_dual_mov_b32 v7, 0
	s_mov_b32 s4, 0
	global_store_b64 v[2:3], v[6:7], off
.LBB159_527:
	s_mov_b32 s9, 0
.LBB159_528:
	s_delay_alu instid0(SALU_CYCLE_1)
	s_and_b32 vcc_lo, exec_lo, s9
	s_cbranch_vccz .LBB159_550
; %bb.529:
	v_cmp_gt_i16_e32 vcc_lo, 27, v5
	s_mov_b32 s8, -1
	s_cbranch_vccnz .LBB159_535
; %bb.530:
	v_cmp_lt_i16_e32 vcc_lo, 27, v5
	s_cbranch_vccz .LBB159_532
; %bb.531:
	s_and_b32 s8, 0xffff, s2
	s_delay_alu instid0(SALU_CYCLE_1)
	v_mov_b32_e32 v4, s8
	s_mov_b32 s8, 0
	global_store_b32 v[2:3], v4, off
.LBB159_532:
	s_and_not1_b32 vcc_lo, exec_lo, s8
	s_cbranch_vccnz .LBB159_534
; %bb.533:
	v_mov_b32_e32 v4, s2
	global_store_b16 v[2:3], v4, off
.LBB159_534:
	s_mov_b32 s8, 0
.LBB159_535:
	s_delay_alu instid0(SALU_CYCLE_1)
	s_and_not1_b32 vcc_lo, exec_lo, s8
	s_cbranch_vccnz .LBB159_549
; %bb.536:
	s_and_b32 s8, 0xffff, s2
	v_mov_b32_e32 v7, 0x80
	v_cvt_f32_u32_e32 v4, s8
	s_delay_alu instid0(VALU_DEP_1)
	v_cmp_lt_u32_e32 vcc_lo, 0x437fffff, v4
	v_readfirstlane_b32 s8, v4
	s_cbranch_vccnz .LBB159_548
; %bb.537:
	s_delay_alu instid0(VALU_DEP_1)
	s_cmp_gt_u32 s8, 0x3bffffff
	s_cbranch_scc0 .LBB159_543
; %bb.538:
	s_bfe_u32 s9, s8, 0x10014
	s_delay_alu instid0(SALU_CYCLE_1) | instskip(SKIP_2) | instid1(SALU_CYCLE_1)
	s_add_i32 s8, s8, s9
	s_mov_b32 s9, 0
	s_add_i32 s8, s8, 0x487ffff
	s_lshr_b32 s10, s8, 20
	s_mov_b32 s8, -1
	s_branch .LBB159_544
.LBB159_539:
	s_cbranch_execnz .LBB159_541
; %bb.540:
	s_or_b32 s3, s6, exec_lo
	s_cbranch_execz .LBB159_469
	s_branch .LBB159_470
.LBB159_541:
	s_trap 2
	s_sendmsg_rtn_b32 s0, sendmsg(MSG_RTN_GET_DOORBELL)
	s_mov_b32 ttmp2, m0
	s_waitcnt lgkmcnt(0)
	s_and_b32 s0, s0, 0x3ff
	s_delay_alu instid0(SALU_CYCLE_1) | instskip(NEXT) | instid1(SALU_CYCLE_1)
	s_bitset1_b32 s0, 10
	s_mov_b32 m0, s0
	s_sendmsg sendmsg(MSG_INTERRUPT)
	s_mov_b32 m0, ttmp2
.LBB159_542:                            ; =>This Inner Loop Header: Depth=1
	s_sethalt 5
	s_branch .LBB159_542
.LBB159_543:
	s_mov_b32 s9, -1
	s_mov_b32 s8, 0
                                        ; implicit-def: $sgpr10
.LBB159_544:
	v_mov_b32_e32 v6, s10
	s_and_not1_b32 vcc_lo, exec_lo, s9
                                        ; implicit-def: $sgpr9
	s_cbranch_vccnz .LBB159_546
; %bb.545:
	v_add_f32_e32 v4, 0x46000000, v4
	s_mov_b32 s9, 0
	s_delay_alu instid0(VALU_DEP_1) | instskip(NEXT) | instid1(VALU_DEP_1)
	v_and_b32_e32 v6, 0xff, v4
	v_cmp_ne_u32_e64 s8, 0, v6
.LBB159_546:
	v_mov_b32_e32 v7, s9
	s_delay_alu instid0(VALU_DEP_2)
	s_and_not1_b32 vcc_lo, exec_lo, s8
	s_cbranch_vccnz .LBB159_548
; %bb.547:
	v_mov_b32_e32 v7, v6
.LBB159_548:
	global_store_b8 v[2:3], v7, off
.LBB159_549:
	s_mov_b32 s8, -1
.LBB159_550:
	s_mov_b32 s9, 0
.LBB159_551:
	s_delay_alu instid0(SALU_CYCLE_1)
	s_and_b32 vcc_lo, exec_lo, s9
	s_cbranch_vccz .LBB159_720
; %bb.552:
	v_cmp_lt_i16_e32 vcc_lo, 22, v5
	s_mov_b32 s5, -1
	s_cbranch_vccz .LBB159_713
; %bb.553:
	v_cmp_gt_i16_e32 vcc_lo, 24, v5
	s_cbranch_vccnz .LBB159_700
; %bb.554:
	v_cmp_lt_i16_e32 vcc_lo, 24, v5
	s_cbranch_vccz .LBB159_687
; %bb.555:
	s_and_b32 s5, 0xffff, s2
	v_mov_b32_e32 v7, 0x80
	v_cvt_f32_u32_e32 v4, s5
	s_delay_alu instid0(VALU_DEP_1)
	v_cmp_lt_u32_e32 vcc_lo, 0x477fffff, v4
	v_readfirstlane_b32 s5, v4
	s_cbranch_vccnz .LBB159_686
; %bb.556:
	s_delay_alu instid0(VALU_DEP_1)
	s_cmp_gt_u32 s5, 0x37ffffff
	s_cbranch_scc0 .LBB159_681
; %bb.557:
	s_bfe_u32 s8, s5, 0x10015
	s_delay_alu instid0(SALU_CYCLE_1) | instskip(SKIP_2) | instid1(SALU_CYCLE_1)
	s_add_i32 s5, s5, s8
	s_mov_b32 s8, 0
	s_add_i32 s5, s5, 0x88fffff
	s_lshr_b32 s9, s5, 21
	s_mov_b32 s5, -1
	s_branch .LBB159_682
.LBB159_558:
	s_mov_b32 s28, s47
.LBB159_559:
	s_and_b32 vcc_lo, exec_lo, s30
	s_cbranch_vccz .LBB159_562
; %bb.560:
	v_cmp_eq_u16_e32 vcc_lo, 44, v24
	s_mov_b32 s28, -1
	s_cbranch_vccz .LBB159_562
; %bb.561:
	v_cndmask_b32_e64 v2, v23, 0xff, s10
	s_mov_b32 s29, -1
	s_mov_b32 s28, 0
	global_store_b8 v[6:7], v2, off
.LBB159_562:
	s_mov_b32 s30, 0
.LBB159_563:
	s_delay_alu instid0(SALU_CYCLE_1)
	s_and_b32 vcc_lo, exec_lo, s30
	s_cbranch_vccz .LBB159_566
; %bb.564:
	v_cmp_eq_u16_e32 vcc_lo, 29, v24
	s_mov_b32 s28, -1
	s_cbranch_vccz .LBB159_566
; %bb.565:
	v_dual_mov_b32 v2, s18 :: v_dual_mov_b32 v3, s19
	s_mov_b32 s29, -1
	s_mov_b32 s28, 0
	s_mov_b32 s30, 0
	global_store_b64 v[6:7], v[2:3], off
	s_branch .LBB159_567
.LBB159_566:
	s_mov_b32 s30, 0
.LBB159_567:
	s_delay_alu instid0(SALU_CYCLE_1)
	s_and_b32 vcc_lo, exec_lo, s30
	s_cbranch_vccz .LBB159_580
; %bb.568:
	v_cmp_gt_i16_e32 vcc_lo, 27, v24
	s_mov_b32 s29, -1
	s_cbranch_vccnz .LBB159_574
; %bb.569:
	v_cmp_lt_i16_e32 vcc_lo, 27, v24
	s_cbranch_vccz .LBB159_571
; %bb.570:
	v_mov_b32_e32 v2, s18
	s_mov_b32 s29, 0
	global_store_b32 v[6:7], v2, off
.LBB159_571:
	s_and_not1_b32 vcc_lo, exec_lo, s29
	s_cbranch_vccnz .LBB159_573
; %bb.572:
	v_mov_b32_e32 v2, s37
	global_store_b16 v[6:7], v2, off
.LBB159_573:
	s_mov_b32 s29, 0
.LBB159_574:
	s_delay_alu instid0(SALU_CYCLE_1)
	s_and_not1_b32 vcc_lo, exec_lo, s29
	s_cbranch_vccnz .LBB159_579
; %bb.575:
	v_mov_b32_e32 v2, 0x80
	s_and_not1_b32 vcc_lo, exec_lo, s9
	s_cbranch_vccnz .LBB159_578
; %bb.576:
	v_mov_b32_e32 v2, 0
	s_or_b32 s29, s8, s39
	s_delay_alu instid0(SALU_CYCLE_1)
	s_and_not1_b32 vcc_lo, exec_lo, s29
	s_cbranch_vccnz .LBB159_578
; %bb.577:
	v_cndmask_b32_e64 v2, v21, v22, s8
.LBB159_578:
	global_store_b8 v[6:7], v2, off
.LBB159_579:
	s_mov_b32 s29, -1
.LBB159_580:
	s_mov_b32 s30, 0
.LBB159_581:
	s_delay_alu instid0(SALU_CYCLE_1)
	s_and_b32 vcc_lo, exec_lo, s30
	s_cbranch_vccz .LBB159_603
; %bb.582:
	v_cmp_lt_i16_e32 vcc_lo, 22, v24
	s_mov_b32 s30, -1
	s_cbranch_vccz .LBB159_595
; %bb.583:
	v_cmp_gt_i16_e32 vcc_lo, 24, v24
	s_mov_b32 s29, -1
	s_cbranch_vccnz .LBB159_592
; %bb.584:
	v_cmp_lt_i16_e32 vcc_lo, 24, v24
	s_cbranch_vccz .LBB159_589
; %bb.585:
	v_mov_b32_e32 v2, 0x80
	s_and_not1_b32 vcc_lo, exec_lo, s7
	s_cbranch_vccnz .LBB159_588
; %bb.586:
	v_mov_b32_e32 v2, 0
	s_or_b32 s29, s4, s38
	s_delay_alu instid0(SALU_CYCLE_1)
	s_and_not1_b32 vcc_lo, exec_lo, s29
	s_cbranch_vccnz .LBB159_588
; %bb.587:
	v_cndmask_b32_e64 v2, v14, v20, s4
.LBB159_588:
	s_mov_b32 s29, 0
	global_store_b8 v[6:7], v2, off
.LBB159_589:
	s_and_b32 vcc_lo, exec_lo, s29
	s_cbranch_vccz .LBB159_591
; %bb.590:
	v_cndmask_b32_e64 v2, v17, v18, s6
	s_delay_alu instid0(VALU_DEP_1)
	v_cndmask_b32_e64 v2, v2, v19, s5
	global_store_b8 v[6:7], v2, off
.LBB159_591:
	s_mov_b32 s29, 0
.LBB159_592:
	s_delay_alu instid0(SALU_CYCLE_1)
	s_and_not1_b32 vcc_lo, exec_lo, s29
	s_cbranch_vccnz .LBB159_594
; %bb.593:
	v_cndmask_b32_e64 v2, v13, v15, s3
	s_delay_alu instid0(VALU_DEP_1)
	v_cndmask_b32_e64 v2, v2, v16, s2
	global_store_b8 v[6:7], v2, off
.LBB159_594:
	s_mov_b32 s30, 0
	s_mov_b32 s29, -1
.LBB159_595:
	s_and_not1_b32 vcc_lo, exec_lo, s30
	s_cbranch_vccnz .LBB159_603
; %bb.596:
	v_cmp_lt_i16_e32 vcc_lo, 14, v24
	s_mov_b32 s30, -1
	s_cbranch_vccz .LBB159_600
; %bb.597:
	v_cmp_eq_u16_e32 vcc_lo, 15, v24
	s_mov_b32 s28, -1
	s_cbranch_vccz .LBB159_599
; %bb.598:
	s_mov_b32 s29, -1
	s_mov_b32 s28, 0
	global_store_b16 v[6:7], v12, off
.LBB159_599:
	s_mov_b32 s30, 0
.LBB159_600:
	s_delay_alu instid0(SALU_CYCLE_1)
	s_and_b32 vcc_lo, exec_lo, s30
	s_cbranch_vccz .LBB159_603
; %bb.601:
	v_cmp_eq_u16_e32 vcc_lo, 11, v24
	s_mov_b32 s28, -1
	s_cbranch_vccz .LBB159_603
; %bb.602:
	s_mov_b32 s29, -1
	s_mov_b32 s28, 0
	global_store_b8 v[6:7], v11, off
.LBB159_603:
.LBB159_604:
	s_and_not1_b32 vcc_lo, exec_lo, s29
	s_cbranch_vccnz .LBB159_424
.LBB159_605:
	v_add_nc_u32_e32 v9, 0x80, v9
	s_mov_b32 s29, -1
.LBB159_606:
	s_and_not1_b32 s30, s47, exec_lo
	s_and_b32 s28, s28, exec_lo
	s_or_not1_b32 s50, s29, exec_lo
	s_or_b32 s30, s30, s28
.LBB159_607:
	s_or_b32 exec_lo, exec_lo, s49
	s_mov_b32 s28, 0
	s_mov_b32 s29, 0
                                        ; implicit-def: $vgpr24
                                        ; implicit-def: $vgpr6_vgpr7
	s_and_saveexec_b32 s31, s50
	s_cbranch_execz .LBB159_675
; %bb.608:
	v_cmp_gt_i32_e32 vcc_lo, s42, v9
	s_mov_b32 s49, s30
                                        ; implicit-def: $vgpr24
                                        ; implicit-def: $vgpr6_vgpr7
	s_and_saveexec_b32 s42, vcc_lo
	s_cbranch_execz .LBB159_674
; %bb.609:
	s_and_not1_b32 vcc_lo, exec_lo, s35
	s_cbranch_vccnz .LBB159_614
; %bb.610:
	v_mov_b32_e32 v2, 0
	s_and_not1_b32 vcc_lo, exec_lo, s44
	s_cbranch_vccnz .LBB159_619
; %bb.611:
	s_add_i32 s44, s43, 1
	s_cmp_eq_u32 s33, 2
	s_mov_b32 s43, 0
	s_cbranch_scc1 .LBB159_615
; %bb.612:
	v_dual_mov_b32 v2, 0 :: v_dual_mov_b32 v3, v9
	s_and_b32 s43, s44, 28
	s_mov_b32 s49, 0
	s_mov_b64 s[28:29], s[16:17]
.LBB159_613:                            ; =>This Inner Loop Header: Depth=1
	s_clause 0x1
	s_load_b256 s[52:59], s[28:29], 0x4
	s_load_b128 s[60:63], s[28:29], 0x24
	s_load_b128 s[64:67], s[26:27], 0x0
	s_add_u32 s28, s28, 48
	s_addc_u32 s29, s29, 0
	s_add_i32 s49, s49, 4
	s_add_u32 s26, s26, 16
	s_addc_u32 s27, s27, 0
	s_cmp_eq_u32 s43, s49
	s_waitcnt lgkmcnt(0)
	v_mul_hi_u32 v5, s53, v3
	s_delay_alu instid0(VALU_DEP_1) | instskip(NEXT) | instid1(VALU_DEP_1)
	v_add_nc_u32_e32 v5, v3, v5
	v_lshrrev_b32_e32 v5, s54, v5
	s_delay_alu instid0(VALU_DEP_1) | instskip(SKIP_1) | instid1(VALU_DEP_2)
	v_mul_hi_u32 v6, s56, v5
	v_mul_lo_u32 v25, v5, s52
	v_add_nc_u32_e32 v6, v5, v6
	s_delay_alu instid0(VALU_DEP_2) | instskip(NEXT) | instid1(VALU_DEP_2)
	v_sub_nc_u32_e32 v25, v3, v25
	v_lshrrev_b32_e32 v6, s57, v6
	s_delay_alu instid0(VALU_DEP_2) | instskip(NEXT) | instid1(VALU_DEP_2)
	v_mul_lo_u32 v25, v25, s64
	v_mul_hi_u32 v7, s59, v6
	v_mul_lo_u32 v26, v6, s55
	s_delay_alu instid0(VALU_DEP_2) | instskip(NEXT) | instid1(VALU_DEP_2)
	v_add_nc_u32_e32 v7, v6, v7
	v_sub_nc_u32_e32 v5, v5, v26
	s_delay_alu instid0(VALU_DEP_2) | instskip(NEXT) | instid1(VALU_DEP_2)
	v_lshrrev_b32_e32 v7, s60, v7
	v_mul_lo_u32 v5, v5, s65
	s_delay_alu instid0(VALU_DEP_2) | instskip(NEXT) | instid1(VALU_DEP_2)
	v_mul_hi_u32 v24, s62, v7
	v_add3_u32 v2, v25, v2, v5
	s_delay_alu instid0(VALU_DEP_2) | instskip(NEXT) | instid1(VALU_DEP_1)
	v_add_nc_u32_e32 v24, v7, v24
	v_lshrrev_b32_e32 v3, s63, v24
	v_mul_lo_u32 v24, v7, s58
	s_delay_alu instid0(VALU_DEP_2) | instskip(NEXT) | instid1(VALU_DEP_2)
	v_mul_lo_u32 v27, v3, s61
	v_sub_nc_u32_e32 v6, v6, v24
	s_delay_alu instid0(VALU_DEP_2) | instskip(NEXT) | instid1(VALU_DEP_2)
	v_sub_nc_u32_e32 v7, v7, v27
	v_mul_lo_u32 v6, v6, s66
	s_delay_alu instid0(VALU_DEP_2) | instskip(NEXT) | instid1(VALU_DEP_1)
	v_mul_lo_u32 v7, v7, s67
	v_add3_u32 v2, v6, v2, v7
	s_cbranch_scc0 .LBB159_613
	s_branch .LBB159_616
.LBB159_614:
	s_mov_b32 s26, -1
                                        ; implicit-def: $vgpr2
	s_branch .LBB159_620
.LBB159_615:
	v_mov_b32_e32 v3, v9
.LBB159_616:
	s_and_b32 s44, s44, 3
	s_delay_alu instid0(SALU_CYCLE_1)
	s_cmp_eq_u32 s44, 0
	s_cbranch_scc1 .LBB159_619
; %bb.617:
	s_lshl_b32 s26, s43, 2
	s_mul_i32 s28, s43, 12
	s_add_u32 s26, s26, s16
	s_addc_u32 s27, s17, 0
	s_add_u32 s26, s26, 0xc4
	s_addc_u32 s27, s27, 0
	;; [unrolled: 2-line block ×3, first 2 shown]
.LBB159_618:                            ; =>This Inner Loop Header: Depth=1
	s_clause 0x1
	s_load_b64 s[50:51], s[28:29], 0x4
	s_load_b32 s43, s[28:29], 0xc
	s_load_b32 s49, s[26:27], 0x0
	s_add_u32 s28, s28, 12
	s_addc_u32 s29, s29, 0
	s_add_u32 s26, s26, 4
	s_addc_u32 s27, s27, 0
	s_add_i32 s44, s44, -1
	s_delay_alu instid0(SALU_CYCLE_1) | instskip(SKIP_2) | instid1(VALU_DEP_1)
	s_cmp_lg_u32 s44, 0
	s_waitcnt lgkmcnt(0)
	v_mul_hi_u32 v5, s51, v3
	v_add_nc_u32_e32 v5, v3, v5
	s_delay_alu instid0(VALU_DEP_1) | instskip(NEXT) | instid1(VALU_DEP_1)
	v_lshrrev_b32_e32 v7, s43, v5
	v_mul_lo_u32 v5, v7, s50
	s_delay_alu instid0(VALU_DEP_1) | instskip(NEXT) | instid1(VALU_DEP_1)
	v_sub_nc_u32_e32 v3, v3, v5
	v_mad_u64_u32 v[5:6], null, v3, s49, v[2:3]
	s_delay_alu instid0(VALU_DEP_1)
	v_dual_mov_b32 v3, v7 :: v_dual_mov_b32 v2, v5
	s_cbranch_scc1 .LBB159_618
.LBB159_619:
	s_mov_b32 s26, 0
.LBB159_620:
	s_delay_alu instid0(SALU_CYCLE_1)
	s_and_not1_b32 vcc_lo, exec_lo, s26
	s_cbranch_vccnz .LBB159_623
; %bb.621:
	v_mul_hi_u32 v2, s13, v9
	s_and_not1_b32 vcc_lo, exec_lo, s41
	s_delay_alu instid0(VALU_DEP_1) | instskip(NEXT) | instid1(VALU_DEP_1)
	v_add_nc_u32_e32 v2, v9, v2
	v_lshrrev_b32_e32 v3, s14, v2
	s_delay_alu instid0(VALU_DEP_1) | instskip(NEXT) | instid1(VALU_DEP_1)
	v_mul_lo_u32 v2, v3, s12
	v_sub_nc_u32_e32 v2, v9, v2
	s_delay_alu instid0(VALU_DEP_1)
	v_mul_lo_u32 v2, v2, s22
	s_cbranch_vccnz .LBB159_623
; %bb.622:
	v_mul_hi_u32 v5, s24, v3
	s_delay_alu instid0(VALU_DEP_1) | instskip(NEXT) | instid1(VALU_DEP_1)
	v_add_nc_u32_e32 v5, v3, v5
	v_lshrrev_b32_e32 v5, s25, v5
	s_delay_alu instid0(VALU_DEP_1) | instskip(NEXT) | instid1(VALU_DEP_1)
	v_mul_lo_u32 v5, v5, s15
	v_sub_nc_u32_e32 v3, v3, v5
	s_delay_alu instid0(VALU_DEP_1) | instskip(NEXT) | instid1(VALU_DEP_1)
	v_mad_u64_u32 v[5:6], null, v3, s23, v[2:3]
	v_mov_b32_e32 v2, v5
.LBB159_623:
	v_and_b32_e64 v24, 0xff, s40
	s_delay_alu instid0(VALU_DEP_2) | instskip(NEXT) | instid1(VALU_DEP_1)
	v_add_co_u32 v6, s12, s20, v2
	v_add_co_ci_u32_e64 v7, null, s21, 0, s12
	s_delay_alu instid0(VALU_DEP_3)
	v_cmp_gt_i16_e32 vcc_lo, 11, v24
	s_mov_b32 s14, 0
	s_mov_b32 s13, -1
	s_mov_b32 s12, s30
	s_cbranch_vccnz .LBB159_673
; %bb.624:
	v_cmp_lt_i16_e32 vcc_lo, 25, v24
	s_mov_b32 s12, s30
	s_cbranch_vccz .LBB159_652
; %bb.625:
	v_cmp_lt_i16_e32 vcc_lo, 28, v24
	s_mov_b32 s12, s30
	s_cbranch_vccz .LBB159_639
; %bb.626:
	v_cmp_lt_i16_e32 vcc_lo, 43, v24
	s_mov_b32 s12, s30
	s_cbranch_vccz .LBB159_635
; %bb.627:
	v_cmp_lt_i16_e32 vcc_lo, 45, v24
	s_mov_b32 s12, s30
	s_cbranch_vccz .LBB159_631
; %bb.628:
	v_cmp_eq_u16_e32 vcc_lo, 46, v24
	s_mov_b32 s12, -1
	s_cbranch_vccz .LBB159_630
; %bb.629:
	s_mov_b32 s12, 0
	global_store_b32 v[6:7], v12, off
.LBB159_630:
	s_mov_b32 s13, 0
.LBB159_631:
	s_delay_alu instid0(SALU_CYCLE_1)
	s_and_b32 vcc_lo, exec_lo, s13
	s_cbranch_vccz .LBB159_634
; %bb.632:
	v_cmp_eq_u16_e32 vcc_lo, 44, v24
	s_mov_b32 s12, -1
	s_cbranch_vccz .LBB159_634
; %bb.633:
	v_cndmask_b32_e64 v2, v23, 0xff, s10
	s_mov_b32 s12, 0
	global_store_b8 v[6:7], v2, off
.LBB159_634:
	s_mov_b32 s13, 0
.LBB159_635:
	s_delay_alu instid0(SALU_CYCLE_1)
	s_and_b32 vcc_lo, exec_lo, s13
	s_cbranch_vccz .LBB159_638
; %bb.636:
	v_cmp_eq_u16_e32 vcc_lo, 29, v24
	s_mov_b32 s12, -1
	s_cbranch_vccz .LBB159_638
; %bb.637:
	v_dual_mov_b32 v2, s18 :: v_dual_mov_b32 v3, s19
	s_mov_b32 s12, 0
	global_store_b64 v[6:7], v[2:3], off
.LBB159_638:
	s_mov_b32 s13, 0
.LBB159_639:
	s_delay_alu instid0(SALU_CYCLE_1)
	s_and_b32 vcc_lo, exec_lo, s13
	s_cbranch_vccz .LBB159_651
; %bb.640:
	v_cmp_gt_i16_e32 vcc_lo, 27, v24
	s_mov_b32 s10, -1
	s_cbranch_vccnz .LBB159_646
; %bb.641:
	v_cmp_lt_i16_e32 vcc_lo, 27, v24
	s_cbranch_vccz .LBB159_643
; %bb.642:
	v_mov_b32_e32 v2, s18
	s_mov_b32 s10, 0
	global_store_b32 v[6:7], v2, off
.LBB159_643:
	s_and_not1_b32 vcc_lo, exec_lo, s10
	s_cbranch_vccnz .LBB159_645
; %bb.644:
	v_mov_b32_e32 v2, s37
	global_store_b16 v[6:7], v2, off
.LBB159_645:
	s_mov_b32 s10, 0
.LBB159_646:
	s_delay_alu instid0(SALU_CYCLE_1)
	s_and_not1_b32 vcc_lo, exec_lo, s10
	s_cbranch_vccnz .LBB159_651
; %bb.647:
	v_mov_b32_e32 v2, 0x80
	s_and_not1_b32 vcc_lo, exec_lo, s9
	s_cbranch_vccnz .LBB159_650
; %bb.648:
	v_mov_b32_e32 v2, 0
	s_or_b32 s9, s8, s39
	s_delay_alu instid0(SALU_CYCLE_1)
	s_and_not1_b32 vcc_lo, exec_lo, s9
	s_cbranch_vccnz .LBB159_650
; %bb.649:
	v_cndmask_b32_e64 v2, v21, v22, s8
.LBB159_650:
	global_store_b8 v[6:7], v2, off
.LBB159_651:
	s_mov_b32 s13, 0
.LBB159_652:
	s_delay_alu instid0(SALU_CYCLE_1)
	s_and_b32 vcc_lo, exec_lo, s13
	s_mov_b32 s13, 0
	s_cbranch_vccz .LBB159_673
; %bb.653:
	v_cmp_lt_i16_e32 vcc_lo, 22, v24
	s_mov_b32 s8, -1
	s_cbranch_vccz .LBB159_666
; %bb.654:
	v_cmp_gt_i16_e32 vcc_lo, 24, v24
	s_cbranch_vccnz .LBB159_663
; %bb.655:
	v_cmp_lt_i16_e32 vcc_lo, 24, v24
	s_cbranch_vccz .LBB159_660
; %bb.656:
	v_mov_b32_e32 v2, 0x80
	s_and_not1_b32 vcc_lo, exec_lo, s7
	s_cbranch_vccnz .LBB159_659
; %bb.657:
	v_mov_b32_e32 v2, 0
	s_or_b32 s7, s4, s38
	s_delay_alu instid0(SALU_CYCLE_1)
	s_and_not1_b32 vcc_lo, exec_lo, s7
	s_cbranch_vccnz .LBB159_659
; %bb.658:
	v_cndmask_b32_e64 v2, v14, v20, s4
.LBB159_659:
	s_mov_b32 s8, 0
	global_store_b8 v[6:7], v2, off
.LBB159_660:
	s_and_b32 vcc_lo, exec_lo, s8
	s_cbranch_vccz .LBB159_662
; %bb.661:
	v_cndmask_b32_e64 v2, v17, v18, s6
	s_delay_alu instid0(VALU_DEP_1)
	v_cndmask_b32_e64 v2, v2, v19, s5
	global_store_b8 v[6:7], v2, off
.LBB159_662:
	s_mov_b32 s8, 0
.LBB159_663:
	s_delay_alu instid0(SALU_CYCLE_1)
	s_and_not1_b32 vcc_lo, exec_lo, s8
	s_cbranch_vccnz .LBB159_665
; %bb.664:
	v_cndmask_b32_e64 v2, v13, v15, s3
	s_delay_alu instid0(VALU_DEP_1)
	v_cndmask_b32_e64 v2, v2, v16, s2
	global_store_b8 v[6:7], v2, off
.LBB159_665:
	s_mov_b32 s8, 0
.LBB159_666:
	s_delay_alu instid0(SALU_CYCLE_1)
	s_and_not1_b32 vcc_lo, exec_lo, s8
	s_cbranch_vccnz .LBB159_673
; %bb.667:
	v_cmp_lt_i16_e32 vcc_lo, 14, v24
	s_mov_b32 s2, -1
	s_cbranch_vccz .LBB159_671
; %bb.668:
	v_cmp_eq_u16_e32 vcc_lo, 15, v24
	s_mov_b32 s12, -1
	s_cbranch_vccz .LBB159_670
; %bb.669:
	s_mov_b32 s12, 0
	global_store_b16 v[6:7], v12, off
.LBB159_670:
	s_mov_b32 s2, 0
.LBB159_671:
	s_delay_alu instid0(SALU_CYCLE_1)
	s_and_b32 vcc_lo, exec_lo, s2
	s_cbranch_vccz .LBB159_673
; %bb.672:
	v_cmp_ne_u16_e32 vcc_lo, 11, v24
	s_and_not1_b32 s2, s12, exec_lo
	s_mov_b32 s14, -1
	s_and_b32 s3, vcc_lo, exec_lo
	s_delay_alu instid0(SALU_CYCLE_1)
	s_or_b32 s12, s2, s3
.LBB159_673:
	s_and_not1_b32 s2, s30, exec_lo
	s_and_b32 s3, s12, exec_lo
	s_and_b32 s29, s13, exec_lo
	;; [unrolled: 1-line block ×3, first 2 shown]
	s_or_b32 s49, s2, s3
.LBB159_674:
	s_or_b32 exec_lo, exec_lo, s42
	s_delay_alu instid0(SALU_CYCLE_1)
	s_and_not1_b32 s2, s30, exec_lo
	s_and_b32 s3, s49, exec_lo
	s_and_b32 s29, s29, exec_lo
	s_and_b32 s28, s28, exec_lo
	s_or_b32 s30, s2, s3
.LBB159_675:
	s_or_b32 exec_lo, exec_lo, s31
	s_delay_alu instid0(SALU_CYCLE_1)
	s_and_not1_b32 s2, s47, exec_lo
	s_and_b32 s3, s30, exec_lo
	s_and_b32 s29, s29, exec_lo
	;; [unrolled: 1-line block ×3, first 2 shown]
	s_or_b32 s47, s2, s3
.LBB159_676:
	s_or_b32 exec_lo, exec_lo, s48
	s_delay_alu instid0(SALU_CYCLE_1)
	s_and_not1_b32 s2, s45, exec_lo
	s_and_b32 s3, s47, exec_lo
	s_and_b32 s29, s29, exec_lo
	;; [unrolled: 1-line block ×3, first 2 shown]
	s_or_b32 s45, s2, s3
	s_or_b32 exec_lo, exec_lo, s46
	s_mov_b32 s2, 0
	s_and_saveexec_b32 s3, s45
	s_cbranch_execz .LBB159_118
.LBB159_677:
	s_cbranch_execnz .LBB159_679
; %bb.678:
	s_mov_b32 s2, exec_lo
	s_and_not1_b32 s47, s47, exec_lo
	s_or_b32 exec_lo, exec_lo, s3
	s_and_saveexec_b32 s3, s47
	s_delay_alu instid0(SALU_CYCLE_1)
	s_xor_b32 s3, exec_lo, s3
	s_cbranch_execnz .LBB159_119
	s_branch .LBB159_120
.LBB159_679:
	s_trap 2
	s_sendmsg_rtn_b32 s0, sendmsg(MSG_RTN_GET_DOORBELL)
	s_mov_b32 ttmp2, m0
	s_waitcnt lgkmcnt(0)
	s_and_b32 s0, s0, 0x3ff
	s_delay_alu instid0(SALU_CYCLE_1) | instskip(NEXT) | instid1(SALU_CYCLE_1)
	s_bitset1_b32 s0, 10
	s_mov_b32 m0, s0
	s_sendmsg sendmsg(MSG_INTERRUPT)
	s_mov_b32 m0, ttmp2
.LBB159_680:                            ; =>This Inner Loop Header: Depth=1
	s_sethalt 5
	s_branch .LBB159_680
.LBB159_681:
	s_mov_b32 s8, -1
	s_mov_b32 s5, 0
                                        ; implicit-def: $sgpr9
.LBB159_682:
	v_mov_b32_e32 v6, s9
	s_and_not1_b32 vcc_lo, exec_lo, s8
                                        ; implicit-def: $sgpr8
	s_cbranch_vccnz .LBB159_684
; %bb.683:
	v_add_f32_e32 v4, 0x42800000, v4
	s_mov_b32 s8, 0
	s_delay_alu instid0(VALU_DEP_1) | instskip(NEXT) | instid1(VALU_DEP_1)
	v_and_b32_e32 v6, 0xff, v4
	v_cmp_ne_u32_e64 s5, 0, v6
.LBB159_684:
	v_mov_b32_e32 v7, s8
	s_delay_alu instid0(VALU_DEP_2)
	s_and_not1_b32 vcc_lo, exec_lo, s5
	s_cbranch_vccnz .LBB159_686
; %bb.685:
	v_mov_b32_e32 v7, v6
.LBB159_686:
	s_mov_b32 s5, 0
	global_store_b8 v[2:3], v7, off
.LBB159_687:
	s_and_b32 vcc_lo, exec_lo, s5
	s_cbranch_vccz .LBB159_699
; %bb.688:
	s_and_b32 s5, 0xffff, s2
	s_delay_alu instid0(SALU_CYCLE_1) | instskip(NEXT) | instid1(VALU_DEP_1)
	v_cvt_f32_u32_e32 v4, s5
	v_cmp_gt_u32_e32 vcc_lo, 0x43f00000, v4
	v_readfirstlane_b32 s5, v4
	s_cbranch_vccz .LBB159_691
; %bb.689:
	s_delay_alu instid0(VALU_DEP_1)
	s_cmp_gt_u32 s5, 0x3c7fffff
	s_cbranch_scc0 .LBB159_692
; %bb.690:
	s_bfe_u32 s8, s5, 0x10014
	s_delay_alu instid0(SALU_CYCLE_1) | instskip(NEXT) | instid1(SALU_CYCLE_1)
	s_add_i32 s8, s5, s8
	s_add_i32 s8, s8, 0x407ffff
	s_delay_alu instid0(SALU_CYCLE_1)
	s_and_b32 s9, s8, 0xff00000
	s_lshr_b32 s8, s8, 20
	s_cmp_lg_u32 s9, 0x7f00000
	s_cselect_b32 s9, s8, 0x7e
	s_mov_b32 s8, 0
	s_branch .LBB159_693
.LBB159_691:
	s_mov_b32 s8, -1
                                        ; implicit-def: $vgpr6
	s_branch .LBB159_696
.LBB159_692:
	s_mov_b32 s8, -1
                                        ; implicit-def: $sgpr9
.LBB159_693:
	v_mov_b32_e32 v6, s9
	s_and_not1_b32 vcc_lo, exec_lo, s8
	s_cbranch_vccnz .LBB159_695
; %bb.694:
	v_add_f32_e32 v6, 0x46800000, v4
.LBB159_695:
	s_mov_b32 s8, 0
.LBB159_696:
	s_delay_alu instid0(SALU_CYCLE_1)
	s_and_not1_b32 vcc_lo, exec_lo, s8
	s_cbranch_vccnz .LBB159_698
; %bb.697:
	s_cmp_gt_u32 s5, 0x7f800000
	s_movk_i32 s5, 0x7f
	s_delay_alu instid0(SALU_CYCLE_1) | instskip(NEXT) | instid1(SALU_CYCLE_1)
	s_cselect_b32 s5, s5, 0x7e
	v_mov_b32_e32 v6, s5
.LBB159_698:
	global_store_b8 v[2:3], v6, off
.LBB159_699:
	s_mov_b32 s5, 0
.LBB159_700:
	s_delay_alu instid0(SALU_CYCLE_1)
	s_and_not1_b32 vcc_lo, exec_lo, s5
	s_cbranch_vccnz .LBB159_712
; %bb.701:
	s_and_b32 s5, 0xffff, s2
	s_delay_alu instid0(SALU_CYCLE_1) | instskip(NEXT) | instid1(VALU_DEP_1)
	v_cvt_f32_u32_e32 v4, s5
	v_cmp_gt_u32_e32 vcc_lo, 0x47800000, v4
	v_readfirstlane_b32 s5, v4
	s_cbranch_vccz .LBB159_704
; %bb.702:
	s_delay_alu instid0(VALU_DEP_1)
	s_cmp_gt_u32 s5, 0x387fffff
	s_cbranch_scc0 .LBB159_705
; %bb.703:
	s_bfe_u32 s8, s5, 0x10015
	s_delay_alu instid0(SALU_CYCLE_1) | instskip(NEXT) | instid1(SALU_CYCLE_1)
	s_add_i32 s8, s5, s8
	s_add_i32 s8, s8, 0x80fffff
	s_delay_alu instid0(SALU_CYCLE_1)
	s_lshr_b32 s9, s8, 21
	s_mov_b32 s8, 0
	s_branch .LBB159_706
.LBB159_704:
	s_mov_b32 s8, -1
                                        ; implicit-def: $vgpr6
	s_branch .LBB159_709
.LBB159_705:
	s_mov_b32 s8, -1
                                        ; implicit-def: $sgpr9
.LBB159_706:
	v_mov_b32_e32 v6, s9
	s_and_not1_b32 vcc_lo, exec_lo, s8
	s_cbranch_vccnz .LBB159_708
; %bb.707:
	v_add_f32_e32 v6, 0x43000000, v4
.LBB159_708:
	s_mov_b32 s8, 0
.LBB159_709:
	s_delay_alu instid0(SALU_CYCLE_1)
	s_and_not1_b32 vcc_lo, exec_lo, s8
	s_cbranch_vccnz .LBB159_711
; %bb.710:
	s_cmp_gt_u32 s5, 0x7f800000
	s_movk_i32 s5, 0x7f
	s_delay_alu instid0(SALU_CYCLE_1) | instskip(NEXT) | instid1(SALU_CYCLE_1)
	s_cselect_b32 s5, s5, 0x7c
	v_mov_b32_e32 v6, s5
.LBB159_711:
	global_store_b8 v[2:3], v6, off
.LBB159_712:
	s_mov_b32 s5, 0
	s_mov_b32 s8, -1
.LBB159_713:
	s_and_not1_b32 vcc_lo, exec_lo, s5
	s_mov_b32 s5, 0
	s_cbranch_vccnz .LBB159_720
; %bb.714:
	v_cmp_lt_i16_e32 vcc_lo, 14, v5
	s_mov_b32 s5, -1
	s_cbranch_vccz .LBB159_718
; %bb.715:
	v_cmp_eq_u16_e32 vcc_lo, 15, v5
	s_mov_b32 s4, -1
	s_cbranch_vccz .LBB159_717
; %bb.716:
	s_and_b32 s4, 0xffff, s2
	s_mov_b32 s8, -1
	v_cvt_f32_u32_e32 v4, s4
	s_mov_b32 s4, 0
	s_delay_alu instid0(VALU_DEP_1) | instskip(NEXT) | instid1(VALU_DEP_1)
	v_bfe_u32 v6, v4, 16, 1
	v_add_nc_u32_e32 v4, v4, v6
	s_delay_alu instid0(VALU_DEP_1)
	v_add_nc_u32_e32 v4, 0x7fff, v4
	global_store_d16_hi_b16 v[2:3], v4, off
.LBB159_717:
	s_mov_b32 s5, 0
.LBB159_718:
	s_delay_alu instid0(SALU_CYCLE_1)
	s_and_b32 vcc_lo, exec_lo, s5
	s_mov_b32 s5, 0
	s_cbranch_vccz .LBB159_720
; %bb.719:
	v_cmp_ne_u16_e64 s4, 11, v5
	s_mov_b32 s5, -1
.LBB159_720:
	s_delay_alu instid0(VALU_DEP_1)
	s_and_b32 vcc_lo, exec_lo, s4
	s_cbranch_vccnz .LBB159_792
; %bb.721:
	s_and_not1_b32 vcc_lo, exec_lo, s5
	s_cbranch_vccnz .LBB159_723
.LBB159_722:
	v_cmp_ne_u16_e64 s4, s2, 0
	s_mov_b32 s8, -1
	s_delay_alu instid0(VALU_DEP_1)
	v_cndmask_b32_e64 v4, 0, 1, s4
	global_store_b8 v[2:3], v4, off
.LBB159_723:
	s_mov_b32 s4, 0
.LBB159_724:
	s_delay_alu instid0(SALU_CYCLE_1)
	s_and_b32 vcc_lo, exec_lo, s4
	s_cbranch_vccz .LBB159_763
; %bb.725:
	v_cmp_gt_i16_e32 vcc_lo, 5, v5
	s_mov_b32 s4, -1
	s_cbranch_vccnz .LBB159_746
; %bb.726:
	v_cmp_gt_i16_e32 vcc_lo, 8, v5
	s_cbranch_vccnz .LBB159_736
; %bb.727:
	v_cmp_gt_i16_e32 vcc_lo, 9, v5
	s_cbranch_vccnz .LBB159_733
; %bb.728:
	v_cmp_lt_i16_e32 vcc_lo, 9, v5
	s_cbranch_vccz .LBB159_730
; %bb.729:
	s_and_b32 s4, 0xffff, s2
	v_mov_b32_e32 v8, 0
	v_cvt_f64_u32_e32 v[6:7], s4
	s_mov_b32 s4, 0
	s_delay_alu instid0(VALU_DEP_2)
	v_mov_b32_e32 v9, v8
	global_store_b128 v[2:3], v[6:9], off
.LBB159_730:
	s_and_not1_b32 vcc_lo, exec_lo, s4
	s_cbranch_vccnz .LBB159_732
; %bb.731:
	s_and_b32 s4, 0xffff, s2
	v_mov_b32_e32 v7, 0
	v_cvt_f32_u32_e32 v6, s4
	global_store_b64 v[2:3], v[6:7], off
.LBB159_732:
	s_mov_b32 s4, 0
.LBB159_733:
	s_delay_alu instid0(SALU_CYCLE_1)
	s_and_not1_b32 vcc_lo, exec_lo, s4
	s_cbranch_vccnz .LBB159_735
; %bb.734:
	v_cvt_f16_u16_e32 v4, s2
	s_delay_alu instid0(VALU_DEP_1)
	v_and_b32_e32 v4, 0xffff, v4
	global_store_b32 v[2:3], v4, off
.LBB159_735:
	s_mov_b32 s4, 0
.LBB159_736:
	s_delay_alu instid0(SALU_CYCLE_1)
	s_and_not1_b32 vcc_lo, exec_lo, s4
	s_cbranch_vccnz .LBB159_745
; %bb.737:
	v_cmp_gt_i16_e32 vcc_lo, 6, v5
	s_mov_b32 s4, -1
	s_cbranch_vccnz .LBB159_743
; %bb.738:
	v_cmp_lt_i16_e32 vcc_lo, 6, v5
	s_cbranch_vccz .LBB159_740
; %bb.739:
	s_and_b32 s4, 0xffff, s2
	s_delay_alu instid0(SALU_CYCLE_1)
	v_cvt_f64_u32_e32 v[6:7], s4
	s_mov_b32 s4, 0
	global_store_b64 v[2:3], v[6:7], off
.LBB159_740:
	s_and_not1_b32 vcc_lo, exec_lo, s4
	s_cbranch_vccnz .LBB159_742
; %bb.741:
	s_and_b32 s4, 0xffff, s2
	s_delay_alu instid0(SALU_CYCLE_1)
	v_cvt_f32_u32_e32 v4, s4
	global_store_b32 v[2:3], v4, off
.LBB159_742:
	s_mov_b32 s4, 0
.LBB159_743:
	s_delay_alu instid0(SALU_CYCLE_1)
	s_and_not1_b32 vcc_lo, exec_lo, s4
	s_cbranch_vccnz .LBB159_745
; %bb.744:
	v_cvt_f16_u16_e32 v4, s2
	global_store_b16 v[2:3], v4, off
.LBB159_745:
	s_mov_b32 s4, 0
.LBB159_746:
	s_delay_alu instid0(SALU_CYCLE_1)
	s_and_not1_b32 vcc_lo, exec_lo, s4
	s_cbranch_vccnz .LBB159_762
; %bb.747:
	v_cmp_gt_i16_e32 vcc_lo, 2, v5
	s_mov_b32 s4, -1
	s_cbranch_vccnz .LBB159_757
; %bb.748:
	v_cmp_gt_i16_e32 vcc_lo, 3, v5
	s_cbranch_vccnz .LBB159_754
; %bb.749:
	v_cmp_lt_i16_e32 vcc_lo, 3, v5
	s_cbranch_vccz .LBB159_751
; %bb.750:
	s_and_b32 s4, s2, 0xffff
	s_delay_alu instid0(SALU_CYCLE_1)
	v_dual_mov_b32 v7, 0 :: v_dual_mov_b32 v6, s4
	s_mov_b32 s4, 0
	global_store_b64 v[2:3], v[6:7], off
.LBB159_751:
	s_and_not1_b32 vcc_lo, exec_lo, s4
	s_cbranch_vccnz .LBB159_753
; %bb.752:
	s_and_b32 s4, 0xffff, s2
	s_delay_alu instid0(SALU_CYCLE_1)
	v_mov_b32_e32 v4, s4
	global_store_b32 v[2:3], v4, off
.LBB159_753:
	s_mov_b32 s4, 0
.LBB159_754:
	s_delay_alu instid0(SALU_CYCLE_1)
	s_and_not1_b32 vcc_lo, exec_lo, s4
	s_cbranch_vccnz .LBB159_756
; %bb.755:
	v_mov_b32_e32 v4, s2
	global_store_b16 v[2:3], v4, off
.LBB159_756:
	s_mov_b32 s4, 0
.LBB159_757:
	s_delay_alu instid0(SALU_CYCLE_1)
	s_and_not1_b32 vcc_lo, exec_lo, s4
	s_cbranch_vccnz .LBB159_762
; %bb.758:
	v_cmp_lt_i16_e32 vcc_lo, 0, v5
	s_mov_b32 s4, -1
	s_cbranch_vccz .LBB159_760
; %bb.759:
	v_mov_b32_e32 v4, s2
	s_mov_b32 s4, 0
	global_store_b8 v[2:3], v4, off
.LBB159_760:
	s_and_not1_b32 vcc_lo, exec_lo, s4
	s_cbranch_vccnz .LBB159_762
; %bb.761:
	v_mov_b32_e32 v4, s2
	global_store_b8 v[2:3], v4, off
.LBB159_762:
	s_mov_b32 s8, -1
.LBB159_763:
	s_delay_alu instid0(SALU_CYCLE_1)
	s_and_not1_b32 vcc_lo, exec_lo, s8
	s_cbranch_vccnz .LBB159_923
; %bb.764:
	v_cmp_gt_i16_e32 vcc_lo, 11, v5
	v_add_co_u32 v1, s4, s0, v1
	s_delay_alu instid0(VALU_DEP_1)
	v_add_co_ci_u32_e64 v2, null, s1, 0, s4
	s_mov_b32 s8, 0
	s_mov_b32 s4, -1
	s_cbranch_vccnz .LBB159_854
; %bb.765:
	v_cmp_lt_i16_e32 vcc_lo, 25, v5
	s_mov_b32 s9, -1
	s_mov_b32 s5, 0
	s_mov_b32 s4, 0
	s_cbranch_vccz .LBB159_804
; %bb.766:
	v_cmp_lt_i16_e32 vcc_lo, 28, v5
	s_cbranch_vccz .LBB159_781
; %bb.767:
	v_cmp_lt_i16_e32 vcc_lo, 43, v5
	;; [unrolled: 3-line block ×3, first 2 shown]
	s_cbranch_vccz .LBB159_771
; %bb.769:
	v_cmp_eq_u16_e32 vcc_lo, 46, v5
	s_mov_b32 s4, -1
	s_mov_b32 s9, 0
	s_cbranch_vccz .LBB159_771
; %bb.770:
	s_and_b32 s4, 0xffff, s2
	s_mov_b32 s8, -1
	v_cvt_f32_u32_e32 v3, s4
	s_mov_b32 s4, 0
	s_delay_alu instid0(VALU_DEP_1) | instskip(NEXT) | instid1(VALU_DEP_1)
	v_bfe_u32 v4, v3, 16, 1
	v_add_nc_u32_e32 v3, v3, v4
	s_delay_alu instid0(VALU_DEP_1) | instskip(NEXT) | instid1(VALU_DEP_1)
	v_add_nc_u32_e32 v3, 0x7fff, v3
	v_lshrrev_b32_e32 v3, 16, v3
	global_store_b32 v[1:2], v3, off
.LBB159_771:
	s_and_b32 vcc_lo, exec_lo, s9
	s_cbranch_vccz .LBB159_776
; %bb.772:
	v_cmp_eq_u16_e32 vcc_lo, 44, v5
	s_mov_b32 s4, -1
	s_cbranch_vccz .LBB159_776
; %bb.773:
	s_and_b32 s4, 0xffff, s2
	s_delay_alu instid0(SALU_CYCLE_1) | instskip(NEXT) | instid1(VALU_DEP_1)
	v_cvt_f32_u32_e32 v3, s4
	v_readfirstlane_b32 s8, v3
	v_mov_b32_e32 v3, 0xff
	s_delay_alu instid0(VALU_DEP_2) | instskip(NEXT) | instid1(SALU_CYCLE_1)
	s_lshr_b32 s4, s8, 23
	s_cmpk_eq_i32 s4, 0xff
	s_cbranch_scc1 .LBB159_775
; %bb.774:
	s_bitcmp1_b32 s8, 22
	s_cselect_b32 s9, -1, 0
	s_and_b32 s8, s8, 0x3fffff
	s_delay_alu instid0(SALU_CYCLE_1) | instskip(NEXT) | instid1(SALU_CYCLE_1)
	s_or_b32 s8, s4, s8
	s_cmp_lg_u32 s8, 0
	s_cselect_b32 s8, -1, 0
	s_delay_alu instid0(SALU_CYCLE_1) | instskip(NEXT) | instid1(SALU_CYCLE_1)
	s_and_b32 s8, s9, s8
	v_cndmask_b32_e64 v3, 0, 1, s8
	s_delay_alu instid0(VALU_DEP_1)
	v_add_nc_u32_e32 v3, s4, v3
.LBB159_775:
	s_mov_b32 s4, 0
	s_mov_b32 s8, -1
	global_store_b8 v[1:2], v3, off
.LBB159_776:
	s_mov_b32 s9, 0
.LBB159_777:
	s_delay_alu instid0(SALU_CYCLE_1)
	s_and_b32 vcc_lo, exec_lo, s9
	s_cbranch_vccz .LBB159_780
; %bb.778:
	v_cmp_eq_u16_e32 vcc_lo, 29, v5
	s_mov_b32 s4, -1
	s_cbranch_vccz .LBB159_780
; %bb.779:
	s_and_b32 s4, s2, 0xffff
	s_mov_b32 s8, -1
	v_dual_mov_b32 v3, s4 :: v_dual_mov_b32 v4, 0
	s_mov_b32 s4, 0
	global_store_b64 v[1:2], v[3:4], off
.LBB159_780:
	s_mov_b32 s9, 0
.LBB159_781:
	s_delay_alu instid0(SALU_CYCLE_1)
	s_and_b32 vcc_lo, exec_lo, s9
	s_cbranch_vccz .LBB159_803
; %bb.782:
	v_cmp_gt_i16_e32 vcc_lo, 27, v5
	s_mov_b32 s8, -1
	s_cbranch_vccnz .LBB159_788
; %bb.783:
	v_cmp_lt_i16_e32 vcc_lo, 27, v5
	s_cbranch_vccz .LBB159_785
; %bb.784:
	s_and_b32 s8, 0xffff, s2
	s_delay_alu instid0(SALU_CYCLE_1)
	v_mov_b32_e32 v3, s8
	s_mov_b32 s8, 0
	global_store_b32 v[1:2], v3, off
.LBB159_785:
	s_and_not1_b32 vcc_lo, exec_lo, s8
	s_cbranch_vccnz .LBB159_787
; %bb.786:
	v_mov_b32_e32 v3, s2
	global_store_b16 v[1:2], v3, off
.LBB159_787:
	s_mov_b32 s8, 0
.LBB159_788:
	s_delay_alu instid0(SALU_CYCLE_1)
	s_and_not1_b32 vcc_lo, exec_lo, s8
	s_cbranch_vccnz .LBB159_802
; %bb.789:
	s_and_b32 s8, 0xffff, s2
	v_mov_b32_e32 v6, 0x80
	v_cvt_f32_u32_e32 v3, s8
	s_delay_alu instid0(VALU_DEP_1)
	v_cmp_lt_u32_e32 vcc_lo, 0x437fffff, v3
	v_readfirstlane_b32 s8, v3
	s_cbranch_vccnz .LBB159_801
; %bb.790:
	s_delay_alu instid0(VALU_DEP_1)
	s_cmp_gt_u32 s8, 0x3bffffff
	s_cbranch_scc0 .LBB159_796
; %bb.791:
	s_bfe_u32 s9, s8, 0x10014
	s_delay_alu instid0(SALU_CYCLE_1) | instskip(SKIP_2) | instid1(SALU_CYCLE_1)
	s_add_i32 s8, s8, s9
	s_mov_b32 s9, 0
	s_add_i32 s8, s8, 0x487ffff
	s_lshr_b32 s10, s8, 20
	s_mov_b32 s8, -1
	s_branch .LBB159_797
.LBB159_792:
	s_cbranch_execnz .LBB159_794
; %bb.793:
	s_or_b32 s3, s3, exec_lo
	s_cbranch_execz .LBB159_722
	s_branch .LBB159_723
.LBB159_794:
	s_trap 2
	s_sendmsg_rtn_b32 s0, sendmsg(MSG_RTN_GET_DOORBELL)
	s_mov_b32 ttmp2, m0
	s_waitcnt lgkmcnt(0)
	s_and_b32 s0, s0, 0x3ff
	s_delay_alu instid0(SALU_CYCLE_1) | instskip(NEXT) | instid1(SALU_CYCLE_1)
	s_bitset1_b32 s0, 10
	s_mov_b32 m0, s0
	s_sendmsg sendmsg(MSG_INTERRUPT)
	s_mov_b32 m0, ttmp2
.LBB159_795:                            ; =>This Inner Loop Header: Depth=1
	s_sethalt 5
	s_branch .LBB159_795
.LBB159_796:
	s_mov_b32 s9, -1
	s_mov_b32 s8, 0
                                        ; implicit-def: $sgpr10
.LBB159_797:
	v_mov_b32_e32 v4, s10
	s_and_not1_b32 vcc_lo, exec_lo, s9
                                        ; implicit-def: $sgpr9
	s_cbranch_vccnz .LBB159_799
; %bb.798:
	v_add_f32_e32 v3, 0x46000000, v3
	s_mov_b32 s9, 0
	s_delay_alu instid0(VALU_DEP_1) | instskip(NEXT) | instid1(VALU_DEP_1)
	v_and_b32_e32 v4, 0xff, v3
	v_cmp_ne_u32_e64 s8, 0, v4
.LBB159_799:
	v_mov_b32_e32 v6, s9
	s_delay_alu instid0(VALU_DEP_2)
	s_and_not1_b32 vcc_lo, exec_lo, s8
	s_cbranch_vccnz .LBB159_801
; %bb.800:
	v_mov_b32_e32 v6, v4
.LBB159_801:
	global_store_b8 v[1:2], v6, off
.LBB159_802:
	s_mov_b32 s8, -1
.LBB159_803:
	s_mov_b32 s9, 0
.LBB159_804:
	s_delay_alu instid0(SALU_CYCLE_1)
	s_and_b32 vcc_lo, exec_lo, s9
	s_cbranch_vccz .LBB159_850
; %bb.805:
	v_cmp_lt_i16_e32 vcc_lo, 22, v5
	s_mov_b32 s5, -1
	s_cbranch_vccz .LBB159_843
; %bb.806:
	v_cmp_gt_i16_e32 vcc_lo, 24, v5
	s_cbranch_vccnz .LBB159_830
; %bb.807:
	v_cmp_lt_i16_e32 vcc_lo, 24, v5
	s_cbranch_vccz .LBB159_817
; %bb.808:
	s_and_b32 s5, 0xffff, s2
	v_mov_b32_e32 v6, 0x80
	v_cvt_f32_u32_e32 v3, s5
	s_delay_alu instid0(VALU_DEP_1)
	v_cmp_lt_u32_e32 vcc_lo, 0x477fffff, v3
	v_readfirstlane_b32 s5, v3
	s_cbranch_vccnz .LBB159_816
; %bb.809:
	s_delay_alu instid0(VALU_DEP_1)
	s_cmp_gt_u32 s5, 0x37ffffff
	s_cbranch_scc0 .LBB159_811
; %bb.810:
	s_bfe_u32 s8, s5, 0x10015
	s_delay_alu instid0(SALU_CYCLE_1) | instskip(SKIP_2) | instid1(SALU_CYCLE_1)
	s_add_i32 s5, s5, s8
	s_mov_b32 s8, 0
	s_add_i32 s5, s5, 0x88fffff
	s_lshr_b32 s9, s5, 21
	s_mov_b32 s5, -1
	s_branch .LBB159_812
.LBB159_811:
	s_mov_b32 s8, -1
	s_mov_b32 s5, 0
                                        ; implicit-def: $sgpr9
.LBB159_812:
	v_mov_b32_e32 v4, s9
	s_and_not1_b32 vcc_lo, exec_lo, s8
                                        ; implicit-def: $sgpr8
	s_cbranch_vccnz .LBB159_814
; %bb.813:
	v_add_f32_e32 v3, 0x42800000, v3
	s_mov_b32 s8, 0
	s_delay_alu instid0(VALU_DEP_1) | instskip(NEXT) | instid1(VALU_DEP_1)
	v_and_b32_e32 v4, 0xff, v3
	v_cmp_ne_u32_e64 s5, 0, v4
.LBB159_814:
	v_mov_b32_e32 v6, s8
	s_delay_alu instid0(VALU_DEP_2)
	s_and_not1_b32 vcc_lo, exec_lo, s5
	s_cbranch_vccnz .LBB159_816
; %bb.815:
	v_mov_b32_e32 v6, v4
.LBB159_816:
	s_mov_b32 s5, 0
	global_store_b8 v[1:2], v6, off
.LBB159_817:
	s_and_b32 vcc_lo, exec_lo, s5
	s_cbranch_vccz .LBB159_829
; %bb.818:
	s_and_b32 s5, 0xffff, s2
	s_delay_alu instid0(SALU_CYCLE_1) | instskip(NEXT) | instid1(VALU_DEP_1)
	v_cvt_f32_u32_e32 v3, s5
	v_cmp_gt_u32_e32 vcc_lo, 0x43f00000, v3
	v_readfirstlane_b32 s5, v3
	s_cbranch_vccz .LBB159_821
; %bb.819:
	s_delay_alu instid0(VALU_DEP_1)
	s_cmp_gt_u32 s5, 0x3c7fffff
	s_cbranch_scc0 .LBB159_822
; %bb.820:
	s_bfe_u32 s8, s5, 0x10014
	s_delay_alu instid0(SALU_CYCLE_1) | instskip(NEXT) | instid1(SALU_CYCLE_1)
	s_add_i32 s8, s5, s8
	s_add_i32 s8, s8, 0x407ffff
	s_delay_alu instid0(SALU_CYCLE_1)
	s_and_b32 s9, s8, 0xff00000
	s_lshr_b32 s8, s8, 20
	s_cmp_lg_u32 s9, 0x7f00000
	s_cselect_b32 s9, s8, 0x7e
	s_mov_b32 s8, 0
	s_branch .LBB159_823
.LBB159_821:
	s_mov_b32 s8, -1
                                        ; implicit-def: $vgpr4
	s_branch .LBB159_826
.LBB159_822:
	s_mov_b32 s8, -1
                                        ; implicit-def: $sgpr9
.LBB159_823:
	v_mov_b32_e32 v4, s9
	s_and_not1_b32 vcc_lo, exec_lo, s8
	s_cbranch_vccnz .LBB159_825
; %bb.824:
	v_add_f32_e32 v4, 0x46800000, v3
.LBB159_825:
	s_mov_b32 s8, 0
.LBB159_826:
	s_delay_alu instid0(SALU_CYCLE_1)
	s_and_not1_b32 vcc_lo, exec_lo, s8
	s_cbranch_vccnz .LBB159_828
; %bb.827:
	s_cmp_gt_u32 s5, 0x7f800000
	s_movk_i32 s5, 0x7f
	s_delay_alu instid0(SALU_CYCLE_1) | instskip(NEXT) | instid1(SALU_CYCLE_1)
	s_cselect_b32 s5, s5, 0x7e
	v_mov_b32_e32 v4, s5
.LBB159_828:
	global_store_b8 v[1:2], v4, off
.LBB159_829:
	s_mov_b32 s5, 0
.LBB159_830:
	s_delay_alu instid0(SALU_CYCLE_1)
	s_and_not1_b32 vcc_lo, exec_lo, s5
	s_cbranch_vccnz .LBB159_842
; %bb.831:
	s_and_b32 s5, 0xffff, s2
	s_delay_alu instid0(SALU_CYCLE_1) | instskip(NEXT) | instid1(VALU_DEP_1)
	v_cvt_f32_u32_e32 v3, s5
	v_cmp_gt_u32_e32 vcc_lo, 0x47800000, v3
	v_readfirstlane_b32 s5, v3
	s_cbranch_vccz .LBB159_834
; %bb.832:
	s_delay_alu instid0(VALU_DEP_1)
	s_cmp_gt_u32 s5, 0x387fffff
	s_cbranch_scc0 .LBB159_835
; %bb.833:
	s_bfe_u32 s8, s5, 0x10015
	s_delay_alu instid0(SALU_CYCLE_1) | instskip(NEXT) | instid1(SALU_CYCLE_1)
	s_add_i32 s8, s5, s8
	s_add_i32 s8, s8, 0x80fffff
	s_delay_alu instid0(SALU_CYCLE_1)
	s_lshr_b32 s9, s8, 21
	s_mov_b32 s8, 0
	s_branch .LBB159_836
.LBB159_834:
	s_mov_b32 s8, -1
                                        ; implicit-def: $vgpr4
	s_branch .LBB159_839
.LBB159_835:
	s_mov_b32 s8, -1
                                        ; implicit-def: $sgpr9
.LBB159_836:
	v_mov_b32_e32 v4, s9
	s_and_not1_b32 vcc_lo, exec_lo, s8
	s_cbranch_vccnz .LBB159_838
; %bb.837:
	v_add_f32_e32 v4, 0x43000000, v3
.LBB159_838:
	s_mov_b32 s8, 0
.LBB159_839:
	s_delay_alu instid0(SALU_CYCLE_1)
	s_and_not1_b32 vcc_lo, exec_lo, s8
	s_cbranch_vccnz .LBB159_841
; %bb.840:
	s_cmp_gt_u32 s5, 0x7f800000
	s_movk_i32 s5, 0x7f
	s_delay_alu instid0(SALU_CYCLE_1) | instskip(NEXT) | instid1(SALU_CYCLE_1)
	s_cselect_b32 s5, s5, 0x7c
	v_mov_b32_e32 v4, s5
.LBB159_841:
	global_store_b8 v[1:2], v4, off
.LBB159_842:
	s_mov_b32 s5, 0
	s_mov_b32 s8, -1
.LBB159_843:
	s_and_not1_b32 vcc_lo, exec_lo, s5
	s_mov_b32 s5, 0
	s_cbranch_vccnz .LBB159_850
; %bb.844:
	v_cmp_lt_i16_e32 vcc_lo, 14, v5
	s_mov_b32 s5, -1
	s_cbranch_vccz .LBB159_848
; %bb.845:
	v_cmp_eq_u16_e32 vcc_lo, 15, v5
	s_mov_b32 s4, -1
	s_cbranch_vccz .LBB159_847
; %bb.846:
	s_and_b32 s4, 0xffff, s2
	s_mov_b32 s8, -1
	v_cvt_f32_u32_e32 v3, s4
	s_mov_b32 s4, 0
	s_delay_alu instid0(VALU_DEP_1) | instskip(NEXT) | instid1(VALU_DEP_1)
	v_bfe_u32 v4, v3, 16, 1
	v_add_nc_u32_e32 v3, v3, v4
	s_delay_alu instid0(VALU_DEP_1)
	v_add_nc_u32_e32 v3, 0x7fff, v3
	global_store_d16_hi_b16 v[1:2], v3, off
.LBB159_847:
	s_mov_b32 s5, 0
.LBB159_848:
	s_delay_alu instid0(SALU_CYCLE_1)
	s_and_b32 vcc_lo, exec_lo, s5
	s_mov_b32 s5, 0
	s_cbranch_vccz .LBB159_850
; %bb.849:
	v_cmp_ne_u16_e64 s4, 11, v5
	s_mov_b32 s5, -1
.LBB159_850:
	s_delay_alu instid0(VALU_DEP_1)
	s_and_b32 vcc_lo, exec_lo, s4
	s_cbranch_vccnz .LBB159_968
; %bb.851:
	s_and_not1_b32 vcc_lo, exec_lo, s5
	s_cbranch_vccnz .LBB159_853
.LBB159_852:
	v_cmp_ne_u16_e64 s4, s2, 0
	s_mov_b32 s8, -1
	s_delay_alu instid0(VALU_DEP_1)
	v_cndmask_b32_e64 v3, 0, 1, s4
	global_store_b8 v[1:2], v3, off
.LBB159_853:
	s_mov_b32 s4, 0
.LBB159_854:
	s_delay_alu instid0(SALU_CYCLE_1)
	s_and_b32 vcc_lo, exec_lo, s4
	s_cbranch_vccz .LBB159_893
; %bb.855:
	v_cmp_gt_i16_e32 vcc_lo, 5, v5
	s_mov_b32 s4, -1
	s_cbranch_vccnz .LBB159_876
; %bb.856:
	v_cmp_gt_i16_e32 vcc_lo, 8, v5
	s_cbranch_vccnz .LBB159_866
; %bb.857:
	v_cmp_gt_i16_e32 vcc_lo, 9, v5
	s_cbranch_vccnz .LBB159_863
; %bb.858:
	v_cmp_lt_i16_e32 vcc_lo, 9, v5
	s_cbranch_vccz .LBB159_860
; %bb.859:
	s_and_b32 s4, 0xffff, s2
	v_mov_b32_e32 v8, 0
	v_cvt_f64_u32_e32 v[6:7], s4
	s_mov_b32 s4, 0
	s_delay_alu instid0(VALU_DEP_2)
	v_mov_b32_e32 v9, v8
	global_store_b128 v[1:2], v[6:9], off
.LBB159_860:
	s_and_not1_b32 vcc_lo, exec_lo, s4
	s_cbranch_vccnz .LBB159_862
; %bb.861:
	s_and_b32 s4, 0xffff, s2
	v_mov_b32_e32 v4, 0
	v_cvt_f32_u32_e32 v3, s4
	global_store_b64 v[1:2], v[3:4], off
.LBB159_862:
	s_mov_b32 s4, 0
.LBB159_863:
	s_delay_alu instid0(SALU_CYCLE_1)
	s_and_not1_b32 vcc_lo, exec_lo, s4
	s_cbranch_vccnz .LBB159_865
; %bb.864:
	v_cvt_f16_u16_e32 v3, s2
	s_delay_alu instid0(VALU_DEP_1)
	v_and_b32_e32 v3, 0xffff, v3
	global_store_b32 v[1:2], v3, off
.LBB159_865:
	s_mov_b32 s4, 0
.LBB159_866:
	s_delay_alu instid0(SALU_CYCLE_1)
	s_and_not1_b32 vcc_lo, exec_lo, s4
	s_cbranch_vccnz .LBB159_875
; %bb.867:
	v_cmp_gt_i16_e32 vcc_lo, 6, v5
	s_mov_b32 s4, -1
	s_cbranch_vccnz .LBB159_873
; %bb.868:
	v_cmp_lt_i16_e32 vcc_lo, 6, v5
	s_cbranch_vccz .LBB159_870
; %bb.869:
	s_and_b32 s4, 0xffff, s2
	s_delay_alu instid0(SALU_CYCLE_1)
	v_cvt_f64_u32_e32 v[3:4], s4
	s_mov_b32 s4, 0
	global_store_b64 v[1:2], v[3:4], off
.LBB159_870:
	s_and_not1_b32 vcc_lo, exec_lo, s4
	s_cbranch_vccnz .LBB159_872
; %bb.871:
	s_and_b32 s4, 0xffff, s2
	s_delay_alu instid0(SALU_CYCLE_1)
	v_cvt_f32_u32_e32 v3, s4
	global_store_b32 v[1:2], v3, off
.LBB159_872:
	s_mov_b32 s4, 0
.LBB159_873:
	s_delay_alu instid0(SALU_CYCLE_1)
	s_and_not1_b32 vcc_lo, exec_lo, s4
	s_cbranch_vccnz .LBB159_875
; %bb.874:
	v_cvt_f16_u16_e32 v3, s2
	global_store_b16 v[1:2], v3, off
.LBB159_875:
	s_mov_b32 s4, 0
.LBB159_876:
	s_delay_alu instid0(SALU_CYCLE_1)
	s_and_not1_b32 vcc_lo, exec_lo, s4
	s_cbranch_vccnz .LBB159_892
; %bb.877:
	v_cmp_gt_i16_e32 vcc_lo, 2, v5
	s_mov_b32 s4, -1
	s_cbranch_vccnz .LBB159_887
; %bb.878:
	v_cmp_gt_i16_e32 vcc_lo, 3, v5
	s_cbranch_vccnz .LBB159_884
; %bb.879:
	v_cmp_lt_i16_e32 vcc_lo, 3, v5
	s_cbranch_vccz .LBB159_881
; %bb.880:
	s_and_b32 s4, s2, 0xffff
	s_delay_alu instid0(SALU_CYCLE_1)
	v_dual_mov_b32 v4, 0 :: v_dual_mov_b32 v3, s4
	s_mov_b32 s4, 0
	global_store_b64 v[1:2], v[3:4], off
.LBB159_881:
	s_and_not1_b32 vcc_lo, exec_lo, s4
	s_cbranch_vccnz .LBB159_883
; %bb.882:
	s_and_b32 s4, 0xffff, s2
	s_delay_alu instid0(SALU_CYCLE_1)
	v_mov_b32_e32 v3, s4
	global_store_b32 v[1:2], v3, off
.LBB159_883:
	s_mov_b32 s4, 0
.LBB159_884:
	s_delay_alu instid0(SALU_CYCLE_1)
	s_and_not1_b32 vcc_lo, exec_lo, s4
	s_cbranch_vccnz .LBB159_886
; %bb.885:
	v_mov_b32_e32 v3, s2
	global_store_b16 v[1:2], v3, off
.LBB159_886:
	s_mov_b32 s4, 0
.LBB159_887:
	s_delay_alu instid0(SALU_CYCLE_1)
	s_and_not1_b32 vcc_lo, exec_lo, s4
	s_cbranch_vccnz .LBB159_892
; %bb.888:
	v_cmp_lt_i16_e32 vcc_lo, 0, v5
	s_mov_b32 s4, -1
	s_cbranch_vccz .LBB159_890
; %bb.889:
	v_mov_b32_e32 v3, s2
	s_mov_b32 s4, 0
	global_store_b8 v[1:2], v3, off
.LBB159_890:
	s_and_not1_b32 vcc_lo, exec_lo, s4
	s_cbranch_vccnz .LBB159_892
; %bb.891:
	v_mov_b32_e32 v3, s2
	global_store_b8 v[1:2], v3, off
.LBB159_892:
	s_mov_b32 s8, -1
.LBB159_893:
	s_delay_alu instid0(SALU_CYCLE_1)
	s_and_not1_b32 vcc_lo, exec_lo, s8
	s_cbranch_vccnz .LBB159_923
; %bb.894:
	v_cmp_gt_i16_e32 vcc_lo, 11, v5
	v_add_co_u32 v0, s0, s0, v0
	s_delay_alu instid0(VALU_DEP_1)
	v_add_co_ci_u32_e64 v1, null, s1, 0, s0
	s_mov_b32 s4, 0
	s_mov_b32 s0, -1
	s_cbranch_vccnz .LBB159_924
; %bb.895:
	v_cmp_lt_i16_e32 vcc_lo, 25, v5
	s_mov_b32 s1, -1
	s_mov_b32 s0, 0
	s_cbranch_vccz .LBB159_979
; %bb.896:
	v_cmp_lt_i16_e32 vcc_lo, 28, v5
	s_cbranch_vccz .LBB159_912
; %bb.897:
	v_cmp_lt_i16_e32 vcc_lo, 43, v5
	;; [unrolled: 3-line block ×3, first 2 shown]
	s_cbranch_vccz .LBB159_902
; %bb.899:
	v_cmp_eq_u16_e32 vcc_lo, 46, v5
	s_mov_b32 s0, -1
	s_cbranch_vccz .LBB159_901
; %bb.900:
	s_and_b32 s0, 0xffff, s2
	s_delay_alu instid0(SALU_CYCLE_1) | instskip(SKIP_1) | instid1(VALU_DEP_1)
	v_cvt_f32_u32_e32 v2, s0
	s_mov_b32 s0, 0
	v_bfe_u32 v3, v2, 16, 1
	s_delay_alu instid0(VALU_DEP_1) | instskip(NEXT) | instid1(VALU_DEP_1)
	v_add_nc_u32_e32 v2, v2, v3
	v_add_nc_u32_e32 v2, 0x7fff, v2
	s_delay_alu instid0(VALU_DEP_1)
	v_lshrrev_b32_e32 v2, 16, v2
	global_store_b32 v[0:1], v2, off
.LBB159_901:
	s_mov_b32 s1, 0
.LBB159_902:
	s_delay_alu instid0(SALU_CYCLE_1)
	s_and_b32 vcc_lo, exec_lo, s1
	s_cbranch_vccz .LBB159_907
; %bb.903:
	v_cmp_eq_u16_e32 vcc_lo, 44, v5
	s_mov_b32 s0, -1
	s_cbranch_vccz .LBB159_907
; %bb.904:
	s_and_b32 s0, 0xffff, s2
	s_delay_alu instid0(SALU_CYCLE_1) | instskip(NEXT) | instid1(VALU_DEP_1)
	v_cvt_f32_u32_e32 v2, s0
	v_readfirstlane_b32 s1, v2
	v_mov_b32_e32 v2, 0xff
	s_delay_alu instid0(VALU_DEP_2) | instskip(NEXT) | instid1(SALU_CYCLE_1)
	s_lshr_b32 s0, s1, 23
	s_cmpk_eq_i32 s0, 0xff
	s_cbranch_scc1 .LBB159_906
; %bb.905:
	s_bitcmp1_b32 s1, 22
	s_cselect_b32 s5, -1, 0
	s_and_b32 s1, s1, 0x3fffff
	s_delay_alu instid0(SALU_CYCLE_1) | instskip(NEXT) | instid1(SALU_CYCLE_1)
	s_or_b32 s1, s0, s1
	s_cmp_lg_u32 s1, 0
	s_cselect_b32 s1, -1, 0
	s_delay_alu instid0(SALU_CYCLE_1) | instskip(NEXT) | instid1(SALU_CYCLE_1)
	s_and_b32 s1, s5, s1
	v_cndmask_b32_e64 v2, 0, 1, s1
	s_delay_alu instid0(VALU_DEP_1)
	v_add_nc_u32_e32 v2, s0, v2
.LBB159_906:
	s_mov_b32 s0, 0
	global_store_b8 v[0:1], v2, off
.LBB159_907:
	s_mov_b32 s1, 0
.LBB159_908:
	s_delay_alu instid0(SALU_CYCLE_1)
	s_and_b32 vcc_lo, exec_lo, s1
	s_cbranch_vccz .LBB159_911
; %bb.909:
	v_cmp_eq_u16_e32 vcc_lo, 29, v5
	s_mov_b32 s0, -1
	s_cbranch_vccz .LBB159_911
; %bb.910:
	s_and_b32 s0, s2, 0xffff
	s_delay_alu instid0(SALU_CYCLE_1)
	v_dual_mov_b32 v3, 0 :: v_dual_mov_b32 v2, s0
	s_mov_b32 s0, 0
	global_store_b64 v[0:1], v[2:3], off
.LBB159_911:
	s_mov_b32 s1, 0
.LBB159_912:
	s_delay_alu instid0(SALU_CYCLE_1)
	s_and_b32 vcc_lo, exec_lo, s1
	s_cbranch_vccz .LBB159_978
; %bb.913:
	v_cmp_gt_i16_e32 vcc_lo, 27, v5
	s_mov_b32 s1, -1
	s_cbranch_vccnz .LBB159_919
; %bb.914:
	v_cmp_lt_i16_e32 vcc_lo, 27, v5
	s_cbranch_vccz .LBB159_916
; %bb.915:
	s_and_b32 s1, 0xffff, s2
	s_delay_alu instid0(SALU_CYCLE_1)
	v_mov_b32_e32 v2, s1
	s_mov_b32 s1, 0
	global_store_b32 v[0:1], v2, off
.LBB159_916:
	s_and_not1_b32 vcc_lo, exec_lo, s1
	s_cbranch_vccnz .LBB159_918
; %bb.917:
	v_mov_b32_e32 v2, s2
	global_store_b16 v[0:1], v2, off
.LBB159_918:
	s_mov_b32 s1, 0
.LBB159_919:
	s_delay_alu instid0(SALU_CYCLE_1)
	s_and_not1_b32 vcc_lo, exec_lo, s1
	s_cbranch_vccnz .LBB159_978
; %bb.920:
	s_and_b32 s1, 0xffff, s2
	v_mov_b32_e32 v4, 0x80
	v_cvt_f32_u32_e32 v2, s1
	s_delay_alu instid0(VALU_DEP_1)
	v_cmp_lt_u32_e32 vcc_lo, 0x437fffff, v2
	v_readfirstlane_b32 s1, v2
	s_cbranch_vccnz .LBB159_977
; %bb.921:
	s_delay_alu instid0(VALU_DEP_1)
	s_cmp_gt_u32 s1, 0x3bffffff
	s_cbranch_scc0 .LBB159_972
; %bb.922:
	s_bfe_u32 s5, s1, 0x10014
	s_delay_alu instid0(SALU_CYCLE_1) | instskip(SKIP_2) | instid1(SALU_CYCLE_1)
	s_add_i32 s1, s1, s5
	s_mov_b32 s5, 0
	s_add_i32 s1, s1, 0x487ffff
	s_lshr_b32 s8, s1, 20
	s_mov_b32 s1, -1
	s_branch .LBB159_973
.LBB159_923:
	s_mov_b32 s0, 0
	s_mov_b32 s4, 0
                                        ; implicit-def: $vgpr5
                                        ; implicit-def: $vgpr0_vgpr1
.LBB159_924:
	s_and_b32 s5, s0, exec_lo
	s_and_not1_b32 s0, s6, exec_lo
	s_and_b32 s1, s3, exec_lo
	s_and_b32 s34, s4, exec_lo
	s_or_b32 s6, s0, s1
.LBB159_925:
	s_or_b32 exec_lo, exec_lo, s7
	s_and_saveexec_b32 s0, s6
	s_cbranch_execz .LBB159_928
; %bb.926:
	; divergent unreachable
	s_or_b32 exec_lo, exec_lo, s0
	s_and_saveexec_b32 s0, s34
	s_delay_alu instid0(SALU_CYCLE_1)
	s_xor_b32 s0, exec_lo, s0
	s_cbranch_execnz .LBB159_929
.LBB159_927:
	s_or_b32 exec_lo, exec_lo, s0
	s_and_saveexec_b32 s0, s5
	s_cbranch_execnz .LBB159_930
	s_branch .LBB159_967
.LBB159_928:
	s_or_b32 exec_lo, exec_lo, s0
	s_and_saveexec_b32 s0, s34
	s_delay_alu instid0(SALU_CYCLE_1)
	s_xor_b32 s0, exec_lo, s0
	s_cbranch_execz .LBB159_927
.LBB159_929:
	v_cmp_ne_u16_e64 s1, s2, 0
	s_delay_alu instid0(VALU_DEP_1)
	v_cndmask_b32_e64 v2, 0, 1, s1
	global_store_b8 v[0:1], v2, off
	s_or_b32 exec_lo, exec_lo, s0
	s_and_saveexec_b32 s0, s5
	s_cbranch_execz .LBB159_967
.LBB159_930:
	v_cmp_gt_i16_e32 vcc_lo, 5, v5
	s_mov_b32 s0, -1
	s_cbranch_vccnz .LBB159_951
; %bb.931:
	v_cmp_gt_i16_e32 vcc_lo, 8, v5
	s_cbranch_vccnz .LBB159_941
; %bb.932:
	v_cmp_gt_i16_e32 vcc_lo, 9, v5
	s_cbranch_vccnz .LBB159_938
; %bb.933:
	v_cmp_lt_i16_e32 vcc_lo, 9, v5
	s_cbranch_vccz .LBB159_935
; %bb.934:
	s_and_b32 s0, 0xffff, s2
	v_mov_b32_e32 v8, 0
	v_cvt_f64_u32_e32 v[6:7], s0
	s_mov_b32 s0, 0
	s_delay_alu instid0(VALU_DEP_2)
	v_mov_b32_e32 v9, v8
	global_store_b128 v[0:1], v[6:9], off
.LBB159_935:
	s_and_not1_b32 vcc_lo, exec_lo, s0
	s_cbranch_vccnz .LBB159_937
; %bb.936:
	s_and_b32 s0, 0xffff, s2
	v_mov_b32_e32 v3, 0
	v_cvt_f32_u32_e32 v2, s0
	global_store_b64 v[0:1], v[2:3], off
.LBB159_937:
	s_mov_b32 s0, 0
.LBB159_938:
	s_delay_alu instid0(SALU_CYCLE_1)
	s_and_not1_b32 vcc_lo, exec_lo, s0
	s_cbranch_vccnz .LBB159_940
; %bb.939:
	v_cvt_f16_u16_e32 v2, s2
	s_delay_alu instid0(VALU_DEP_1)
	v_and_b32_e32 v2, 0xffff, v2
	global_store_b32 v[0:1], v2, off
.LBB159_940:
	s_mov_b32 s0, 0
.LBB159_941:
	s_delay_alu instid0(SALU_CYCLE_1)
	s_and_not1_b32 vcc_lo, exec_lo, s0
	s_cbranch_vccnz .LBB159_950
; %bb.942:
	v_cmp_gt_i16_e32 vcc_lo, 6, v5
	s_mov_b32 s0, -1
	s_cbranch_vccnz .LBB159_948
; %bb.943:
	v_cmp_lt_i16_e32 vcc_lo, 6, v5
	s_cbranch_vccz .LBB159_945
; %bb.944:
	s_and_b32 s0, 0xffff, s2
	s_delay_alu instid0(SALU_CYCLE_1)
	v_cvt_f64_u32_e32 v[2:3], s0
	s_mov_b32 s0, 0
	global_store_b64 v[0:1], v[2:3], off
.LBB159_945:
	s_and_not1_b32 vcc_lo, exec_lo, s0
	s_cbranch_vccnz .LBB159_947
; %bb.946:
	s_and_b32 s0, 0xffff, s2
	s_delay_alu instid0(SALU_CYCLE_1)
	v_cvt_f32_u32_e32 v2, s0
	global_store_b32 v[0:1], v2, off
.LBB159_947:
	s_mov_b32 s0, 0
.LBB159_948:
	s_delay_alu instid0(SALU_CYCLE_1)
	s_and_not1_b32 vcc_lo, exec_lo, s0
	s_cbranch_vccnz .LBB159_950
; %bb.949:
	v_cvt_f16_u16_e32 v2, s2
	global_store_b16 v[0:1], v2, off
.LBB159_950:
	s_mov_b32 s0, 0
.LBB159_951:
	s_delay_alu instid0(SALU_CYCLE_1)
	s_and_not1_b32 vcc_lo, exec_lo, s0
	s_cbranch_vccnz .LBB159_967
; %bb.952:
	v_cmp_gt_i16_e32 vcc_lo, 2, v5
	s_mov_b32 s0, -1
	s_cbranch_vccnz .LBB159_962
; %bb.953:
	v_cmp_gt_i16_e32 vcc_lo, 3, v5
	s_cbranch_vccnz .LBB159_959
; %bb.954:
	v_cmp_lt_i16_e32 vcc_lo, 3, v5
	s_cbranch_vccz .LBB159_956
; %bb.955:
	s_and_b32 s0, s2, 0xffff
	s_delay_alu instid0(SALU_CYCLE_1)
	v_dual_mov_b32 v3, 0 :: v_dual_mov_b32 v2, s0
	s_mov_b32 s0, 0
	global_store_b64 v[0:1], v[2:3], off
.LBB159_956:
	s_and_not1_b32 vcc_lo, exec_lo, s0
	s_cbranch_vccnz .LBB159_958
; %bb.957:
	s_and_b32 s0, 0xffff, s2
	s_delay_alu instid0(SALU_CYCLE_1)
	v_mov_b32_e32 v2, s0
	global_store_b32 v[0:1], v2, off
.LBB159_958:
	s_mov_b32 s0, 0
.LBB159_959:
	s_delay_alu instid0(SALU_CYCLE_1)
	s_and_not1_b32 vcc_lo, exec_lo, s0
	s_cbranch_vccnz .LBB159_961
; %bb.960:
	v_mov_b32_e32 v2, s2
	global_store_b16 v[0:1], v2, off
.LBB159_961:
	s_mov_b32 s0, 0
.LBB159_962:
	s_delay_alu instid0(SALU_CYCLE_1)
	s_and_not1_b32 vcc_lo, exec_lo, s0
	s_cbranch_vccnz .LBB159_967
; %bb.963:
	v_cmp_lt_i16_e32 vcc_lo, 0, v5
	s_mov_b32 s0, -1
	s_cbranch_vccz .LBB159_965
; %bb.964:
	v_mov_b32_e32 v2, s2
	s_mov_b32 s0, 0
	global_store_b8 v[0:1], v2, off
.LBB159_965:
	s_and_not1_b32 vcc_lo, exec_lo, s0
	s_cbranch_vccnz .LBB159_967
; %bb.966:
	v_mov_b32_e32 v2, s2
	global_store_b8 v[0:1], v2, off
	s_nop 0
	s_sendmsg sendmsg(MSG_DEALLOC_VGPRS)
	s_endpgm
.LBB159_967:
	s_nop 0
	s_sendmsg sendmsg(MSG_DEALLOC_VGPRS)
	s_endpgm
.LBB159_968:
	s_cbranch_execnz .LBB159_970
; %bb.969:
	s_or_b32 s3, s3, exec_lo
	s_cbranch_execz .LBB159_852
	s_branch .LBB159_853
.LBB159_970:
	s_trap 2
	s_sendmsg_rtn_b32 s0, sendmsg(MSG_RTN_GET_DOORBELL)
	s_mov_b32 ttmp2, m0
	s_waitcnt lgkmcnt(0)
	s_and_b32 s0, s0, 0x3ff
	s_delay_alu instid0(SALU_CYCLE_1) | instskip(NEXT) | instid1(SALU_CYCLE_1)
	s_bitset1_b32 s0, 10
	s_mov_b32 m0, s0
	s_sendmsg sendmsg(MSG_INTERRUPT)
	s_mov_b32 m0, ttmp2
.LBB159_971:                            ; =>This Inner Loop Header: Depth=1
	s_sethalt 5
	s_branch .LBB159_971
.LBB159_972:
	s_mov_b32 s5, -1
	s_mov_b32 s1, 0
                                        ; implicit-def: $sgpr8
.LBB159_973:
	v_mov_b32_e32 v3, s8
	s_and_not1_b32 vcc_lo, exec_lo, s5
                                        ; implicit-def: $sgpr5
	s_cbranch_vccnz .LBB159_975
; %bb.974:
	v_add_f32_e32 v2, 0x46000000, v2
	s_mov_b32 s5, 0
	s_delay_alu instid0(VALU_DEP_1) | instskip(NEXT) | instid1(VALU_DEP_1)
	v_and_b32_e32 v3, 0xff, v2
	v_cmp_ne_u32_e64 s1, 0, v3
.LBB159_975:
	v_mov_b32_e32 v4, s5
	s_delay_alu instid0(VALU_DEP_2)
	s_and_not1_b32 vcc_lo, exec_lo, s1
	s_cbranch_vccnz .LBB159_977
; %bb.976:
	v_mov_b32_e32 v4, v3
.LBB159_977:
	global_store_b8 v[0:1], v4, off
.LBB159_978:
	s_mov_b32 s1, 0
.LBB159_979:
	s_delay_alu instid0(SALU_CYCLE_1)
	s_and_b32 vcc_lo, exec_lo, s1
	s_cbranch_vccz .LBB159_1025
; %bb.980:
	v_cmp_lt_i16_e32 vcc_lo, 22, v5
	s_mov_b32 s1, -1
	s_cbranch_vccz .LBB159_1018
; %bb.981:
	v_cmp_gt_i16_e32 vcc_lo, 24, v5
	s_cbranch_vccnz .LBB159_1005
; %bb.982:
	v_cmp_lt_i16_e32 vcc_lo, 24, v5
	s_cbranch_vccz .LBB159_992
; %bb.983:
	s_and_b32 s1, 0xffff, s2
	v_mov_b32_e32 v4, 0x80
	v_cvt_f32_u32_e32 v2, s1
	s_delay_alu instid0(VALU_DEP_1)
	v_cmp_lt_u32_e32 vcc_lo, 0x477fffff, v2
	v_readfirstlane_b32 s1, v2
	s_cbranch_vccnz .LBB159_991
; %bb.984:
	s_delay_alu instid0(VALU_DEP_1)
	s_cmp_gt_u32 s1, 0x37ffffff
	s_cbranch_scc0 .LBB159_986
; %bb.985:
	s_bfe_u32 s4, s1, 0x10015
	s_delay_alu instid0(SALU_CYCLE_1) | instskip(SKIP_2) | instid1(SALU_CYCLE_1)
	s_add_i32 s1, s1, s4
	s_mov_b32 s4, 0
	s_add_i32 s1, s1, 0x88fffff
	s_lshr_b32 s5, s1, 21
	s_mov_b32 s1, -1
	s_branch .LBB159_987
.LBB159_986:
	s_mov_b32 s4, -1
	s_mov_b32 s1, 0
                                        ; implicit-def: $sgpr5
.LBB159_987:
	v_mov_b32_e32 v3, s5
	s_and_not1_b32 vcc_lo, exec_lo, s4
                                        ; implicit-def: $sgpr4
	s_cbranch_vccnz .LBB159_989
; %bb.988:
	v_add_f32_e32 v2, 0x42800000, v2
	s_mov_b32 s4, 0
	s_delay_alu instid0(VALU_DEP_1) | instskip(NEXT) | instid1(VALU_DEP_1)
	v_and_b32_e32 v3, 0xff, v2
	v_cmp_ne_u32_e64 s1, 0, v3
.LBB159_989:
	v_mov_b32_e32 v4, s4
	s_delay_alu instid0(VALU_DEP_2)
	s_and_not1_b32 vcc_lo, exec_lo, s1
	s_cbranch_vccnz .LBB159_991
; %bb.990:
	v_mov_b32_e32 v4, v3
.LBB159_991:
	s_mov_b32 s1, 0
	global_store_b8 v[0:1], v4, off
.LBB159_992:
	s_and_b32 vcc_lo, exec_lo, s1
	s_cbranch_vccz .LBB159_1004
; %bb.993:
	s_and_b32 s1, 0xffff, s2
	s_delay_alu instid0(SALU_CYCLE_1) | instskip(NEXT) | instid1(VALU_DEP_1)
	v_cvt_f32_u32_e32 v2, s1
	v_cmp_gt_u32_e32 vcc_lo, 0x43f00000, v2
	v_readfirstlane_b32 s1, v2
	s_cbranch_vccz .LBB159_996
; %bb.994:
	s_delay_alu instid0(VALU_DEP_1)
	s_cmp_gt_u32 s1, 0x3c7fffff
	s_cbranch_scc0 .LBB159_997
; %bb.995:
	s_bfe_u32 s4, s1, 0x10014
	s_delay_alu instid0(SALU_CYCLE_1) | instskip(NEXT) | instid1(SALU_CYCLE_1)
	s_add_i32 s4, s1, s4
	s_add_i32 s4, s4, 0x407ffff
	s_delay_alu instid0(SALU_CYCLE_1)
	s_and_b32 s5, s4, 0xff00000
	s_lshr_b32 s4, s4, 20
	s_cmp_lg_u32 s5, 0x7f00000
	s_cselect_b32 s5, s4, 0x7e
	s_mov_b32 s4, 0
	s_branch .LBB159_998
.LBB159_996:
	s_mov_b32 s4, -1
                                        ; implicit-def: $vgpr3
	s_branch .LBB159_1001
.LBB159_997:
	s_mov_b32 s4, -1
                                        ; implicit-def: $sgpr5
.LBB159_998:
	v_mov_b32_e32 v3, s5
	s_and_not1_b32 vcc_lo, exec_lo, s4
	s_cbranch_vccnz .LBB159_1000
; %bb.999:
	v_add_f32_e32 v3, 0x46800000, v2
.LBB159_1000:
	s_mov_b32 s4, 0
.LBB159_1001:
	s_delay_alu instid0(SALU_CYCLE_1)
	s_and_not1_b32 vcc_lo, exec_lo, s4
	s_cbranch_vccnz .LBB159_1003
; %bb.1002:
	s_cmp_gt_u32 s1, 0x7f800000
	s_movk_i32 s1, 0x7f
	s_delay_alu instid0(SALU_CYCLE_1) | instskip(NEXT) | instid1(SALU_CYCLE_1)
	s_cselect_b32 s1, s1, 0x7e
	v_mov_b32_e32 v3, s1
.LBB159_1003:
	global_store_b8 v[0:1], v3, off
.LBB159_1004:
	s_mov_b32 s1, 0
.LBB159_1005:
	s_delay_alu instid0(SALU_CYCLE_1)
	s_and_not1_b32 vcc_lo, exec_lo, s1
	s_cbranch_vccnz .LBB159_1017
; %bb.1006:
	s_and_b32 s1, 0xffff, s2
	s_delay_alu instid0(SALU_CYCLE_1) | instskip(NEXT) | instid1(VALU_DEP_1)
	v_cvt_f32_u32_e32 v2, s1
	v_cmp_gt_u32_e32 vcc_lo, 0x47800000, v2
	v_readfirstlane_b32 s1, v2
	s_cbranch_vccz .LBB159_1009
; %bb.1007:
	s_delay_alu instid0(VALU_DEP_1)
	s_cmp_gt_u32 s1, 0x387fffff
	s_cbranch_scc0 .LBB159_1010
; %bb.1008:
	s_bfe_u32 s4, s1, 0x10015
	s_delay_alu instid0(SALU_CYCLE_1) | instskip(NEXT) | instid1(SALU_CYCLE_1)
	s_add_i32 s4, s1, s4
	s_add_i32 s4, s4, 0x80fffff
	s_delay_alu instid0(SALU_CYCLE_1)
	s_lshr_b32 s5, s4, 21
	s_mov_b32 s4, 0
	s_branch .LBB159_1011
.LBB159_1009:
	s_mov_b32 s4, -1
                                        ; implicit-def: $vgpr3
	s_branch .LBB159_1014
.LBB159_1010:
	s_mov_b32 s4, -1
                                        ; implicit-def: $sgpr5
.LBB159_1011:
	v_mov_b32_e32 v3, s5
	s_and_not1_b32 vcc_lo, exec_lo, s4
	s_cbranch_vccnz .LBB159_1013
; %bb.1012:
	v_add_f32_e32 v3, 0x43000000, v2
.LBB159_1013:
	s_mov_b32 s4, 0
.LBB159_1014:
	s_delay_alu instid0(SALU_CYCLE_1)
	s_and_not1_b32 vcc_lo, exec_lo, s4
	s_cbranch_vccnz .LBB159_1016
; %bb.1015:
	s_cmp_gt_u32 s1, 0x7f800000
	s_movk_i32 s1, 0x7f
	s_delay_alu instid0(SALU_CYCLE_1) | instskip(NEXT) | instid1(SALU_CYCLE_1)
	s_cselect_b32 s1, s1, 0x7c
	v_mov_b32_e32 v3, s1
.LBB159_1016:
	global_store_b8 v[0:1], v3, off
.LBB159_1017:
	s_mov_b32 s1, 0
.LBB159_1018:
	s_delay_alu instid0(SALU_CYCLE_1)
	s_and_not1_b32 vcc_lo, exec_lo, s1
	s_mov_b32 s4, 0
	s_cbranch_vccnz .LBB159_1025
; %bb.1019:
	v_cmp_lt_i16_e32 vcc_lo, 14, v5
	s_mov_b32 s1, -1
	s_cbranch_vccz .LBB159_1023
; %bb.1020:
	v_cmp_eq_u16_e32 vcc_lo, 15, v5
	s_mov_b32 s0, -1
	s_cbranch_vccz .LBB159_1022
; %bb.1021:
	s_and_b32 s0, 0xffff, s2
	s_delay_alu instid0(SALU_CYCLE_1) | instskip(SKIP_1) | instid1(VALU_DEP_1)
	v_cvt_f32_u32_e32 v2, s0
	s_mov_b32 s0, 0
	v_bfe_u32 v3, v2, 16, 1
	s_delay_alu instid0(VALU_DEP_1) | instskip(NEXT) | instid1(VALU_DEP_1)
	v_add_nc_u32_e32 v2, v2, v3
	v_add_nc_u32_e32 v2, 0x7fff, v2
	global_store_d16_hi_b16 v[0:1], v2, off
.LBB159_1022:
	s_mov_b32 s1, 0
.LBB159_1023:
	s_delay_alu instid0(SALU_CYCLE_1)
	s_and_b32 vcc_lo, exec_lo, s1
	s_cbranch_vccz .LBB159_1025
; %bb.1024:
	v_cmp_ne_u16_e64 s0, 11, v5
	s_mov_b32 s4, -1
.LBB159_1025:
	s_delay_alu instid0(VALU_DEP_1)
	s_and_b32 vcc_lo, exec_lo, s0
	s_cbranch_vccnz .LBB159_1027
.LBB159_1026:
	s_mov_b32 s0, 0
	s_branch .LBB159_924
.LBB159_1027:
	s_cbranch_execnz .LBB159_1029
; %bb.1028:
	s_mov_b32 s4, 0
	s_or_b32 s3, s3, exec_lo
	s_branch .LBB159_1026
.LBB159_1029:
	s_trap 2
	s_sendmsg_rtn_b32 s0, sendmsg(MSG_RTN_GET_DOORBELL)
	s_mov_b32 ttmp2, m0
	s_waitcnt lgkmcnt(0)
	s_and_b32 s0, s0, 0x3ff
	s_delay_alu instid0(SALU_CYCLE_1) | instskip(NEXT) | instid1(SALU_CYCLE_1)
	s_bitset1_b32 s0, 10
	s_mov_b32 m0, s0
	s_sendmsg sendmsg(MSG_INTERRUPT)
	s_mov_b32 m0, ttmp2
.LBB159_1030:                           ; =>This Inner Loop Header: Depth=1
	s_sethalt 5
	s_branch .LBB159_1030
	.section	.rodata,"a",@progbits
	.p2align	6, 0x0
	.amdhsa_kernel _ZN2at6native32elementwise_kernel_manual_unrollILi128ELi4EZNS0_15gpu_kernel_implINS0_11FillFunctorItEEEEvRNS_18TensorIteratorBaseERKT_EUlibE0_EEviT1_
		.amdhsa_group_segment_fixed_size 0
		.amdhsa_private_segment_fixed_size 0
		.amdhsa_kernarg_size 288
		.amdhsa_user_sgpr_count 15
		.amdhsa_user_sgpr_dispatch_ptr 0
		.amdhsa_user_sgpr_queue_ptr 0
		.amdhsa_user_sgpr_kernarg_segment_ptr 1
		.amdhsa_user_sgpr_dispatch_id 0
		.amdhsa_user_sgpr_private_segment_size 0
		.amdhsa_wavefront_size32 1
		.amdhsa_uses_dynamic_stack 0
		.amdhsa_enable_private_segment 0
		.amdhsa_system_sgpr_workgroup_id_x 1
		.amdhsa_system_sgpr_workgroup_id_y 0
		.amdhsa_system_sgpr_workgroup_id_z 0
		.amdhsa_system_sgpr_workgroup_info 0
		.amdhsa_system_vgpr_workitem_id 0
		.amdhsa_next_free_vgpr 28
		.amdhsa_next_free_sgpr 72
		.amdhsa_reserve_vcc 1
		.amdhsa_float_round_mode_32 0
		.amdhsa_float_round_mode_16_64 0
		.amdhsa_float_denorm_mode_32 3
		.amdhsa_float_denorm_mode_16_64 3
		.amdhsa_dx10_clamp 1
		.amdhsa_ieee_mode 1
		.amdhsa_fp16_overflow 0
		.amdhsa_workgroup_processor_mode 1
		.amdhsa_memory_ordered 1
		.amdhsa_forward_progress 0
		.amdhsa_shared_vgpr_count 0
		.amdhsa_exception_fp_ieee_invalid_op 0
		.amdhsa_exception_fp_denorm_src 0
		.amdhsa_exception_fp_ieee_div_zero 0
		.amdhsa_exception_fp_ieee_overflow 0
		.amdhsa_exception_fp_ieee_underflow 0
		.amdhsa_exception_fp_ieee_inexact 0
		.amdhsa_exception_int_div_zero 0
	.end_amdhsa_kernel
	.section	.text._ZN2at6native32elementwise_kernel_manual_unrollILi128ELi4EZNS0_15gpu_kernel_implINS0_11FillFunctorItEEEEvRNS_18TensorIteratorBaseERKT_EUlibE0_EEviT1_,"axG",@progbits,_ZN2at6native32elementwise_kernel_manual_unrollILi128ELi4EZNS0_15gpu_kernel_implINS0_11FillFunctorItEEEEvRNS_18TensorIteratorBaseERKT_EUlibE0_EEviT1_,comdat
.Lfunc_end159:
	.size	_ZN2at6native32elementwise_kernel_manual_unrollILi128ELi4EZNS0_15gpu_kernel_implINS0_11FillFunctorItEEEEvRNS_18TensorIteratorBaseERKT_EUlibE0_EEviT1_, .Lfunc_end159-_ZN2at6native32elementwise_kernel_manual_unrollILi128ELi4EZNS0_15gpu_kernel_implINS0_11FillFunctorItEEEEvRNS_18TensorIteratorBaseERKT_EUlibE0_EEviT1_
                                        ; -- End function
	.section	.AMDGPU.csdata,"",@progbits
; Kernel info:
; codeLenInByte = 18932
; NumSgprs: 74
; NumVgprs: 28
; ScratchSize: 0
; MemoryBound: 0
; FloatMode: 240
; IeeeMode: 1
; LDSByteSize: 0 bytes/workgroup (compile time only)
; SGPRBlocks: 9
; VGPRBlocks: 3
; NumSGPRsForWavesPerEU: 74
; NumVGPRsForWavesPerEU: 28
; Occupancy: 16
; WaveLimiterHint : 1
; COMPUTE_PGM_RSRC2:SCRATCH_EN: 0
; COMPUTE_PGM_RSRC2:USER_SGPR: 15
; COMPUTE_PGM_RSRC2:TRAP_HANDLER: 0
; COMPUTE_PGM_RSRC2:TGID_X_EN: 1
; COMPUTE_PGM_RSRC2:TGID_Y_EN: 0
; COMPUTE_PGM_RSRC2:TGID_Z_EN: 0
; COMPUTE_PGM_RSRC2:TIDIG_COMP_CNT: 0
	.section	.text._ZN2at6native29vectorized_elementwise_kernelILi16ENS0_11FillFunctorIjEESt5arrayIPcLm1EEEEviT0_T1_,"axG",@progbits,_ZN2at6native29vectorized_elementwise_kernelILi16ENS0_11FillFunctorIjEESt5arrayIPcLm1EEEEviT0_T1_,comdat
	.protected	_ZN2at6native29vectorized_elementwise_kernelILi16ENS0_11FillFunctorIjEESt5arrayIPcLm1EEEEviT0_T1_ ; -- Begin function _ZN2at6native29vectorized_elementwise_kernelILi16ENS0_11FillFunctorIjEESt5arrayIPcLm1EEEEviT0_T1_
	.globl	_ZN2at6native29vectorized_elementwise_kernelILi16ENS0_11FillFunctorIjEESt5arrayIPcLm1EEEEviT0_T1_
	.p2align	8
	.type	_ZN2at6native29vectorized_elementwise_kernelILi16ENS0_11FillFunctorIjEESt5arrayIPcLm1EEEEviT0_T1_,@function
_ZN2at6native29vectorized_elementwise_kernelILi16ENS0_11FillFunctorIjEESt5arrayIPcLm1EEEEviT0_T1_: ; @_ZN2at6native29vectorized_elementwise_kernelILi16ENS0_11FillFunctorIjEESt5arrayIPcLm1EEEEviT0_T1_
; %bb.0:
	s_load_b128 s[0:3], s[0:1], 0x0
	s_lshl_b32 s4, s15, 10
	s_mov_b32 s5, -1
	s_waitcnt lgkmcnt(0)
	s_sub_i32 s0, s0, s4
	s_delay_alu instid0(SALU_CYCLE_1)
	s_cmpk_gt_i32 s0, 0x3ff
	s_cbranch_scc0 .LBB160_2
; %bb.1:
	s_ashr_i32 s5, s4, 31
	v_dual_mov_b32 v1, s1 :: v_dual_mov_b32 v2, s1
	v_dual_mov_b32 v4, s1 :: v_dual_lshlrev_b32 v5, 4, v0
	s_lshl_b64 s[6:7], s[4:5], 2
	v_mov_b32_e32 v3, s1
	s_add_u32 s6, s2, s6
	s_addc_u32 s7, s3, s7
	s_mov_b32 s5, 0
	global_store_b128 v5, v[1:4], s[6:7]
.LBB160_2:
	s_and_not1_b32 vcc_lo, exec_lo, s5
	s_cbranch_vccnz .LBB160_8
; %bb.3:
	s_mov_b32 s5, exec_lo
	v_cmpx_gt_i32_e64 s0, v0
	s_cbranch_execnz .LBB160_9
; %bb.4:
	s_or_b32 exec_lo, exec_lo, s5
	s_delay_alu instid0(SALU_CYCLE_1)
	s_mov_b32 s5, exec_lo
	v_cmpx_gt_i32_e64 s0, v0
	s_cbranch_execnz .LBB160_10
.LBB160_5:
	s_or_b32 exec_lo, exec_lo, s5
	s_delay_alu instid0(SALU_CYCLE_1)
	s_mov_b32 s5, exec_lo
	v_cmpx_gt_i32_e64 s0, v0
	s_cbranch_execnz .LBB160_11
.LBB160_6:
	s_or_b32 exec_lo, exec_lo, s5
	v_cmp_gt_i32_e32 vcc_lo, s0, v0
	s_and_saveexec_b32 s0, vcc_lo
	s_cbranch_execz .LBB160_8
.LBB160_7:
	v_dual_mov_b32 v1, 0 :: v_dual_add_nc_u32 v0, s4, v0
	v_mov_b32_e32 v2, s1
	s_delay_alu instid0(VALU_DEP_2) | instskip(NEXT) | instid1(VALU_DEP_1)
	v_lshlrev_b64 v[0:1], 2, v[0:1]
	v_add_co_u32 v0, vcc_lo, s2, v0
	s_delay_alu instid0(VALU_DEP_2)
	v_add_co_ci_u32_e32 v1, vcc_lo, s3, v1, vcc_lo
	global_store_b32 v[0:1], v2, off
.LBB160_8:
	s_nop 0
	s_sendmsg sendmsg(MSG_DEALLOC_VGPRS)
	s_endpgm
.LBB160_9:
	v_or_b32_e32 v1, s4, v0
	v_dual_mov_b32 v2, 0 :: v_dual_mov_b32 v3, s1
	v_or_b32_e32 v0, 0x100, v0
	s_delay_alu instid0(VALU_DEP_2) | instskip(NEXT) | instid1(VALU_DEP_1)
	v_lshlrev_b64 v[1:2], 2, v[1:2]
	v_add_co_u32 v1, vcc_lo, s2, v1
	s_delay_alu instid0(VALU_DEP_2) | instskip(SKIP_2) | instid1(SALU_CYCLE_1)
	v_add_co_ci_u32_e32 v2, vcc_lo, s3, v2, vcc_lo
	global_store_b32 v[1:2], v3, off
	s_or_b32 exec_lo, exec_lo, s5
	s_mov_b32 s5, exec_lo
	v_cmpx_gt_i32_e64 s0, v0
	s_cbranch_execz .LBB160_5
.LBB160_10:
	v_dual_mov_b32 v2, 0 :: v_dual_add_nc_u32 v1, s4, v0
	v_dual_mov_b32 v3, s1 :: v_dual_add_nc_u32 v0, 0x100, v0
	s_delay_alu instid0(VALU_DEP_2) | instskip(NEXT) | instid1(VALU_DEP_1)
	v_lshlrev_b64 v[1:2], 2, v[1:2]
	v_add_co_u32 v1, vcc_lo, s2, v1
	s_delay_alu instid0(VALU_DEP_2) | instskip(SKIP_2) | instid1(SALU_CYCLE_1)
	v_add_co_ci_u32_e32 v2, vcc_lo, s3, v2, vcc_lo
	global_store_b32 v[1:2], v3, off
	s_or_b32 exec_lo, exec_lo, s5
	s_mov_b32 s5, exec_lo
	v_cmpx_gt_i32_e64 s0, v0
	s_cbranch_execz .LBB160_6
.LBB160_11:
	v_dual_mov_b32 v2, 0 :: v_dual_add_nc_u32 v1, s4, v0
	v_dual_mov_b32 v3, s1 :: v_dual_add_nc_u32 v0, 0x100, v0
	s_delay_alu instid0(VALU_DEP_2) | instskip(NEXT) | instid1(VALU_DEP_1)
	v_lshlrev_b64 v[1:2], 2, v[1:2]
	v_add_co_u32 v1, vcc_lo, s2, v1
	s_delay_alu instid0(VALU_DEP_2)
	v_add_co_ci_u32_e32 v2, vcc_lo, s3, v2, vcc_lo
	global_store_b32 v[1:2], v3, off
	s_or_b32 exec_lo, exec_lo, s5
	v_cmp_gt_i32_e32 vcc_lo, s0, v0
	s_and_saveexec_b32 s0, vcc_lo
	s_cbranch_execnz .LBB160_7
	s_branch .LBB160_8
	.section	.rodata,"a",@progbits
	.p2align	6, 0x0
	.amdhsa_kernel _ZN2at6native29vectorized_elementwise_kernelILi16ENS0_11FillFunctorIjEESt5arrayIPcLm1EEEEviT0_T1_
		.amdhsa_group_segment_fixed_size 0
		.amdhsa_private_segment_fixed_size 0
		.amdhsa_kernarg_size 16
		.amdhsa_user_sgpr_count 15
		.amdhsa_user_sgpr_dispatch_ptr 0
		.amdhsa_user_sgpr_queue_ptr 0
		.amdhsa_user_sgpr_kernarg_segment_ptr 1
		.amdhsa_user_sgpr_dispatch_id 0
		.amdhsa_user_sgpr_private_segment_size 0
		.amdhsa_wavefront_size32 1
		.amdhsa_uses_dynamic_stack 0
		.amdhsa_enable_private_segment 0
		.amdhsa_system_sgpr_workgroup_id_x 1
		.amdhsa_system_sgpr_workgroup_id_y 0
		.amdhsa_system_sgpr_workgroup_id_z 0
		.amdhsa_system_sgpr_workgroup_info 0
		.amdhsa_system_vgpr_workitem_id 0
		.amdhsa_next_free_vgpr 6
		.amdhsa_next_free_sgpr 16
		.amdhsa_reserve_vcc 1
		.amdhsa_float_round_mode_32 0
		.amdhsa_float_round_mode_16_64 0
		.amdhsa_float_denorm_mode_32 3
		.amdhsa_float_denorm_mode_16_64 3
		.amdhsa_dx10_clamp 1
		.amdhsa_ieee_mode 1
		.amdhsa_fp16_overflow 0
		.amdhsa_workgroup_processor_mode 1
		.amdhsa_memory_ordered 1
		.amdhsa_forward_progress 0
		.amdhsa_shared_vgpr_count 0
		.amdhsa_exception_fp_ieee_invalid_op 0
		.amdhsa_exception_fp_denorm_src 0
		.amdhsa_exception_fp_ieee_div_zero 0
		.amdhsa_exception_fp_ieee_overflow 0
		.amdhsa_exception_fp_ieee_underflow 0
		.amdhsa_exception_fp_ieee_inexact 0
		.amdhsa_exception_int_div_zero 0
	.end_amdhsa_kernel
	.section	.text._ZN2at6native29vectorized_elementwise_kernelILi16ENS0_11FillFunctorIjEESt5arrayIPcLm1EEEEviT0_T1_,"axG",@progbits,_ZN2at6native29vectorized_elementwise_kernelILi16ENS0_11FillFunctorIjEESt5arrayIPcLm1EEEEviT0_T1_,comdat
.Lfunc_end160:
	.size	_ZN2at6native29vectorized_elementwise_kernelILi16ENS0_11FillFunctorIjEESt5arrayIPcLm1EEEEviT0_T1_, .Lfunc_end160-_ZN2at6native29vectorized_elementwise_kernelILi16ENS0_11FillFunctorIjEESt5arrayIPcLm1EEEEviT0_T1_
                                        ; -- End function
	.section	.AMDGPU.csdata,"",@progbits
; Kernel info:
; codeLenInByte = 460
; NumSgprs: 18
; NumVgprs: 6
; ScratchSize: 0
; MemoryBound: 0
; FloatMode: 240
; IeeeMode: 1
; LDSByteSize: 0 bytes/workgroup (compile time only)
; SGPRBlocks: 2
; VGPRBlocks: 0
; NumSGPRsForWavesPerEU: 18
; NumVGPRsForWavesPerEU: 6
; Occupancy: 16
; WaveLimiterHint : 0
; COMPUTE_PGM_RSRC2:SCRATCH_EN: 0
; COMPUTE_PGM_RSRC2:USER_SGPR: 15
; COMPUTE_PGM_RSRC2:TRAP_HANDLER: 0
; COMPUTE_PGM_RSRC2:TGID_X_EN: 1
; COMPUTE_PGM_RSRC2:TGID_Y_EN: 0
; COMPUTE_PGM_RSRC2:TGID_Z_EN: 0
; COMPUTE_PGM_RSRC2:TIDIG_COMP_CNT: 0
	.section	.text._ZN2at6native29vectorized_elementwise_kernelILi8ENS0_11FillFunctorIjEESt5arrayIPcLm1EEEEviT0_T1_,"axG",@progbits,_ZN2at6native29vectorized_elementwise_kernelILi8ENS0_11FillFunctorIjEESt5arrayIPcLm1EEEEviT0_T1_,comdat
	.protected	_ZN2at6native29vectorized_elementwise_kernelILi8ENS0_11FillFunctorIjEESt5arrayIPcLm1EEEEviT0_T1_ ; -- Begin function _ZN2at6native29vectorized_elementwise_kernelILi8ENS0_11FillFunctorIjEESt5arrayIPcLm1EEEEviT0_T1_
	.globl	_ZN2at6native29vectorized_elementwise_kernelILi8ENS0_11FillFunctorIjEESt5arrayIPcLm1EEEEviT0_T1_
	.p2align	8
	.type	_ZN2at6native29vectorized_elementwise_kernelILi8ENS0_11FillFunctorIjEESt5arrayIPcLm1EEEEviT0_T1_,@function
_ZN2at6native29vectorized_elementwise_kernelILi8ENS0_11FillFunctorIjEESt5arrayIPcLm1EEEEviT0_T1_: ; @_ZN2at6native29vectorized_elementwise_kernelILi8ENS0_11FillFunctorIjEESt5arrayIPcLm1EEEEviT0_T1_
; %bb.0:
	s_load_b128 s[0:3], s[0:1], 0x0
	s_lshl_b32 s4, s15, 10
	s_mov_b32 s5, -1
	s_waitcnt lgkmcnt(0)
	s_sub_i32 s0, s0, s4
	s_delay_alu instid0(SALU_CYCLE_1)
	s_cmpk_gt_i32 s0, 0x3ff
	s_cbranch_scc0 .LBB161_2
; %bb.1:
	s_ashr_i32 s5, s4, 31
	v_dual_mov_b32 v1, s1 :: v_dual_mov_b32 v2, s1
	v_dual_mov_b32 v4, s1 :: v_dual_lshlrev_b32 v5, 4, v0
	s_lshl_b64 s[6:7], s[4:5], 2
	v_mov_b32_e32 v3, s1
	s_add_u32 s6, s2, s6
	s_addc_u32 s7, s3, s7
	s_mov_b32 s5, 0
	global_store_b128 v5, v[1:4], s[6:7]
.LBB161_2:
	s_and_not1_b32 vcc_lo, exec_lo, s5
	s_cbranch_vccnz .LBB161_8
; %bb.3:
	s_mov_b32 s5, exec_lo
	v_cmpx_gt_i32_e64 s0, v0
	s_cbranch_execnz .LBB161_9
; %bb.4:
	s_or_b32 exec_lo, exec_lo, s5
	s_delay_alu instid0(SALU_CYCLE_1)
	s_mov_b32 s5, exec_lo
	v_cmpx_gt_i32_e64 s0, v0
	s_cbranch_execnz .LBB161_10
.LBB161_5:
	s_or_b32 exec_lo, exec_lo, s5
	s_delay_alu instid0(SALU_CYCLE_1)
	s_mov_b32 s5, exec_lo
	v_cmpx_gt_i32_e64 s0, v0
	s_cbranch_execnz .LBB161_11
.LBB161_6:
	s_or_b32 exec_lo, exec_lo, s5
	v_cmp_gt_i32_e32 vcc_lo, s0, v0
	s_and_saveexec_b32 s0, vcc_lo
	s_cbranch_execz .LBB161_8
.LBB161_7:
	v_dual_mov_b32 v1, 0 :: v_dual_add_nc_u32 v0, s4, v0
	v_mov_b32_e32 v2, s1
	s_delay_alu instid0(VALU_DEP_2) | instskip(NEXT) | instid1(VALU_DEP_1)
	v_lshlrev_b64 v[0:1], 2, v[0:1]
	v_add_co_u32 v0, vcc_lo, s2, v0
	s_delay_alu instid0(VALU_DEP_2)
	v_add_co_ci_u32_e32 v1, vcc_lo, s3, v1, vcc_lo
	global_store_b32 v[0:1], v2, off
.LBB161_8:
	s_nop 0
	s_sendmsg sendmsg(MSG_DEALLOC_VGPRS)
	s_endpgm
.LBB161_9:
	v_or_b32_e32 v1, s4, v0
	v_dual_mov_b32 v2, 0 :: v_dual_mov_b32 v3, s1
	v_or_b32_e32 v0, 0x100, v0
	s_delay_alu instid0(VALU_DEP_2) | instskip(NEXT) | instid1(VALU_DEP_1)
	v_lshlrev_b64 v[1:2], 2, v[1:2]
	v_add_co_u32 v1, vcc_lo, s2, v1
	s_delay_alu instid0(VALU_DEP_2) | instskip(SKIP_2) | instid1(SALU_CYCLE_1)
	v_add_co_ci_u32_e32 v2, vcc_lo, s3, v2, vcc_lo
	global_store_b32 v[1:2], v3, off
	s_or_b32 exec_lo, exec_lo, s5
	s_mov_b32 s5, exec_lo
	v_cmpx_gt_i32_e64 s0, v0
	s_cbranch_execz .LBB161_5
.LBB161_10:
	v_dual_mov_b32 v2, 0 :: v_dual_add_nc_u32 v1, s4, v0
	v_dual_mov_b32 v3, s1 :: v_dual_add_nc_u32 v0, 0x100, v0
	s_delay_alu instid0(VALU_DEP_2) | instskip(NEXT) | instid1(VALU_DEP_1)
	v_lshlrev_b64 v[1:2], 2, v[1:2]
	v_add_co_u32 v1, vcc_lo, s2, v1
	s_delay_alu instid0(VALU_DEP_2) | instskip(SKIP_2) | instid1(SALU_CYCLE_1)
	v_add_co_ci_u32_e32 v2, vcc_lo, s3, v2, vcc_lo
	global_store_b32 v[1:2], v3, off
	s_or_b32 exec_lo, exec_lo, s5
	s_mov_b32 s5, exec_lo
	v_cmpx_gt_i32_e64 s0, v0
	s_cbranch_execz .LBB161_6
.LBB161_11:
	v_dual_mov_b32 v2, 0 :: v_dual_add_nc_u32 v1, s4, v0
	v_dual_mov_b32 v3, s1 :: v_dual_add_nc_u32 v0, 0x100, v0
	s_delay_alu instid0(VALU_DEP_2) | instskip(NEXT) | instid1(VALU_DEP_1)
	v_lshlrev_b64 v[1:2], 2, v[1:2]
	v_add_co_u32 v1, vcc_lo, s2, v1
	s_delay_alu instid0(VALU_DEP_2)
	v_add_co_ci_u32_e32 v2, vcc_lo, s3, v2, vcc_lo
	global_store_b32 v[1:2], v3, off
	s_or_b32 exec_lo, exec_lo, s5
	v_cmp_gt_i32_e32 vcc_lo, s0, v0
	s_and_saveexec_b32 s0, vcc_lo
	s_cbranch_execnz .LBB161_7
	s_branch .LBB161_8
	.section	.rodata,"a",@progbits
	.p2align	6, 0x0
	.amdhsa_kernel _ZN2at6native29vectorized_elementwise_kernelILi8ENS0_11FillFunctorIjEESt5arrayIPcLm1EEEEviT0_T1_
		.amdhsa_group_segment_fixed_size 0
		.amdhsa_private_segment_fixed_size 0
		.amdhsa_kernarg_size 16
		.amdhsa_user_sgpr_count 15
		.amdhsa_user_sgpr_dispatch_ptr 0
		.amdhsa_user_sgpr_queue_ptr 0
		.amdhsa_user_sgpr_kernarg_segment_ptr 1
		.amdhsa_user_sgpr_dispatch_id 0
		.amdhsa_user_sgpr_private_segment_size 0
		.amdhsa_wavefront_size32 1
		.amdhsa_uses_dynamic_stack 0
		.amdhsa_enable_private_segment 0
		.amdhsa_system_sgpr_workgroup_id_x 1
		.amdhsa_system_sgpr_workgroup_id_y 0
		.amdhsa_system_sgpr_workgroup_id_z 0
		.amdhsa_system_sgpr_workgroup_info 0
		.amdhsa_system_vgpr_workitem_id 0
		.amdhsa_next_free_vgpr 6
		.amdhsa_next_free_sgpr 16
		.amdhsa_reserve_vcc 1
		.amdhsa_float_round_mode_32 0
		.amdhsa_float_round_mode_16_64 0
		.amdhsa_float_denorm_mode_32 3
		.amdhsa_float_denorm_mode_16_64 3
		.amdhsa_dx10_clamp 1
		.amdhsa_ieee_mode 1
		.amdhsa_fp16_overflow 0
		.amdhsa_workgroup_processor_mode 1
		.amdhsa_memory_ordered 1
		.amdhsa_forward_progress 0
		.amdhsa_shared_vgpr_count 0
		.amdhsa_exception_fp_ieee_invalid_op 0
		.amdhsa_exception_fp_denorm_src 0
		.amdhsa_exception_fp_ieee_div_zero 0
		.amdhsa_exception_fp_ieee_overflow 0
		.amdhsa_exception_fp_ieee_underflow 0
		.amdhsa_exception_fp_ieee_inexact 0
		.amdhsa_exception_int_div_zero 0
	.end_amdhsa_kernel
	.section	.text._ZN2at6native29vectorized_elementwise_kernelILi8ENS0_11FillFunctorIjEESt5arrayIPcLm1EEEEviT0_T1_,"axG",@progbits,_ZN2at6native29vectorized_elementwise_kernelILi8ENS0_11FillFunctorIjEESt5arrayIPcLm1EEEEviT0_T1_,comdat
.Lfunc_end161:
	.size	_ZN2at6native29vectorized_elementwise_kernelILi8ENS0_11FillFunctorIjEESt5arrayIPcLm1EEEEviT0_T1_, .Lfunc_end161-_ZN2at6native29vectorized_elementwise_kernelILi8ENS0_11FillFunctorIjEESt5arrayIPcLm1EEEEviT0_T1_
                                        ; -- End function
	.section	.AMDGPU.csdata,"",@progbits
; Kernel info:
; codeLenInByte = 460
; NumSgprs: 18
; NumVgprs: 6
; ScratchSize: 0
; MemoryBound: 0
; FloatMode: 240
; IeeeMode: 1
; LDSByteSize: 0 bytes/workgroup (compile time only)
; SGPRBlocks: 2
; VGPRBlocks: 0
; NumSGPRsForWavesPerEU: 18
; NumVGPRsForWavesPerEU: 6
; Occupancy: 16
; WaveLimiterHint : 0
; COMPUTE_PGM_RSRC2:SCRATCH_EN: 0
; COMPUTE_PGM_RSRC2:USER_SGPR: 15
; COMPUTE_PGM_RSRC2:TRAP_HANDLER: 0
; COMPUTE_PGM_RSRC2:TGID_X_EN: 1
; COMPUTE_PGM_RSRC2:TGID_Y_EN: 0
; COMPUTE_PGM_RSRC2:TGID_Z_EN: 0
; COMPUTE_PGM_RSRC2:TIDIG_COMP_CNT: 0
	.section	.text._ZN2at6native29vectorized_elementwise_kernelILi4ENS0_11FillFunctorIjEESt5arrayIPcLm1EEEEviT0_T1_,"axG",@progbits,_ZN2at6native29vectorized_elementwise_kernelILi4ENS0_11FillFunctorIjEESt5arrayIPcLm1EEEEviT0_T1_,comdat
	.protected	_ZN2at6native29vectorized_elementwise_kernelILi4ENS0_11FillFunctorIjEESt5arrayIPcLm1EEEEviT0_T1_ ; -- Begin function _ZN2at6native29vectorized_elementwise_kernelILi4ENS0_11FillFunctorIjEESt5arrayIPcLm1EEEEviT0_T1_
	.globl	_ZN2at6native29vectorized_elementwise_kernelILi4ENS0_11FillFunctorIjEESt5arrayIPcLm1EEEEviT0_T1_
	.p2align	8
	.type	_ZN2at6native29vectorized_elementwise_kernelILi4ENS0_11FillFunctorIjEESt5arrayIPcLm1EEEEviT0_T1_,@function
_ZN2at6native29vectorized_elementwise_kernelILi4ENS0_11FillFunctorIjEESt5arrayIPcLm1EEEEviT0_T1_: ; @_ZN2at6native29vectorized_elementwise_kernelILi4ENS0_11FillFunctorIjEESt5arrayIPcLm1EEEEviT0_T1_
; %bb.0:
	s_load_b128 s[0:3], s[0:1], 0x0
	s_lshl_b32 s4, s15, 10
	s_mov_b32 s5, -1
	s_waitcnt lgkmcnt(0)
	s_sub_i32 s0, s0, s4
	s_delay_alu instid0(SALU_CYCLE_1)
	s_cmpk_gt_i32 s0, 0x3ff
	s_cbranch_scc0 .LBB162_2
; %bb.1:
	s_ashr_i32 s5, s4, 31
	v_dual_mov_b32 v1, s1 :: v_dual_mov_b32 v2, s1
	v_dual_mov_b32 v4, s1 :: v_dual_lshlrev_b32 v5, 4, v0
	s_lshl_b64 s[6:7], s[4:5], 2
	v_mov_b32_e32 v3, s1
	s_add_u32 s6, s2, s6
	s_addc_u32 s7, s3, s7
	s_mov_b32 s5, 0
	global_store_b128 v5, v[1:4], s[6:7]
.LBB162_2:
	s_and_not1_b32 vcc_lo, exec_lo, s5
	s_cbranch_vccnz .LBB162_8
; %bb.3:
	s_mov_b32 s5, exec_lo
	v_cmpx_gt_i32_e64 s0, v0
	s_cbranch_execnz .LBB162_9
; %bb.4:
	s_or_b32 exec_lo, exec_lo, s5
	s_delay_alu instid0(SALU_CYCLE_1)
	s_mov_b32 s5, exec_lo
	v_cmpx_gt_i32_e64 s0, v0
	s_cbranch_execnz .LBB162_10
.LBB162_5:
	s_or_b32 exec_lo, exec_lo, s5
	s_delay_alu instid0(SALU_CYCLE_1)
	s_mov_b32 s5, exec_lo
	v_cmpx_gt_i32_e64 s0, v0
	s_cbranch_execnz .LBB162_11
.LBB162_6:
	s_or_b32 exec_lo, exec_lo, s5
	v_cmp_gt_i32_e32 vcc_lo, s0, v0
	s_and_saveexec_b32 s0, vcc_lo
	s_cbranch_execz .LBB162_8
.LBB162_7:
	v_dual_mov_b32 v1, 0 :: v_dual_add_nc_u32 v0, s4, v0
	v_mov_b32_e32 v2, s1
	s_delay_alu instid0(VALU_DEP_2) | instskip(NEXT) | instid1(VALU_DEP_1)
	v_lshlrev_b64 v[0:1], 2, v[0:1]
	v_add_co_u32 v0, vcc_lo, s2, v0
	s_delay_alu instid0(VALU_DEP_2)
	v_add_co_ci_u32_e32 v1, vcc_lo, s3, v1, vcc_lo
	global_store_b32 v[0:1], v2, off
.LBB162_8:
	s_nop 0
	s_sendmsg sendmsg(MSG_DEALLOC_VGPRS)
	s_endpgm
.LBB162_9:
	v_or_b32_e32 v1, s4, v0
	v_dual_mov_b32 v2, 0 :: v_dual_mov_b32 v3, s1
	v_or_b32_e32 v0, 0x100, v0
	s_delay_alu instid0(VALU_DEP_2) | instskip(NEXT) | instid1(VALU_DEP_1)
	v_lshlrev_b64 v[1:2], 2, v[1:2]
	v_add_co_u32 v1, vcc_lo, s2, v1
	s_delay_alu instid0(VALU_DEP_2) | instskip(SKIP_2) | instid1(SALU_CYCLE_1)
	v_add_co_ci_u32_e32 v2, vcc_lo, s3, v2, vcc_lo
	global_store_b32 v[1:2], v3, off
	s_or_b32 exec_lo, exec_lo, s5
	s_mov_b32 s5, exec_lo
	v_cmpx_gt_i32_e64 s0, v0
	s_cbranch_execz .LBB162_5
.LBB162_10:
	v_dual_mov_b32 v2, 0 :: v_dual_add_nc_u32 v1, s4, v0
	v_dual_mov_b32 v3, s1 :: v_dual_add_nc_u32 v0, 0x100, v0
	s_delay_alu instid0(VALU_DEP_2) | instskip(NEXT) | instid1(VALU_DEP_1)
	v_lshlrev_b64 v[1:2], 2, v[1:2]
	v_add_co_u32 v1, vcc_lo, s2, v1
	s_delay_alu instid0(VALU_DEP_2) | instskip(SKIP_2) | instid1(SALU_CYCLE_1)
	v_add_co_ci_u32_e32 v2, vcc_lo, s3, v2, vcc_lo
	global_store_b32 v[1:2], v3, off
	s_or_b32 exec_lo, exec_lo, s5
	s_mov_b32 s5, exec_lo
	v_cmpx_gt_i32_e64 s0, v0
	s_cbranch_execz .LBB162_6
.LBB162_11:
	v_dual_mov_b32 v2, 0 :: v_dual_add_nc_u32 v1, s4, v0
	v_dual_mov_b32 v3, s1 :: v_dual_add_nc_u32 v0, 0x100, v0
	s_delay_alu instid0(VALU_DEP_2) | instskip(NEXT) | instid1(VALU_DEP_1)
	v_lshlrev_b64 v[1:2], 2, v[1:2]
	v_add_co_u32 v1, vcc_lo, s2, v1
	s_delay_alu instid0(VALU_DEP_2)
	v_add_co_ci_u32_e32 v2, vcc_lo, s3, v2, vcc_lo
	global_store_b32 v[1:2], v3, off
	s_or_b32 exec_lo, exec_lo, s5
	v_cmp_gt_i32_e32 vcc_lo, s0, v0
	s_and_saveexec_b32 s0, vcc_lo
	s_cbranch_execnz .LBB162_7
	s_branch .LBB162_8
	.section	.rodata,"a",@progbits
	.p2align	6, 0x0
	.amdhsa_kernel _ZN2at6native29vectorized_elementwise_kernelILi4ENS0_11FillFunctorIjEESt5arrayIPcLm1EEEEviT0_T1_
		.amdhsa_group_segment_fixed_size 0
		.amdhsa_private_segment_fixed_size 0
		.amdhsa_kernarg_size 16
		.amdhsa_user_sgpr_count 15
		.amdhsa_user_sgpr_dispatch_ptr 0
		.amdhsa_user_sgpr_queue_ptr 0
		.amdhsa_user_sgpr_kernarg_segment_ptr 1
		.amdhsa_user_sgpr_dispatch_id 0
		.amdhsa_user_sgpr_private_segment_size 0
		.amdhsa_wavefront_size32 1
		.amdhsa_uses_dynamic_stack 0
		.amdhsa_enable_private_segment 0
		.amdhsa_system_sgpr_workgroup_id_x 1
		.amdhsa_system_sgpr_workgroup_id_y 0
		.amdhsa_system_sgpr_workgroup_id_z 0
		.amdhsa_system_sgpr_workgroup_info 0
		.amdhsa_system_vgpr_workitem_id 0
		.amdhsa_next_free_vgpr 6
		.amdhsa_next_free_sgpr 16
		.amdhsa_reserve_vcc 1
		.amdhsa_float_round_mode_32 0
		.amdhsa_float_round_mode_16_64 0
		.amdhsa_float_denorm_mode_32 3
		.amdhsa_float_denorm_mode_16_64 3
		.amdhsa_dx10_clamp 1
		.amdhsa_ieee_mode 1
		.amdhsa_fp16_overflow 0
		.amdhsa_workgroup_processor_mode 1
		.amdhsa_memory_ordered 1
		.amdhsa_forward_progress 0
		.amdhsa_shared_vgpr_count 0
		.amdhsa_exception_fp_ieee_invalid_op 0
		.amdhsa_exception_fp_denorm_src 0
		.amdhsa_exception_fp_ieee_div_zero 0
		.amdhsa_exception_fp_ieee_overflow 0
		.amdhsa_exception_fp_ieee_underflow 0
		.amdhsa_exception_fp_ieee_inexact 0
		.amdhsa_exception_int_div_zero 0
	.end_amdhsa_kernel
	.section	.text._ZN2at6native29vectorized_elementwise_kernelILi4ENS0_11FillFunctorIjEESt5arrayIPcLm1EEEEviT0_T1_,"axG",@progbits,_ZN2at6native29vectorized_elementwise_kernelILi4ENS0_11FillFunctorIjEESt5arrayIPcLm1EEEEviT0_T1_,comdat
.Lfunc_end162:
	.size	_ZN2at6native29vectorized_elementwise_kernelILi4ENS0_11FillFunctorIjEESt5arrayIPcLm1EEEEviT0_T1_, .Lfunc_end162-_ZN2at6native29vectorized_elementwise_kernelILi4ENS0_11FillFunctorIjEESt5arrayIPcLm1EEEEviT0_T1_
                                        ; -- End function
	.section	.AMDGPU.csdata,"",@progbits
; Kernel info:
; codeLenInByte = 460
; NumSgprs: 18
; NumVgprs: 6
; ScratchSize: 0
; MemoryBound: 0
; FloatMode: 240
; IeeeMode: 1
; LDSByteSize: 0 bytes/workgroup (compile time only)
; SGPRBlocks: 2
; VGPRBlocks: 0
; NumSGPRsForWavesPerEU: 18
; NumVGPRsForWavesPerEU: 6
; Occupancy: 16
; WaveLimiterHint : 0
; COMPUTE_PGM_RSRC2:SCRATCH_EN: 0
; COMPUTE_PGM_RSRC2:USER_SGPR: 15
; COMPUTE_PGM_RSRC2:TRAP_HANDLER: 0
; COMPUTE_PGM_RSRC2:TGID_X_EN: 1
; COMPUTE_PGM_RSRC2:TGID_Y_EN: 0
; COMPUTE_PGM_RSRC2:TGID_Z_EN: 0
; COMPUTE_PGM_RSRC2:TIDIG_COMP_CNT: 0
	.section	.text._ZN2at6native29vectorized_elementwise_kernelILi2ENS0_11FillFunctorIjEESt5arrayIPcLm1EEEEviT0_T1_,"axG",@progbits,_ZN2at6native29vectorized_elementwise_kernelILi2ENS0_11FillFunctorIjEESt5arrayIPcLm1EEEEviT0_T1_,comdat
	.protected	_ZN2at6native29vectorized_elementwise_kernelILi2ENS0_11FillFunctorIjEESt5arrayIPcLm1EEEEviT0_T1_ ; -- Begin function _ZN2at6native29vectorized_elementwise_kernelILi2ENS0_11FillFunctorIjEESt5arrayIPcLm1EEEEviT0_T1_
	.globl	_ZN2at6native29vectorized_elementwise_kernelILi2ENS0_11FillFunctorIjEESt5arrayIPcLm1EEEEviT0_T1_
	.p2align	8
	.type	_ZN2at6native29vectorized_elementwise_kernelILi2ENS0_11FillFunctorIjEESt5arrayIPcLm1EEEEviT0_T1_,@function
_ZN2at6native29vectorized_elementwise_kernelILi2ENS0_11FillFunctorIjEESt5arrayIPcLm1EEEEviT0_T1_: ; @_ZN2at6native29vectorized_elementwise_kernelILi2ENS0_11FillFunctorIjEESt5arrayIPcLm1EEEEviT0_T1_
; %bb.0:
	s_load_b128 s[0:3], s[0:1], 0x0
	s_lshl_b32 s4, s15, 10
	s_waitcnt lgkmcnt(0)
	s_sub_i32 s6, s0, s4
	s_mov_b32 s0, -1
	s_cmpk_gt_i32 s6, 0x3ff
	s_cbranch_scc0 .LBB163_2
; %bb.1:
	s_ashr_i32 s5, s4, 31
	s_mov_b32 s0, s1
	v_dual_mov_b32 v2, s1 :: v_dual_lshlrev_b32 v3, 3, v0
	s_lshl_b64 s[8:9], s[4:5], 2
	v_mov_b32_e32 v1, s0
	s_add_u32 s8, s2, s8
	s_addc_u32 s9, s3, s9
	s_mov_b32 s0, 0
	s_clause 0x1
	global_store_b64 v3, v[1:2], s[8:9]
	global_store_b64 v3, v[1:2], s[8:9] offset:2048
.LBB163_2:
	s_and_not1_b32 vcc_lo, exec_lo, s0
	s_cbranch_vccnz .LBB163_8
; %bb.3:
	s_mov_b32 s0, exec_lo
	v_cmpx_gt_i32_e64 s6, v0
	s_cbranch_execnz .LBB163_9
; %bb.4:
	s_or_b32 exec_lo, exec_lo, s0
	s_delay_alu instid0(SALU_CYCLE_1)
	s_mov_b32 s0, exec_lo
	v_cmpx_gt_i32_e64 s6, v0
	s_cbranch_execnz .LBB163_10
.LBB163_5:
	s_or_b32 exec_lo, exec_lo, s0
	s_delay_alu instid0(SALU_CYCLE_1)
	s_mov_b32 s0, exec_lo
	v_cmpx_gt_i32_e64 s6, v0
	s_cbranch_execnz .LBB163_11
.LBB163_6:
	s_or_b32 exec_lo, exec_lo, s0
	s_delay_alu instid0(SALU_CYCLE_1)
	s_mov_b32 s0, exec_lo
	v_cmpx_gt_i32_e64 s6, v0
	s_cbranch_execz .LBB163_8
.LBB163_7:
	v_dual_mov_b32 v1, 0 :: v_dual_add_nc_u32 v0, s4, v0
	v_mov_b32_e32 v2, s1
	s_delay_alu instid0(VALU_DEP_2) | instskip(NEXT) | instid1(VALU_DEP_1)
	v_lshlrev_b64 v[0:1], 2, v[0:1]
	v_add_co_u32 v0, vcc_lo, s2, v0
	s_delay_alu instid0(VALU_DEP_2)
	v_add_co_ci_u32_e32 v1, vcc_lo, s3, v1, vcc_lo
	global_store_b32 v[0:1], v2, off
.LBB163_8:
	s_nop 0
	s_sendmsg sendmsg(MSG_DEALLOC_VGPRS)
	s_endpgm
.LBB163_9:
	v_or_b32_e32 v1, s4, v0
	v_dual_mov_b32 v2, 0 :: v_dual_mov_b32 v3, s1
	v_or_b32_e32 v0, 0x100, v0
	s_delay_alu instid0(VALU_DEP_2) | instskip(NEXT) | instid1(VALU_DEP_1)
	v_lshlrev_b64 v[1:2], 2, v[1:2]
	v_add_co_u32 v1, vcc_lo, s2, v1
	s_delay_alu instid0(VALU_DEP_2) | instskip(SKIP_2) | instid1(SALU_CYCLE_1)
	v_add_co_ci_u32_e32 v2, vcc_lo, s3, v2, vcc_lo
	global_store_b32 v[1:2], v3, off
	s_or_b32 exec_lo, exec_lo, s0
	s_mov_b32 s0, exec_lo
	v_cmpx_gt_i32_e64 s6, v0
	s_cbranch_execz .LBB163_5
.LBB163_10:
	v_dual_mov_b32 v2, 0 :: v_dual_add_nc_u32 v1, s4, v0
	v_dual_mov_b32 v3, s1 :: v_dual_add_nc_u32 v0, 0x100, v0
	s_delay_alu instid0(VALU_DEP_2) | instskip(NEXT) | instid1(VALU_DEP_1)
	v_lshlrev_b64 v[1:2], 2, v[1:2]
	v_add_co_u32 v1, vcc_lo, s2, v1
	s_delay_alu instid0(VALU_DEP_2) | instskip(SKIP_2) | instid1(SALU_CYCLE_1)
	v_add_co_ci_u32_e32 v2, vcc_lo, s3, v2, vcc_lo
	global_store_b32 v[1:2], v3, off
	s_or_b32 exec_lo, exec_lo, s0
	s_mov_b32 s0, exec_lo
	v_cmpx_gt_i32_e64 s6, v0
	s_cbranch_execz .LBB163_6
.LBB163_11:
	v_dual_mov_b32 v2, 0 :: v_dual_add_nc_u32 v1, s4, v0
	v_dual_mov_b32 v3, s1 :: v_dual_add_nc_u32 v0, 0x100, v0
	s_delay_alu instid0(VALU_DEP_2) | instskip(NEXT) | instid1(VALU_DEP_1)
	v_lshlrev_b64 v[1:2], 2, v[1:2]
	v_add_co_u32 v1, vcc_lo, s2, v1
	s_delay_alu instid0(VALU_DEP_2) | instskip(SKIP_2) | instid1(SALU_CYCLE_1)
	v_add_co_ci_u32_e32 v2, vcc_lo, s3, v2, vcc_lo
	global_store_b32 v[1:2], v3, off
	s_or_b32 exec_lo, exec_lo, s0
	s_mov_b32 s0, exec_lo
	v_cmpx_gt_i32_e64 s6, v0
	s_cbranch_execnz .LBB163_7
	s_branch .LBB163_8
	.section	.rodata,"a",@progbits
	.p2align	6, 0x0
	.amdhsa_kernel _ZN2at6native29vectorized_elementwise_kernelILi2ENS0_11FillFunctorIjEESt5arrayIPcLm1EEEEviT0_T1_
		.amdhsa_group_segment_fixed_size 0
		.amdhsa_private_segment_fixed_size 0
		.amdhsa_kernarg_size 16
		.amdhsa_user_sgpr_count 15
		.amdhsa_user_sgpr_dispatch_ptr 0
		.amdhsa_user_sgpr_queue_ptr 0
		.amdhsa_user_sgpr_kernarg_segment_ptr 1
		.amdhsa_user_sgpr_dispatch_id 0
		.amdhsa_user_sgpr_private_segment_size 0
		.amdhsa_wavefront_size32 1
		.amdhsa_uses_dynamic_stack 0
		.amdhsa_enable_private_segment 0
		.amdhsa_system_sgpr_workgroup_id_x 1
		.amdhsa_system_sgpr_workgroup_id_y 0
		.amdhsa_system_sgpr_workgroup_id_z 0
		.amdhsa_system_sgpr_workgroup_info 0
		.amdhsa_system_vgpr_workitem_id 0
		.amdhsa_next_free_vgpr 4
		.amdhsa_next_free_sgpr 16
		.amdhsa_reserve_vcc 1
		.amdhsa_float_round_mode_32 0
		.amdhsa_float_round_mode_16_64 0
		.amdhsa_float_denorm_mode_32 3
		.amdhsa_float_denorm_mode_16_64 3
		.amdhsa_dx10_clamp 1
		.amdhsa_ieee_mode 1
		.amdhsa_fp16_overflow 0
		.amdhsa_workgroup_processor_mode 1
		.amdhsa_memory_ordered 1
		.amdhsa_forward_progress 0
		.amdhsa_shared_vgpr_count 0
		.amdhsa_exception_fp_ieee_invalid_op 0
		.amdhsa_exception_fp_denorm_src 0
		.amdhsa_exception_fp_ieee_div_zero 0
		.amdhsa_exception_fp_ieee_overflow 0
		.amdhsa_exception_fp_ieee_underflow 0
		.amdhsa_exception_fp_ieee_inexact 0
		.amdhsa_exception_int_div_zero 0
	.end_amdhsa_kernel
	.section	.text._ZN2at6native29vectorized_elementwise_kernelILi2ENS0_11FillFunctorIjEESt5arrayIPcLm1EEEEviT0_T1_,"axG",@progbits,_ZN2at6native29vectorized_elementwise_kernelILi2ENS0_11FillFunctorIjEESt5arrayIPcLm1EEEEviT0_T1_,comdat
.Lfunc_end163:
	.size	_ZN2at6native29vectorized_elementwise_kernelILi2ENS0_11FillFunctorIjEESt5arrayIPcLm1EEEEviT0_T1_, .Lfunc_end163-_ZN2at6native29vectorized_elementwise_kernelILi2ENS0_11FillFunctorIjEESt5arrayIPcLm1EEEEviT0_T1_
                                        ; -- End function
	.section	.AMDGPU.csdata,"",@progbits
; Kernel info:
; codeLenInByte = 476
; NumSgprs: 18
; NumVgprs: 4
; ScratchSize: 0
; MemoryBound: 0
; FloatMode: 240
; IeeeMode: 1
; LDSByteSize: 0 bytes/workgroup (compile time only)
; SGPRBlocks: 2
; VGPRBlocks: 0
; NumSGPRsForWavesPerEU: 18
; NumVGPRsForWavesPerEU: 4
; Occupancy: 16
; WaveLimiterHint : 1
; COMPUTE_PGM_RSRC2:SCRATCH_EN: 0
; COMPUTE_PGM_RSRC2:USER_SGPR: 15
; COMPUTE_PGM_RSRC2:TRAP_HANDLER: 0
; COMPUTE_PGM_RSRC2:TGID_X_EN: 1
; COMPUTE_PGM_RSRC2:TGID_Y_EN: 0
; COMPUTE_PGM_RSRC2:TGID_Z_EN: 0
; COMPUTE_PGM_RSRC2:TIDIG_COMP_CNT: 0
	.section	.text._ZN2at6native27unrolled_elementwise_kernelINS0_11FillFunctorIjEESt5arrayIPcLm1EELi4E23TrivialOffsetCalculatorILi0EjES7_ILi1EjENS0_6memory15LoadWithoutCastENSA_16StoreWithoutCastEEEviT_T0_T2_T3_T4_T5_,"axG",@progbits,_ZN2at6native27unrolled_elementwise_kernelINS0_11FillFunctorIjEESt5arrayIPcLm1EELi4E23TrivialOffsetCalculatorILi0EjES7_ILi1EjENS0_6memory15LoadWithoutCastENSA_16StoreWithoutCastEEEviT_T0_T2_T3_T4_T5_,comdat
	.protected	_ZN2at6native27unrolled_elementwise_kernelINS0_11FillFunctorIjEESt5arrayIPcLm1EELi4E23TrivialOffsetCalculatorILi0EjES7_ILi1EjENS0_6memory15LoadWithoutCastENSA_16StoreWithoutCastEEEviT_T0_T2_T3_T4_T5_ ; -- Begin function _ZN2at6native27unrolled_elementwise_kernelINS0_11FillFunctorIjEESt5arrayIPcLm1EELi4E23TrivialOffsetCalculatorILi0EjES7_ILi1EjENS0_6memory15LoadWithoutCastENSA_16StoreWithoutCastEEEviT_T0_T2_T3_T4_T5_
	.globl	_ZN2at6native27unrolled_elementwise_kernelINS0_11FillFunctorIjEESt5arrayIPcLm1EELi4E23TrivialOffsetCalculatorILi0EjES7_ILi1EjENS0_6memory15LoadWithoutCastENSA_16StoreWithoutCastEEEviT_T0_T2_T3_T4_T5_
	.p2align	8
	.type	_ZN2at6native27unrolled_elementwise_kernelINS0_11FillFunctorIjEESt5arrayIPcLm1EELi4E23TrivialOffsetCalculatorILi0EjES7_ILi1EjENS0_6memory15LoadWithoutCastENSA_16StoreWithoutCastEEEviT_T0_T2_T3_T4_T5_,@function
_ZN2at6native27unrolled_elementwise_kernelINS0_11FillFunctorIjEESt5arrayIPcLm1EELi4E23TrivialOffsetCalculatorILi0EjES7_ILi1EjENS0_6memory15LoadWithoutCastENSA_16StoreWithoutCastEEEviT_T0_T2_T3_T4_T5_: ; @_ZN2at6native27unrolled_elementwise_kernelINS0_11FillFunctorIjEESt5arrayIPcLm1EELi4E23TrivialOffsetCalculatorILi0EjES7_ILi1EjENS0_6memory15LoadWithoutCastENSA_16StoreWithoutCastEEEviT_T0_T2_T3_T4_T5_
; %bb.0:
	s_load_b128 s[0:3], s[0:1], 0x0
	s_lshl_b32 s4, s15, 10
	s_mov_b32 s5, exec_lo
	s_waitcnt lgkmcnt(0)
	s_sub_i32 s0, s0, s4
	s_delay_alu instid0(SALU_CYCLE_1)
	v_cmpx_gt_i32_e64 s0, v0
	s_cbranch_execnz .LBB164_5
; %bb.1:
	s_or_b32 exec_lo, exec_lo, s5
	s_delay_alu instid0(SALU_CYCLE_1)
	s_mov_b32 s5, exec_lo
	v_cmpx_gt_i32_e64 s0, v0
	s_cbranch_execnz .LBB164_6
.LBB164_2:
	s_or_b32 exec_lo, exec_lo, s5
	s_delay_alu instid0(SALU_CYCLE_1)
	s_mov_b32 s5, exec_lo
	v_cmpx_gt_i32_e64 s0, v0
	s_cbranch_execnz .LBB164_7
.LBB164_3:
	s_or_b32 exec_lo, exec_lo, s5
	v_cmp_gt_i32_e32 vcc_lo, s0, v0
	s_and_saveexec_b32 s0, vcc_lo
	s_cbranch_execnz .LBB164_8
.LBB164_4:
	s_nop 0
	s_sendmsg sendmsg(MSG_DEALLOC_VGPRS)
	s_endpgm
.LBB164_5:
	v_or_b32_e32 v1, s4, v0
	v_dual_mov_b32 v2, 0 :: v_dual_mov_b32 v3, s1
	v_or_b32_e32 v0, 0x100, v0
	s_delay_alu instid0(VALU_DEP_2) | instskip(NEXT) | instid1(VALU_DEP_1)
	v_lshlrev_b64 v[1:2], 2, v[1:2]
	v_add_co_u32 v1, vcc_lo, s2, v1
	s_delay_alu instid0(VALU_DEP_2) | instskip(SKIP_2) | instid1(SALU_CYCLE_1)
	v_add_co_ci_u32_e32 v2, vcc_lo, s3, v2, vcc_lo
	global_store_b32 v[1:2], v3, off
	s_or_b32 exec_lo, exec_lo, s5
	s_mov_b32 s5, exec_lo
	v_cmpx_gt_i32_e64 s0, v0
	s_cbranch_execz .LBB164_2
.LBB164_6:
	v_dual_mov_b32 v2, 0 :: v_dual_add_nc_u32 v1, s4, v0
	v_dual_mov_b32 v3, s1 :: v_dual_add_nc_u32 v0, 0x100, v0
	s_delay_alu instid0(VALU_DEP_2) | instskip(NEXT) | instid1(VALU_DEP_1)
	v_lshlrev_b64 v[1:2], 2, v[1:2]
	v_add_co_u32 v1, vcc_lo, s2, v1
	s_delay_alu instid0(VALU_DEP_2) | instskip(SKIP_2) | instid1(SALU_CYCLE_1)
	v_add_co_ci_u32_e32 v2, vcc_lo, s3, v2, vcc_lo
	global_store_b32 v[1:2], v3, off
	s_or_b32 exec_lo, exec_lo, s5
	s_mov_b32 s5, exec_lo
	v_cmpx_gt_i32_e64 s0, v0
	s_cbranch_execz .LBB164_3
.LBB164_7:
	v_dual_mov_b32 v2, 0 :: v_dual_add_nc_u32 v1, s4, v0
	v_dual_mov_b32 v3, s1 :: v_dual_add_nc_u32 v0, 0x100, v0
	s_delay_alu instid0(VALU_DEP_2) | instskip(NEXT) | instid1(VALU_DEP_1)
	v_lshlrev_b64 v[1:2], 2, v[1:2]
	v_add_co_u32 v1, vcc_lo, s2, v1
	s_delay_alu instid0(VALU_DEP_2)
	v_add_co_ci_u32_e32 v2, vcc_lo, s3, v2, vcc_lo
	global_store_b32 v[1:2], v3, off
	s_or_b32 exec_lo, exec_lo, s5
	v_cmp_gt_i32_e32 vcc_lo, s0, v0
	s_and_saveexec_b32 s0, vcc_lo
	s_cbranch_execz .LBB164_4
.LBB164_8:
	v_dual_mov_b32 v1, 0 :: v_dual_add_nc_u32 v0, s4, v0
	v_mov_b32_e32 v2, s1
	s_delay_alu instid0(VALU_DEP_2) | instskip(NEXT) | instid1(VALU_DEP_1)
	v_lshlrev_b64 v[0:1], 2, v[0:1]
	v_add_co_u32 v0, vcc_lo, s2, v0
	s_delay_alu instid0(VALU_DEP_2)
	v_add_co_ci_u32_e32 v1, vcc_lo, s3, v1, vcc_lo
	global_store_b32 v[0:1], v2, off
	s_nop 0
	s_sendmsg sendmsg(MSG_DEALLOC_VGPRS)
	s_endpgm
	.section	.rodata,"a",@progbits
	.p2align	6, 0x0
	.amdhsa_kernel _ZN2at6native27unrolled_elementwise_kernelINS0_11FillFunctorIjEESt5arrayIPcLm1EELi4E23TrivialOffsetCalculatorILi0EjES7_ILi1EjENS0_6memory15LoadWithoutCastENSA_16StoreWithoutCastEEEviT_T0_T2_T3_T4_T5_
		.amdhsa_group_segment_fixed_size 0
		.amdhsa_private_segment_fixed_size 0
		.amdhsa_kernarg_size 20
		.amdhsa_user_sgpr_count 15
		.amdhsa_user_sgpr_dispatch_ptr 0
		.amdhsa_user_sgpr_queue_ptr 0
		.amdhsa_user_sgpr_kernarg_segment_ptr 1
		.amdhsa_user_sgpr_dispatch_id 0
		.amdhsa_user_sgpr_private_segment_size 0
		.amdhsa_wavefront_size32 1
		.amdhsa_uses_dynamic_stack 0
		.amdhsa_enable_private_segment 0
		.amdhsa_system_sgpr_workgroup_id_x 1
		.amdhsa_system_sgpr_workgroup_id_y 0
		.amdhsa_system_sgpr_workgroup_id_z 0
		.amdhsa_system_sgpr_workgroup_info 0
		.amdhsa_system_vgpr_workitem_id 0
		.amdhsa_next_free_vgpr 4
		.amdhsa_next_free_sgpr 16
		.amdhsa_reserve_vcc 1
		.amdhsa_float_round_mode_32 0
		.amdhsa_float_round_mode_16_64 0
		.amdhsa_float_denorm_mode_32 3
		.amdhsa_float_denorm_mode_16_64 3
		.amdhsa_dx10_clamp 1
		.amdhsa_ieee_mode 1
		.amdhsa_fp16_overflow 0
		.amdhsa_workgroup_processor_mode 1
		.amdhsa_memory_ordered 1
		.amdhsa_forward_progress 0
		.amdhsa_shared_vgpr_count 0
		.amdhsa_exception_fp_ieee_invalid_op 0
		.amdhsa_exception_fp_denorm_src 0
		.amdhsa_exception_fp_ieee_div_zero 0
		.amdhsa_exception_fp_ieee_overflow 0
		.amdhsa_exception_fp_ieee_underflow 0
		.amdhsa_exception_fp_ieee_inexact 0
		.amdhsa_exception_int_div_zero 0
	.end_amdhsa_kernel
	.section	.text._ZN2at6native27unrolled_elementwise_kernelINS0_11FillFunctorIjEESt5arrayIPcLm1EELi4E23TrivialOffsetCalculatorILi0EjES7_ILi1EjENS0_6memory15LoadWithoutCastENSA_16StoreWithoutCastEEEviT_T0_T2_T3_T4_T5_,"axG",@progbits,_ZN2at6native27unrolled_elementwise_kernelINS0_11FillFunctorIjEESt5arrayIPcLm1EELi4E23TrivialOffsetCalculatorILi0EjES7_ILi1EjENS0_6memory15LoadWithoutCastENSA_16StoreWithoutCastEEEviT_T0_T2_T3_T4_T5_,comdat
.Lfunc_end164:
	.size	_ZN2at6native27unrolled_elementwise_kernelINS0_11FillFunctorIjEESt5arrayIPcLm1EELi4E23TrivialOffsetCalculatorILi0EjES7_ILi1EjENS0_6memory15LoadWithoutCastENSA_16StoreWithoutCastEEEviT_T0_T2_T3_T4_T5_, .Lfunc_end164-_ZN2at6native27unrolled_elementwise_kernelINS0_11FillFunctorIjEESt5arrayIPcLm1EELi4E23TrivialOffsetCalculatorILi0EjES7_ILi1EjENS0_6memory15LoadWithoutCastENSA_16StoreWithoutCastEEEviT_T0_T2_T3_T4_T5_
                                        ; -- End function
	.section	.AMDGPU.csdata,"",@progbits
; Kernel info:
; codeLenInByte = 400
; NumSgprs: 18
; NumVgprs: 4
; ScratchSize: 0
; MemoryBound: 0
; FloatMode: 240
; IeeeMode: 1
; LDSByteSize: 0 bytes/workgroup (compile time only)
; SGPRBlocks: 2
; VGPRBlocks: 0
; NumSGPRsForWavesPerEU: 18
; NumVGPRsForWavesPerEU: 4
; Occupancy: 16
; WaveLimiterHint : 0
; COMPUTE_PGM_RSRC2:SCRATCH_EN: 0
; COMPUTE_PGM_RSRC2:USER_SGPR: 15
; COMPUTE_PGM_RSRC2:TRAP_HANDLER: 0
; COMPUTE_PGM_RSRC2:TGID_X_EN: 1
; COMPUTE_PGM_RSRC2:TGID_Y_EN: 0
; COMPUTE_PGM_RSRC2:TGID_Z_EN: 0
; COMPUTE_PGM_RSRC2:TIDIG_COMP_CNT: 0
	.section	.text._ZN2at6native32elementwise_kernel_manual_unrollILi128ELi4EZNS0_22gpu_kernel_impl_nocastINS0_11FillFunctorIjEEEEvRNS_18TensorIteratorBaseERKT_EUlibE_EEviT1_,"axG",@progbits,_ZN2at6native32elementwise_kernel_manual_unrollILi128ELi4EZNS0_22gpu_kernel_impl_nocastINS0_11FillFunctorIjEEEEvRNS_18TensorIteratorBaseERKT_EUlibE_EEviT1_,comdat
	.protected	_ZN2at6native32elementwise_kernel_manual_unrollILi128ELi4EZNS0_22gpu_kernel_impl_nocastINS0_11FillFunctorIjEEEEvRNS_18TensorIteratorBaseERKT_EUlibE_EEviT1_ ; -- Begin function _ZN2at6native32elementwise_kernel_manual_unrollILi128ELi4EZNS0_22gpu_kernel_impl_nocastINS0_11FillFunctorIjEEEEvRNS_18TensorIteratorBaseERKT_EUlibE_EEviT1_
	.globl	_ZN2at6native32elementwise_kernel_manual_unrollILi128ELi4EZNS0_22gpu_kernel_impl_nocastINS0_11FillFunctorIjEEEEvRNS_18TensorIteratorBaseERKT_EUlibE_EEviT1_
	.p2align	8
	.type	_ZN2at6native32elementwise_kernel_manual_unrollILi128ELi4EZNS0_22gpu_kernel_impl_nocastINS0_11FillFunctorIjEEEEvRNS_18TensorIteratorBaseERKT_EUlibE_EEviT1_,@function
_ZN2at6native32elementwise_kernel_manual_unrollILi128ELi4EZNS0_22gpu_kernel_impl_nocastINS0_11FillFunctorIjEEEEvRNS_18TensorIteratorBaseERKT_EUlibE_EEviT1_: ; @_ZN2at6native32elementwise_kernel_manual_unrollILi128ELi4EZNS0_22gpu_kernel_impl_nocastINS0_11FillFunctorIjEEEEvRNS_18TensorIteratorBaseERKT_EUlibE_EEviT1_
; %bb.0:
	s_clause 0x1
	s_load_b32 s18, s[0:1], 0x8
	s_load_b32 s24, s[0:1], 0x0
	v_lshl_or_b32 v2, s15, 9, v0
	s_or_b32 s0, s0, 8
	s_mov_b32 s2, exec_lo
	s_delay_alu instid0(VALU_DEP_1) | instskip(SKIP_2) | instid1(SALU_CYCLE_1)
	v_or_b32_e32 v4, 0x180, v2
	s_waitcnt lgkmcnt(0)
	s_add_i32 s19, s18, -1
	s_cmp_gt_u32 s19, 1
	s_cselect_b32 s20, -1, 0
	v_cmpx_le_i32_e64 s24, v4
	s_xor_b32 s21, exec_lo, s2
	s_cbranch_execz .LBB165_7
; %bb.1:
	s_clause 0x4
	s_load_b128 s[4:7], s[0:1], 0x4
	s_load_b64 s[10:11], s[0:1], 0x14
	s_load_b64 s[8:9], s[0:1], 0xc4
	;; [unrolled: 1-line block ×3, first 2 shown]
	s_load_b32 s22, s[0:1], 0x110
	s_cmp_lg_u32 s18, 0
	s_mov_b32 s27, exec_lo
	s_cselect_b32 s26, -1, 0
	s_add_u32 s12, s0, 0xc4
	s_addc_u32 s13, s1, 0
	s_min_u32 s25, s19, 15
	s_cmp_gt_u32 s18, 1
	s_cselect_b32 s23, -1, 0
	v_cmpx_gt_i32_e64 s24, v2
	s_cbranch_execz .LBB165_14
; %bb.2:
	s_and_not1_b32 vcc_lo, exec_lo, s20
	s_cbranch_vccnz .LBB165_21
; %bb.3:
	v_mov_b32_e32 v0, 0
	s_and_not1_b32 vcc_lo, exec_lo, s26
	s_cbranch_vccnz .LBB165_73
; %bb.4:
	s_add_i32 s29, s25, 1
	s_cmp_eq_u32 s19, 2
	s_mov_b32 s28, 0
	s_cbranch_scc1 .LBB165_69
; %bb.5:
	v_dual_mov_b32 v0, 0 :: v_dual_mov_b32 v1, v2
	s_and_b32 s28, s29, 28
	s_mov_b32 s30, 0
	s_mov_b64 s[14:15], s[0:1]
	s_mov_b64 s[16:17], s[12:13]
.LBB165_6:                              ; =>This Inner Loop Header: Depth=1
	s_clause 0x1
	s_load_b256 s[36:43], s[14:15], 0x4
	s_load_b128 s[44:47], s[14:15], 0x24
	s_load_b128 s[48:51], s[16:17], 0x0
	s_add_u32 s14, s14, 48
	s_addc_u32 s15, s15, 0
	s_add_i32 s30, s30, 4
	s_add_u32 s16, s16, 16
	s_addc_u32 s17, s17, 0
	s_cmp_lg_u32 s28, s30
	s_waitcnt lgkmcnt(0)
	v_mul_hi_u32 v3, s37, v1
	s_delay_alu instid0(VALU_DEP_1) | instskip(NEXT) | instid1(VALU_DEP_1)
	v_add_nc_u32_e32 v3, v1, v3
	v_lshrrev_b32_e32 v3, s38, v3
	s_delay_alu instid0(VALU_DEP_1) | instskip(SKIP_1) | instid1(VALU_DEP_2)
	v_mul_hi_u32 v4, s40, v3
	v_mul_lo_u32 v7, v3, s36
	v_add_nc_u32_e32 v4, v3, v4
	s_delay_alu instid0(VALU_DEP_2) | instskip(NEXT) | instid1(VALU_DEP_2)
	v_sub_nc_u32_e32 v7, v1, v7
	v_lshrrev_b32_e32 v4, s41, v4
	s_delay_alu instid0(VALU_DEP_2) | instskip(NEXT) | instid1(VALU_DEP_2)
	v_mul_lo_u32 v7, v7, s48
	v_mul_hi_u32 v5, s43, v4
	v_mul_lo_u32 v8, v4, s39
	s_delay_alu instid0(VALU_DEP_2) | instskip(NEXT) | instid1(VALU_DEP_2)
	v_add_nc_u32_e32 v5, v4, v5
	v_sub_nc_u32_e32 v3, v3, v8
	s_delay_alu instid0(VALU_DEP_2) | instskip(NEXT) | instid1(VALU_DEP_2)
	v_lshrrev_b32_e32 v5, s44, v5
	v_mul_lo_u32 v3, v3, s49
	s_delay_alu instid0(VALU_DEP_2) | instskip(NEXT) | instid1(VALU_DEP_2)
	v_mul_hi_u32 v6, s46, v5
	v_add3_u32 v0, v7, v0, v3
	s_delay_alu instid0(VALU_DEP_2) | instskip(NEXT) | instid1(VALU_DEP_1)
	v_add_nc_u32_e32 v6, v5, v6
	v_lshrrev_b32_e32 v1, s47, v6
	v_mul_lo_u32 v6, v5, s42
	s_delay_alu instid0(VALU_DEP_2) | instskip(NEXT) | instid1(VALU_DEP_2)
	v_mul_lo_u32 v9, v1, s45
	v_sub_nc_u32_e32 v4, v4, v6
	s_delay_alu instid0(VALU_DEP_2) | instskip(NEXT) | instid1(VALU_DEP_2)
	v_sub_nc_u32_e32 v5, v5, v9
	v_mul_lo_u32 v4, v4, s50
	s_delay_alu instid0(VALU_DEP_2) | instskip(NEXT) | instid1(VALU_DEP_1)
	v_mul_lo_u32 v5, v5, s51
	v_add3_u32 v0, v4, v0, v5
	s_cbranch_scc1 .LBB165_6
	s_branch .LBB165_70
.LBB165_7:
	s_and_not1_saveexec_b32 s2, s21
	s_cbranch_execz .LBB165_94
.LBB165_8:
	v_cndmask_b32_e64 v3, 0, 1, s20
	s_and_not1_b32 vcc_lo, exec_lo, s20
	s_cbranch_vccnz .LBB165_20
; %bb.9:
	v_mov_b32_e32 v0, 0
	s_cmp_eq_u32 s18, 0
	s_mov_b32 s6, 0
	s_cbranch_scc1 .LBB165_26
; %bb.10:
	s_min_u32 s7, s19, 15
	v_mov_b32_e32 v0, 0
	s_add_i32 s7, s7, 1
	s_cmp_eq_u32 s19, 2
	s_mov_b32 s8, 0
	s_cbranch_scc1 .LBB165_23
; %bb.11:
	v_dual_mov_b32 v0, 0 :: v_dual_mov_b32 v1, v2
	s_add_u32 s2, s0, 0xc4
	s_addc_u32 s3, s1, 0
	s_and_b32 s8, s7, 28
	s_mov_b32 s9, 0
	s_mov_b64 s[4:5], s[0:1]
.LBB165_12:                             ; =>This Inner Loop Header: Depth=1
	s_clause 0x1
	s_load_b256 s[20:27], s[4:5], 0x4
	s_load_b128 s[12:15], s[4:5], 0x24
	s_load_b128 s[28:31], s[2:3], 0x0
	s_add_u32 s4, s4, 48
	s_addc_u32 s5, s5, 0
	s_add_i32 s9, s9, 4
	s_add_u32 s2, s2, 16
	s_addc_u32 s3, s3, 0
	s_cmp_lg_u32 s8, s9
	s_waitcnt lgkmcnt(0)
	v_mul_hi_u32 v5, s21, v1
	s_delay_alu instid0(VALU_DEP_1) | instskip(NEXT) | instid1(VALU_DEP_1)
	v_add_nc_u32_e32 v5, v1, v5
	v_lshrrev_b32_e32 v5, s22, v5
	s_delay_alu instid0(VALU_DEP_1) | instskip(SKIP_1) | instid1(VALU_DEP_2)
	v_mul_hi_u32 v6, s24, v5
	v_mul_lo_u32 v9, v5, s20
	v_add_nc_u32_e32 v6, v5, v6
	s_delay_alu instid0(VALU_DEP_2) | instskip(NEXT) | instid1(VALU_DEP_2)
	v_sub_nc_u32_e32 v9, v1, v9
	v_lshrrev_b32_e32 v6, s25, v6
	s_delay_alu instid0(VALU_DEP_2) | instskip(NEXT) | instid1(VALU_DEP_2)
	v_mul_lo_u32 v9, v9, s28
	v_mul_hi_u32 v7, s27, v6
	v_mul_lo_u32 v10, v6, s23
	s_delay_alu instid0(VALU_DEP_2) | instskip(NEXT) | instid1(VALU_DEP_2)
	v_add_nc_u32_e32 v7, v6, v7
	v_sub_nc_u32_e32 v5, v5, v10
	s_delay_alu instid0(VALU_DEP_2) | instskip(NEXT) | instid1(VALU_DEP_2)
	v_lshrrev_b32_e32 v7, s12, v7
	v_mul_lo_u32 v5, v5, s29
	s_delay_alu instid0(VALU_DEP_2) | instskip(NEXT) | instid1(VALU_DEP_2)
	v_mul_hi_u32 v8, s14, v7
	v_add3_u32 v0, v9, v0, v5
	s_delay_alu instid0(VALU_DEP_2) | instskip(NEXT) | instid1(VALU_DEP_1)
	v_add_nc_u32_e32 v8, v7, v8
	v_lshrrev_b32_e32 v1, s15, v8
	v_mul_lo_u32 v8, v7, s26
	s_delay_alu instid0(VALU_DEP_2) | instskip(NEXT) | instid1(VALU_DEP_2)
	v_mul_lo_u32 v11, v1, s13
	v_sub_nc_u32_e32 v6, v6, v8
	s_delay_alu instid0(VALU_DEP_2) | instskip(NEXT) | instid1(VALU_DEP_2)
	v_sub_nc_u32_e32 v7, v7, v11
	v_mul_lo_u32 v6, v6, s30
	s_delay_alu instid0(VALU_DEP_2) | instskip(NEXT) | instid1(VALU_DEP_1)
	v_mul_lo_u32 v7, v7, s31
	v_add3_u32 v0, v6, v0, v7
	s_cbranch_scc1 .LBB165_12
; %bb.13:
	s_and_b32 s7, s7, 3
	s_delay_alu instid0(SALU_CYCLE_1)
	s_cmp_eq_u32 s7, 0
	s_cbranch_scc0 .LBB165_24
	s_branch .LBB165_26
.LBB165_14:
	s_or_b32 exec_lo, exec_lo, s27
	s_delay_alu instid0(SALU_CYCLE_1)
	s_mov_b32 s27, exec_lo
	v_cmpx_gt_i32_e64 s24, v2
	s_cbranch_execz .LBB165_77
.LBB165_15:
	s_and_not1_b32 vcc_lo, exec_lo, s20
	s_cbranch_vccnz .LBB165_22
; %bb.16:
	v_mov_b32_e32 v0, 0
	s_and_not1_b32 vcc_lo, exec_lo, s26
	s_cbranch_vccnz .LBB165_88
; %bb.17:
	s_add_i32 s29, s25, 1
	s_cmp_eq_u32 s19, 2
	s_mov_b32 s28, 0
	s_cbranch_scc1 .LBB165_84
; %bb.18:
	v_dual_mov_b32 v0, 0 :: v_dual_mov_b32 v1, v2
	s_and_b32 s28, s29, 28
	s_mov_b32 s30, 0
	s_mov_b64 s[14:15], s[0:1]
	s_mov_b64 s[16:17], s[12:13]
.LBB165_19:                             ; =>This Inner Loop Header: Depth=1
	s_clause 0x1
	s_load_b256 s[36:43], s[14:15], 0x4
	s_load_b128 s[44:47], s[14:15], 0x24
	s_load_b128 s[48:51], s[16:17], 0x0
	s_add_u32 s14, s14, 48
	s_addc_u32 s15, s15, 0
	s_add_i32 s30, s30, 4
	s_add_u32 s16, s16, 16
	s_addc_u32 s17, s17, 0
	s_cmp_eq_u32 s28, s30
	s_waitcnt lgkmcnt(0)
	v_mul_hi_u32 v3, s37, v1
	s_delay_alu instid0(VALU_DEP_1) | instskip(NEXT) | instid1(VALU_DEP_1)
	v_add_nc_u32_e32 v3, v1, v3
	v_lshrrev_b32_e32 v3, s38, v3
	s_delay_alu instid0(VALU_DEP_1) | instskip(SKIP_1) | instid1(VALU_DEP_2)
	v_mul_hi_u32 v4, s40, v3
	v_mul_lo_u32 v7, v3, s36
	v_add_nc_u32_e32 v4, v3, v4
	s_delay_alu instid0(VALU_DEP_2) | instskip(NEXT) | instid1(VALU_DEP_2)
	v_sub_nc_u32_e32 v7, v1, v7
	v_lshrrev_b32_e32 v4, s41, v4
	s_delay_alu instid0(VALU_DEP_2) | instskip(NEXT) | instid1(VALU_DEP_2)
	v_mul_lo_u32 v7, v7, s48
	v_mul_hi_u32 v5, s43, v4
	v_mul_lo_u32 v8, v4, s39
	s_delay_alu instid0(VALU_DEP_2) | instskip(NEXT) | instid1(VALU_DEP_2)
	v_add_nc_u32_e32 v5, v4, v5
	v_sub_nc_u32_e32 v3, v3, v8
	s_delay_alu instid0(VALU_DEP_2) | instskip(NEXT) | instid1(VALU_DEP_2)
	v_lshrrev_b32_e32 v5, s44, v5
	v_mul_lo_u32 v3, v3, s49
	s_delay_alu instid0(VALU_DEP_2) | instskip(NEXT) | instid1(VALU_DEP_2)
	v_mul_hi_u32 v6, s46, v5
	v_add3_u32 v0, v7, v0, v3
	s_delay_alu instid0(VALU_DEP_2) | instskip(NEXT) | instid1(VALU_DEP_1)
	v_add_nc_u32_e32 v6, v5, v6
	v_lshrrev_b32_e32 v1, s47, v6
	v_mul_lo_u32 v6, v5, s42
	s_delay_alu instid0(VALU_DEP_2) | instskip(NEXT) | instid1(VALU_DEP_2)
	v_mul_lo_u32 v9, v1, s45
	v_sub_nc_u32_e32 v4, v4, v6
	s_delay_alu instid0(VALU_DEP_2) | instskip(NEXT) | instid1(VALU_DEP_2)
	v_sub_nc_u32_e32 v5, v5, v9
	v_mul_lo_u32 v4, v4, s50
	s_delay_alu instid0(VALU_DEP_2) | instskip(NEXT) | instid1(VALU_DEP_1)
	v_mul_lo_u32 v5, v5, s51
	v_add3_u32 v0, v4, v0, v5
	s_cbranch_scc0 .LBB165_19
	s_branch .LBB165_85
.LBB165_20:
	s_mov_b32 s6, -1
                                        ; implicit-def: $vgpr0
	s_branch .LBB165_26
.LBB165_21:
                                        ; implicit-def: $vgpr0
	s_branch .LBB165_74
.LBB165_22:
                                        ; implicit-def: $vgpr0
	s_branch .LBB165_89
.LBB165_23:
	v_mov_b32_e32 v1, v2
	s_and_b32 s7, s7, 3
	s_delay_alu instid0(SALU_CYCLE_1)
	s_cmp_eq_u32 s7, 0
	s_cbranch_scc1 .LBB165_26
.LBB165_24:
	s_lshl_b32 s2, s8, 2
	s_mul_i32 s4, s8, 12
	s_add_u32 s2, s2, s0
	s_addc_u32 s3, 0, s1
	s_add_u32 s2, s2, 0xc4
	s_addc_u32 s3, s3, 0
	;; [unrolled: 2-line block ×3, first 2 shown]
	.p2align	6
.LBB165_25:                             ; =>This Inner Loop Header: Depth=1
	s_clause 0x1
	s_load_b64 s[8:9], s[4:5], 0x4
	s_load_b32 s10, s[4:5], 0xc
	s_add_u32 s4, s4, 12
	s_addc_u32 s5, s5, 0
	s_waitcnt lgkmcnt(0)
	v_mul_hi_u32 v5, s9, v1
	s_load_b32 s9, s[2:3], 0x0
	s_add_u32 s2, s2, 4
	s_addc_u32 s3, s3, 0
	s_add_i32 s7, s7, -1
	s_delay_alu instid0(SALU_CYCLE_1) | instskip(NEXT) | instid1(VALU_DEP_1)
	s_cmp_lg_u32 s7, 0
	v_add_nc_u32_e32 v5, v1, v5
	s_delay_alu instid0(VALU_DEP_1) | instskip(NEXT) | instid1(VALU_DEP_1)
	v_lshrrev_b32_e32 v7, s10, v5
	v_mul_lo_u32 v5, v7, s8
	s_delay_alu instid0(VALU_DEP_1) | instskip(SKIP_1) | instid1(VALU_DEP_1)
	v_sub_nc_u32_e32 v1, v1, v5
	s_waitcnt lgkmcnt(0)
	v_mad_u64_u32 v[5:6], null, v1, s9, v[0:1]
	s_delay_alu instid0(VALU_DEP_1)
	v_dual_mov_b32 v1, v7 :: v_dual_mov_b32 v0, v5
	s_cbranch_scc1 .LBB165_25
.LBB165_26:
	s_and_not1_b32 vcc_lo, exec_lo, s6
	s_cbranch_vccnz .LBB165_29
; %bb.27:
	s_clause 0x1
	s_load_b128 s[4:7], s[0:1], 0x4
	s_load_b32 s2, s[0:1], 0xc4
	s_cmp_lt_u32 s18, 2
	s_waitcnt lgkmcnt(0)
	v_mul_hi_u32 v0, s5, v2
	s_delay_alu instid0(VALU_DEP_1) | instskip(NEXT) | instid1(VALU_DEP_1)
	v_add_nc_u32_e32 v0, v2, v0
	v_lshrrev_b32_e32 v1, s6, v0
	s_delay_alu instid0(VALU_DEP_1) | instskip(NEXT) | instid1(VALU_DEP_1)
	v_mul_lo_u32 v0, v1, s4
	v_sub_nc_u32_e32 v0, v2, v0
	s_delay_alu instid0(VALU_DEP_1)
	v_mul_lo_u32 v0, v0, s2
	s_cbranch_scc1 .LBB165_29
; %bb.28:
	s_clause 0x1
	s_load_b128 s[4:7], s[0:1], 0x10
	s_load_b32 s2, s[0:1], 0xc8
	s_waitcnt lgkmcnt(0)
	v_mul_hi_u32 v5, s5, v1
	s_delay_alu instid0(VALU_DEP_1) | instskip(NEXT) | instid1(VALU_DEP_1)
	v_add_nc_u32_e32 v5, v1, v5
	v_lshrrev_b32_e32 v5, s6, v5
	s_delay_alu instid0(VALU_DEP_1) | instskip(NEXT) | instid1(VALU_DEP_1)
	v_mul_lo_u32 v5, v5, s4
	v_sub_nc_u32_e32 v1, v1, v5
	s_delay_alu instid0(VALU_DEP_1) | instskip(NEXT) | instid1(VALU_DEP_1)
	v_mad_u64_u32 v[5:6], null, v1, s2, v[0:1]
	v_mov_b32_e32 v0, v5
.LBB165_29:
	v_cmp_ne_u32_e32 vcc_lo, 1, v3
	v_add_nc_u32_e32 v5, 0x80, v2
	s_cbranch_vccnz .LBB165_35
; %bb.30:
	v_mov_b32_e32 v1, 0
	s_cmp_eq_u32 s18, 0
	s_mov_b32 s6, 0
	s_cbranch_scc1 .LBB165_39
; %bb.31:
	s_min_u32 s7, s19, 15
	v_mov_b32_e32 v1, 0
	s_add_i32 s7, s7, 1
	s_cmp_eq_u32 s19, 2
	s_mov_b32 s8, 0
	s_cbranch_scc1 .LBB165_36
; %bb.32:
	v_dual_mov_b32 v1, 0 :: v_dual_mov_b32 v6, v5
	s_add_u32 s2, s0, 0xc4
	s_addc_u32 s3, s1, 0
	s_and_b32 s8, s7, 28
	s_mov_b32 s9, 0
	s_mov_b64 s[4:5], s[0:1]
.LBB165_33:                             ; =>This Inner Loop Header: Depth=1
	s_clause 0x1
	s_load_b256 s[20:27], s[4:5], 0x4
	s_load_b128 s[12:15], s[4:5], 0x24
	s_load_b128 s[28:31], s[2:3], 0x0
	s_add_u32 s4, s4, 48
	s_addc_u32 s5, s5, 0
	s_add_i32 s9, s9, 4
	s_add_u32 s2, s2, 16
	s_addc_u32 s3, s3, 0
	s_cmp_lg_u32 s8, s9
	s_waitcnt lgkmcnt(0)
	v_mul_hi_u32 v7, s21, v6
	s_delay_alu instid0(VALU_DEP_1) | instskip(NEXT) | instid1(VALU_DEP_1)
	v_add_nc_u32_e32 v7, v6, v7
	v_lshrrev_b32_e32 v7, s22, v7
	s_delay_alu instid0(VALU_DEP_1) | instskip(SKIP_1) | instid1(VALU_DEP_2)
	v_mul_hi_u32 v8, s24, v7
	v_mul_lo_u32 v11, v7, s20
	v_add_nc_u32_e32 v8, v7, v8
	s_delay_alu instid0(VALU_DEP_2) | instskip(NEXT) | instid1(VALU_DEP_2)
	v_sub_nc_u32_e32 v11, v6, v11
	v_lshrrev_b32_e32 v8, s25, v8
	s_delay_alu instid0(VALU_DEP_2) | instskip(NEXT) | instid1(VALU_DEP_2)
	v_mul_lo_u32 v11, v11, s28
	v_mul_hi_u32 v9, s27, v8
	v_mul_lo_u32 v12, v8, s23
	s_delay_alu instid0(VALU_DEP_2) | instskip(NEXT) | instid1(VALU_DEP_2)
	v_add_nc_u32_e32 v9, v8, v9
	v_sub_nc_u32_e32 v7, v7, v12
	s_delay_alu instid0(VALU_DEP_2) | instskip(NEXT) | instid1(VALU_DEP_2)
	v_lshrrev_b32_e32 v9, s12, v9
	v_mul_lo_u32 v7, v7, s29
	s_delay_alu instid0(VALU_DEP_2) | instskip(NEXT) | instid1(VALU_DEP_2)
	v_mul_hi_u32 v10, s14, v9
	v_add3_u32 v1, v11, v1, v7
	s_delay_alu instid0(VALU_DEP_2) | instskip(NEXT) | instid1(VALU_DEP_1)
	v_add_nc_u32_e32 v10, v9, v10
	v_lshrrev_b32_e32 v6, s15, v10
	v_mul_lo_u32 v10, v9, s26
	s_delay_alu instid0(VALU_DEP_2) | instskip(NEXT) | instid1(VALU_DEP_2)
	v_mul_lo_u32 v13, v6, s13
	v_sub_nc_u32_e32 v8, v8, v10
	s_delay_alu instid0(VALU_DEP_2) | instskip(NEXT) | instid1(VALU_DEP_2)
	v_sub_nc_u32_e32 v9, v9, v13
	v_mul_lo_u32 v8, v8, s30
	s_delay_alu instid0(VALU_DEP_2) | instskip(NEXT) | instid1(VALU_DEP_1)
	v_mul_lo_u32 v9, v9, s31
	v_add3_u32 v1, v8, v1, v9
	s_cbranch_scc1 .LBB165_33
; %bb.34:
	s_and_b32 s7, s7, 3
	s_delay_alu instid0(SALU_CYCLE_1)
	s_cmp_eq_u32 s7, 0
	s_cbranch_scc0 .LBB165_37
	s_branch .LBB165_39
.LBB165_35:
	s_mov_b32 s6, -1
                                        ; implicit-def: $vgpr1
	s_branch .LBB165_39
.LBB165_36:
	v_mov_b32_e32 v6, v5
	s_and_b32 s7, s7, 3
	s_delay_alu instid0(SALU_CYCLE_1)
	s_cmp_eq_u32 s7, 0
	s_cbranch_scc1 .LBB165_39
.LBB165_37:
	s_lshl_b32 s2, s8, 2
	s_mul_i32 s4, s8, 12
	s_add_u32 s2, s2, s0
	s_addc_u32 s3, 0, s1
	s_add_u32 s2, s2, 0xc4
	s_addc_u32 s3, s3, 0
	;; [unrolled: 2-line block ×3, first 2 shown]
	.p2align	6
.LBB165_38:                             ; =>This Inner Loop Header: Depth=1
	s_clause 0x1
	s_load_b64 s[8:9], s[4:5], 0x4
	s_load_b32 s10, s[4:5], 0xc
	s_add_u32 s4, s4, 12
	s_addc_u32 s5, s5, 0
	s_waitcnt lgkmcnt(0)
	v_mul_hi_u32 v7, s9, v6
	s_load_b32 s9, s[2:3], 0x0
	s_add_u32 s2, s2, 4
	s_addc_u32 s3, s3, 0
	s_add_i32 s7, s7, -1
	s_delay_alu instid0(SALU_CYCLE_1) | instskip(NEXT) | instid1(VALU_DEP_1)
	s_cmp_lg_u32 s7, 0
	v_add_nc_u32_e32 v7, v6, v7
	s_delay_alu instid0(VALU_DEP_1) | instskip(NEXT) | instid1(VALU_DEP_1)
	v_lshrrev_b32_e32 v9, s10, v7
	v_mul_lo_u32 v7, v9, s8
	s_delay_alu instid0(VALU_DEP_1) | instskip(SKIP_1) | instid1(VALU_DEP_1)
	v_sub_nc_u32_e32 v6, v6, v7
	s_waitcnt lgkmcnt(0)
	v_mad_u64_u32 v[7:8], null, v6, s9, v[1:2]
	s_delay_alu instid0(VALU_DEP_1)
	v_dual_mov_b32 v6, v9 :: v_dual_mov_b32 v1, v7
	s_cbranch_scc1 .LBB165_38
.LBB165_39:
	s_and_not1_b32 vcc_lo, exec_lo, s6
	s_cbranch_vccnz .LBB165_42
; %bb.40:
	s_clause 0x1
	s_load_b128 s[4:7], s[0:1], 0x4
	s_load_b32 s2, s[0:1], 0xc4
	s_cmp_lt_u32 s18, 2
	s_waitcnt lgkmcnt(0)
	v_mul_hi_u32 v1, s5, v5
	s_delay_alu instid0(VALU_DEP_1) | instskip(NEXT) | instid1(VALU_DEP_1)
	v_add_nc_u32_e32 v1, v5, v1
	v_lshrrev_b32_e32 v6, s6, v1
	s_delay_alu instid0(VALU_DEP_1) | instskip(NEXT) | instid1(VALU_DEP_1)
	v_mul_lo_u32 v1, v6, s4
	v_sub_nc_u32_e32 v1, v5, v1
	s_delay_alu instid0(VALU_DEP_1)
	v_mul_lo_u32 v1, v1, s2
	s_cbranch_scc1 .LBB165_42
; %bb.41:
	s_clause 0x1
	s_load_b128 s[4:7], s[0:1], 0x10
	s_load_b32 s2, s[0:1], 0xc8
	s_waitcnt lgkmcnt(0)
	v_mul_hi_u32 v5, s5, v6
	s_delay_alu instid0(VALU_DEP_1) | instskip(NEXT) | instid1(VALU_DEP_1)
	v_add_nc_u32_e32 v5, v6, v5
	v_lshrrev_b32_e32 v5, s6, v5
	s_delay_alu instid0(VALU_DEP_1) | instskip(NEXT) | instid1(VALU_DEP_1)
	v_mul_lo_u32 v5, v5, s4
	v_sub_nc_u32_e32 v7, v6, v5
	s_delay_alu instid0(VALU_DEP_1) | instskip(NEXT) | instid1(VALU_DEP_1)
	v_mad_u64_u32 v[5:6], null, v7, s2, v[1:2]
	v_mov_b32_e32 v1, v5
.LBB165_42:
	v_cmp_ne_u32_e32 vcc_lo, 1, v3
	v_add_nc_u32_e32 v5, 0x100, v2
	s_cbranch_vccnz .LBB165_48
; %bb.43:
	v_mov_b32_e32 v2, 0
	s_cmp_eq_u32 s18, 0
	s_mov_b32 s6, 0
	s_cbranch_scc1 .LBB165_52
; %bb.44:
	s_min_u32 s7, s19, 15
	v_mov_b32_e32 v2, 0
	s_add_i32 s7, s7, 1
	s_cmp_eq_u32 s19, 2
	s_mov_b32 s8, 0
	s_cbranch_scc1 .LBB165_49
; %bb.45:
	v_mov_b32_e32 v2, 0
	v_mov_b32_e32 v6, v5
	s_add_u32 s2, s0, 0xc4
	s_addc_u32 s3, s1, 0
	s_and_b32 s8, s7, 28
	s_mov_b32 s9, 0
	s_mov_b64 s[4:5], s[0:1]
.LBB165_46:                             ; =>This Inner Loop Header: Depth=1
	s_clause 0x1
	s_load_b256 s[20:27], s[4:5], 0x4
	s_load_b128 s[12:15], s[4:5], 0x24
	s_load_b128 s[28:31], s[2:3], 0x0
	s_add_u32 s4, s4, 48
	s_addc_u32 s5, s5, 0
	s_add_i32 s9, s9, 4
	s_add_u32 s2, s2, 16
	s_addc_u32 s3, s3, 0
	s_cmp_lg_u32 s8, s9
	s_waitcnt lgkmcnt(0)
	v_mul_hi_u32 v7, s21, v6
	s_delay_alu instid0(VALU_DEP_1) | instskip(NEXT) | instid1(VALU_DEP_1)
	v_add_nc_u32_e32 v7, v6, v7
	v_lshrrev_b32_e32 v7, s22, v7
	s_delay_alu instid0(VALU_DEP_1) | instskip(SKIP_1) | instid1(VALU_DEP_2)
	v_mul_hi_u32 v8, s24, v7
	v_mul_lo_u32 v11, v7, s20
	v_add_nc_u32_e32 v8, v7, v8
	s_delay_alu instid0(VALU_DEP_2) | instskip(NEXT) | instid1(VALU_DEP_2)
	v_sub_nc_u32_e32 v11, v6, v11
	v_lshrrev_b32_e32 v8, s25, v8
	s_delay_alu instid0(VALU_DEP_2) | instskip(NEXT) | instid1(VALU_DEP_2)
	v_mul_lo_u32 v11, v11, s28
	v_mul_hi_u32 v9, s27, v8
	v_mul_lo_u32 v12, v8, s23
	s_delay_alu instid0(VALU_DEP_2) | instskip(NEXT) | instid1(VALU_DEP_2)
	v_add_nc_u32_e32 v9, v8, v9
	v_sub_nc_u32_e32 v7, v7, v12
	s_delay_alu instid0(VALU_DEP_2) | instskip(NEXT) | instid1(VALU_DEP_2)
	v_lshrrev_b32_e32 v9, s12, v9
	v_mul_lo_u32 v7, v7, s29
	s_delay_alu instid0(VALU_DEP_2) | instskip(NEXT) | instid1(VALU_DEP_2)
	v_mul_hi_u32 v10, s14, v9
	v_add3_u32 v2, v11, v2, v7
	s_delay_alu instid0(VALU_DEP_2) | instskip(NEXT) | instid1(VALU_DEP_1)
	v_add_nc_u32_e32 v10, v9, v10
	v_lshrrev_b32_e32 v6, s15, v10
	v_mul_lo_u32 v10, v9, s26
	s_delay_alu instid0(VALU_DEP_2) | instskip(NEXT) | instid1(VALU_DEP_2)
	v_mul_lo_u32 v13, v6, s13
	v_sub_nc_u32_e32 v8, v8, v10
	s_delay_alu instid0(VALU_DEP_2) | instskip(NEXT) | instid1(VALU_DEP_2)
	v_sub_nc_u32_e32 v9, v9, v13
	v_mul_lo_u32 v8, v8, s30
	s_delay_alu instid0(VALU_DEP_2) | instskip(NEXT) | instid1(VALU_DEP_1)
	v_mul_lo_u32 v9, v9, s31
	v_add3_u32 v2, v8, v2, v9
	s_cbranch_scc1 .LBB165_46
; %bb.47:
	s_and_b32 s7, s7, 3
	s_delay_alu instid0(SALU_CYCLE_1)
	s_cmp_eq_u32 s7, 0
	s_cbranch_scc0 .LBB165_50
	s_branch .LBB165_52
.LBB165_48:
	s_mov_b32 s6, -1
                                        ; implicit-def: $vgpr2
	s_branch .LBB165_52
.LBB165_49:
	v_mov_b32_e32 v6, v5
	s_and_b32 s7, s7, 3
	s_delay_alu instid0(SALU_CYCLE_1)
	s_cmp_eq_u32 s7, 0
	s_cbranch_scc1 .LBB165_52
.LBB165_50:
	s_lshl_b32 s2, s8, 2
	s_mul_i32 s4, s8, 12
	s_add_u32 s2, s2, s0
	s_addc_u32 s3, 0, s1
	s_add_u32 s2, s2, 0xc4
	s_addc_u32 s3, s3, 0
	;; [unrolled: 2-line block ×3, first 2 shown]
	.p2align	6
.LBB165_51:                             ; =>This Inner Loop Header: Depth=1
	s_clause 0x1
	s_load_b64 s[8:9], s[4:5], 0x4
	s_load_b32 s10, s[4:5], 0xc
	s_add_u32 s4, s4, 12
	s_addc_u32 s5, s5, 0
	s_waitcnt lgkmcnt(0)
	v_mul_hi_u32 v7, s9, v6
	s_load_b32 s9, s[2:3], 0x0
	s_add_u32 s2, s2, 4
	s_addc_u32 s3, s3, 0
	s_add_i32 s7, s7, -1
	s_delay_alu instid0(SALU_CYCLE_1) | instskip(NEXT) | instid1(VALU_DEP_1)
	s_cmp_lg_u32 s7, 0
	v_add_nc_u32_e32 v7, v6, v7
	s_delay_alu instid0(VALU_DEP_1) | instskip(NEXT) | instid1(VALU_DEP_1)
	v_lshrrev_b32_e32 v9, s10, v7
	v_mul_lo_u32 v7, v9, s8
	s_delay_alu instid0(VALU_DEP_1) | instskip(SKIP_1) | instid1(VALU_DEP_1)
	v_sub_nc_u32_e32 v6, v6, v7
	s_waitcnt lgkmcnt(0)
	v_mad_u64_u32 v[7:8], null, v6, s9, v[2:3]
	v_mov_b32_e32 v6, v9
	s_delay_alu instid0(VALU_DEP_2)
	v_mov_b32_e32 v2, v7
	s_cbranch_scc1 .LBB165_51
.LBB165_52:
	s_and_not1_b32 vcc_lo, exec_lo, s6
	s_cbranch_vccnz .LBB165_55
; %bb.53:
	s_clause 0x1
	s_load_b128 s[4:7], s[0:1], 0x4
	s_load_b32 s2, s[0:1], 0xc4
	s_cmp_lt_u32 s18, 2
	s_waitcnt lgkmcnt(0)
	v_mul_hi_u32 v2, s5, v5
	s_delay_alu instid0(VALU_DEP_1) | instskip(NEXT) | instid1(VALU_DEP_1)
	v_add_nc_u32_e32 v2, v5, v2
	v_lshrrev_b32_e32 v6, s6, v2
	s_delay_alu instid0(VALU_DEP_1) | instskip(NEXT) | instid1(VALU_DEP_1)
	v_mul_lo_u32 v2, v6, s4
	v_sub_nc_u32_e32 v2, v5, v2
	s_delay_alu instid0(VALU_DEP_1)
	v_mul_lo_u32 v2, v2, s2
	s_cbranch_scc1 .LBB165_55
; %bb.54:
	s_clause 0x1
	s_load_b128 s[4:7], s[0:1], 0x10
	s_load_b32 s2, s[0:1], 0xc8
	s_waitcnt lgkmcnt(0)
	v_mul_hi_u32 v5, s5, v6
	s_delay_alu instid0(VALU_DEP_1) | instskip(NEXT) | instid1(VALU_DEP_1)
	v_add_nc_u32_e32 v5, v6, v5
	v_lshrrev_b32_e32 v5, s6, v5
	s_delay_alu instid0(VALU_DEP_1) | instskip(NEXT) | instid1(VALU_DEP_1)
	v_mul_lo_u32 v5, v5, s4
	v_sub_nc_u32_e32 v7, v6, v5
	s_delay_alu instid0(VALU_DEP_1) | instskip(NEXT) | instid1(VALU_DEP_1)
	v_mad_u64_u32 v[5:6], null, v7, s2, v[2:3]
	v_mov_b32_e32 v2, v5
.LBB165_55:
	v_cmp_ne_u32_e32 vcc_lo, 1, v3
	s_cbranch_vccnz .LBB165_61
; %bb.56:
	v_mov_b32_e32 v3, 0
	s_cmp_eq_u32 s18, 0
	s_mov_b32 s6, 0
	s_cbranch_scc1 .LBB165_65
; %bb.57:
	s_min_u32 s7, s19, 15
	v_mov_b32_e32 v3, 0
	s_add_i32 s7, s7, 1
	s_cmp_eq_u32 s19, 2
	s_mov_b32 s8, 0
	s_cbranch_scc1 .LBB165_62
; %bb.58:
	v_mov_b32_e32 v3, 0
	v_mov_b32_e32 v5, v4
	s_add_u32 s2, s0, 0xc4
	s_addc_u32 s3, s1, 0
	s_and_b32 s8, s7, 28
	s_mov_b32 s9, 0
	s_mov_b64 s[4:5], s[0:1]
.LBB165_59:                             ; =>This Inner Loop Header: Depth=1
	s_clause 0x1
	s_load_b256 s[20:27], s[4:5], 0x4
	s_load_b128 s[12:15], s[4:5], 0x24
	s_load_b128 s[28:31], s[2:3], 0x0
	s_add_u32 s4, s4, 48
	s_addc_u32 s5, s5, 0
	s_add_i32 s9, s9, 4
	s_add_u32 s2, s2, 16
	s_addc_u32 s3, s3, 0
	s_cmp_lg_u32 s8, s9
	s_waitcnt lgkmcnt(0)
	v_mul_hi_u32 v6, s21, v5
	s_delay_alu instid0(VALU_DEP_1) | instskip(NEXT) | instid1(VALU_DEP_1)
	v_add_nc_u32_e32 v6, v5, v6
	v_lshrrev_b32_e32 v6, s22, v6
	s_delay_alu instid0(VALU_DEP_1) | instskip(SKIP_1) | instid1(VALU_DEP_2)
	v_mul_hi_u32 v7, s24, v6
	v_mul_lo_u32 v10, v6, s20
	v_add_nc_u32_e32 v7, v6, v7
	s_delay_alu instid0(VALU_DEP_2) | instskip(NEXT) | instid1(VALU_DEP_2)
	v_sub_nc_u32_e32 v10, v5, v10
	v_lshrrev_b32_e32 v7, s25, v7
	s_delay_alu instid0(VALU_DEP_2) | instskip(NEXT) | instid1(VALU_DEP_2)
	v_mul_lo_u32 v10, v10, s28
	v_mul_hi_u32 v8, s27, v7
	v_mul_lo_u32 v11, v7, s23
	s_delay_alu instid0(VALU_DEP_2) | instskip(NEXT) | instid1(VALU_DEP_2)
	v_add_nc_u32_e32 v8, v7, v8
	v_sub_nc_u32_e32 v6, v6, v11
	s_delay_alu instid0(VALU_DEP_2) | instskip(NEXT) | instid1(VALU_DEP_2)
	v_lshrrev_b32_e32 v8, s12, v8
	v_mul_lo_u32 v6, v6, s29
	s_delay_alu instid0(VALU_DEP_2) | instskip(NEXT) | instid1(VALU_DEP_2)
	v_mul_hi_u32 v9, s14, v8
	v_add3_u32 v3, v10, v3, v6
	s_delay_alu instid0(VALU_DEP_2) | instskip(NEXT) | instid1(VALU_DEP_1)
	v_add_nc_u32_e32 v9, v8, v9
	v_lshrrev_b32_e32 v5, s15, v9
	v_mul_lo_u32 v9, v8, s26
	s_delay_alu instid0(VALU_DEP_2) | instskip(NEXT) | instid1(VALU_DEP_2)
	v_mul_lo_u32 v12, v5, s13
	v_sub_nc_u32_e32 v7, v7, v9
	s_delay_alu instid0(VALU_DEP_2) | instskip(NEXT) | instid1(VALU_DEP_2)
	v_sub_nc_u32_e32 v8, v8, v12
	v_mul_lo_u32 v7, v7, s30
	s_delay_alu instid0(VALU_DEP_2) | instskip(NEXT) | instid1(VALU_DEP_1)
	v_mul_lo_u32 v8, v8, s31
	v_add3_u32 v3, v7, v3, v8
	s_cbranch_scc1 .LBB165_59
; %bb.60:
	s_and_b32 s7, s7, 3
	s_delay_alu instid0(SALU_CYCLE_1)
	s_cmp_eq_u32 s7, 0
	s_cbranch_scc0 .LBB165_63
	s_branch .LBB165_65
.LBB165_61:
	s_mov_b32 s6, -1
                                        ; implicit-def: $vgpr3
	s_branch .LBB165_65
.LBB165_62:
	v_mov_b32_e32 v5, v4
	s_and_b32 s7, s7, 3
	s_delay_alu instid0(SALU_CYCLE_1)
	s_cmp_eq_u32 s7, 0
	s_cbranch_scc1 .LBB165_65
.LBB165_63:
	s_lshl_b32 s2, s8, 2
	s_mul_i32 s4, s8, 12
	s_add_u32 s2, s2, s0
	s_addc_u32 s3, 0, s1
	s_add_u32 s2, s2, 0xc4
	s_addc_u32 s3, s3, 0
	;; [unrolled: 2-line block ×3, first 2 shown]
	.p2align	6
.LBB165_64:                             ; =>This Inner Loop Header: Depth=1
	s_clause 0x1
	s_load_b64 s[8:9], s[4:5], 0x4
	s_load_b32 s10, s[4:5], 0xc
	s_add_u32 s4, s4, 12
	s_addc_u32 s5, s5, 0
	s_waitcnt lgkmcnt(0)
	v_mul_hi_u32 v6, s9, v5
	s_load_b32 s9, s[2:3], 0x0
	s_add_u32 s2, s2, 4
	s_addc_u32 s3, s3, 0
	s_add_i32 s7, s7, -1
	s_delay_alu instid0(SALU_CYCLE_1) | instskip(NEXT) | instid1(VALU_DEP_1)
	s_cmp_lg_u32 s7, 0
	v_add_nc_u32_e32 v6, v5, v6
	s_delay_alu instid0(VALU_DEP_1) | instskip(NEXT) | instid1(VALU_DEP_1)
	v_lshrrev_b32_e32 v8, s10, v6
	v_mul_lo_u32 v6, v8, s8
	s_delay_alu instid0(VALU_DEP_1) | instskip(SKIP_1) | instid1(VALU_DEP_1)
	v_sub_nc_u32_e32 v5, v5, v6
	s_waitcnt lgkmcnt(0)
	v_mad_u64_u32 v[6:7], null, v5, s9, v[3:4]
	v_mov_b32_e32 v5, v8
	s_delay_alu instid0(VALU_DEP_2)
	v_mov_b32_e32 v3, v6
	s_cbranch_scc1 .LBB165_64
.LBB165_65:
	s_and_not1_b32 vcc_lo, exec_lo, s6
	s_cbranch_vccnz .LBB165_68
; %bb.66:
	s_clause 0x1
	s_load_b128 s[4:7], s[0:1], 0x4
	s_load_b32 s2, s[0:1], 0xc4
	s_cmp_lt_u32 s18, 2
	s_waitcnt lgkmcnt(0)
	v_mul_hi_u32 v3, s5, v4
	s_delay_alu instid0(VALU_DEP_1) | instskip(NEXT) | instid1(VALU_DEP_1)
	v_add_nc_u32_e32 v3, v4, v3
	v_lshrrev_b32_e32 v5, s6, v3
	s_delay_alu instid0(VALU_DEP_1) | instskip(NEXT) | instid1(VALU_DEP_1)
	v_mul_lo_u32 v3, v5, s4
	v_sub_nc_u32_e32 v3, v4, v3
	s_delay_alu instid0(VALU_DEP_1)
	v_mul_lo_u32 v3, v3, s2
	s_cbranch_scc1 .LBB165_68
; %bb.67:
	s_clause 0x1
	s_load_b128 s[4:7], s[0:1], 0x10
	s_load_b32 s2, s[0:1], 0xc8
	s_waitcnt lgkmcnt(0)
	v_mul_hi_u32 v4, s5, v5
	s_delay_alu instid0(VALU_DEP_1) | instskip(NEXT) | instid1(VALU_DEP_1)
	v_add_nc_u32_e32 v4, v5, v4
	v_lshrrev_b32_e32 v4, s6, v4
	s_delay_alu instid0(VALU_DEP_1) | instskip(NEXT) | instid1(VALU_DEP_1)
	v_mul_lo_u32 v4, v4, s4
	v_sub_nc_u32_e32 v6, v5, v4
	s_delay_alu instid0(VALU_DEP_1) | instskip(NEXT) | instid1(VALU_DEP_1)
	v_mad_u64_u32 v[4:5], null, v6, s2, v[3:4]
	v_mov_b32_e32 v3, v4
.LBB165_68:
	s_clause 0x1
	s_load_b32 s2, s[0:1], 0x110
	s_load_b64 s[0:1], s[0:1], 0x108
	s_waitcnt lgkmcnt(0)
	v_mov_b32_e32 v4, s2
	s_clause 0x3
	global_store_b32 v0, v4, s[0:1]
	global_store_b32 v1, v4, s[0:1]
	;; [unrolled: 1-line block ×4, first 2 shown]
	s_nop 0
	s_sendmsg sendmsg(MSG_DEALLOC_VGPRS)
	s_endpgm
.LBB165_69:
	v_mov_b32_e32 v1, v2
.LBB165_70:
	s_and_b32 s29, s29, 3
	s_delay_alu instid0(SALU_CYCLE_1)
	s_cmp_eq_u32 s29, 0
	s_cbranch_scc1 .LBB165_73
; %bb.71:
	s_lshl_b32 s14, s28, 2
	s_mul_i32 s16, s28, 12
	s_add_u32 s14, s14, s0
	s_addc_u32 s15, s1, 0
	s_add_u32 s14, s14, 0xc4
	s_addc_u32 s15, s15, 0
	;; [unrolled: 2-line block ×3, first 2 shown]
	.p2align	6
.LBB165_72:                             ; =>This Inner Loop Header: Depth=1
	s_clause 0x1
	s_load_b64 s[30:31], s[16:17], 0x4
	s_load_b32 s28, s[16:17], 0xc
	s_add_u32 s16, s16, 12
	s_addc_u32 s17, s17, 0
	s_waitcnt lgkmcnt(0)
	v_mul_hi_u32 v3, s31, v1
	s_load_b32 s31, s[14:15], 0x0
	s_add_u32 s14, s14, 4
	s_addc_u32 s15, s15, 0
	s_add_i32 s29, s29, -1
	s_delay_alu instid0(SALU_CYCLE_1) | instskip(NEXT) | instid1(VALU_DEP_1)
	s_cmp_lg_u32 s29, 0
	v_add_nc_u32_e32 v3, v1, v3
	s_delay_alu instid0(VALU_DEP_1) | instskip(NEXT) | instid1(VALU_DEP_1)
	v_lshrrev_b32_e32 v5, s28, v3
	v_mul_lo_u32 v3, v5, s30
	s_delay_alu instid0(VALU_DEP_1) | instskip(SKIP_1) | instid1(VALU_DEP_1)
	v_sub_nc_u32_e32 v1, v1, v3
	s_waitcnt lgkmcnt(0)
	v_mad_u64_u32 v[3:4], null, v1, s31, v[0:1]
	s_delay_alu instid0(VALU_DEP_1)
	v_dual_mov_b32 v1, v5 :: v_dual_mov_b32 v0, v3
	s_cbranch_scc1 .LBB165_72
.LBB165_73:
	s_cbranch_execnz .LBB165_76
.LBB165_74:
	s_waitcnt lgkmcnt(0)
	v_mul_hi_u32 v0, s5, v2
	s_and_not1_b32 vcc_lo, exec_lo, s23
	s_delay_alu instid0(VALU_DEP_1) | instskip(NEXT) | instid1(VALU_DEP_1)
	v_add_nc_u32_e32 v0, v2, v0
	v_lshrrev_b32_e32 v1, s6, v0
	s_delay_alu instid0(VALU_DEP_1) | instskip(NEXT) | instid1(VALU_DEP_1)
	v_mul_lo_u32 v0, v1, s4
	v_sub_nc_u32_e32 v0, v2, v0
	s_delay_alu instid0(VALU_DEP_1)
	v_mul_lo_u32 v0, v0, s8
	s_cbranch_vccnz .LBB165_76
; %bb.75:
	v_mul_hi_u32 v3, s10, v1
	s_delay_alu instid0(VALU_DEP_1) | instskip(NEXT) | instid1(VALU_DEP_1)
	v_add_nc_u32_e32 v3, v1, v3
	v_lshrrev_b32_e32 v3, s11, v3
	s_delay_alu instid0(VALU_DEP_1) | instskip(NEXT) | instid1(VALU_DEP_1)
	v_mul_lo_u32 v3, v3, s7
	v_sub_nc_u32_e32 v1, v1, v3
	s_delay_alu instid0(VALU_DEP_1) | instskip(NEXT) | instid1(VALU_DEP_1)
	v_mad_u64_u32 v[3:4], null, v1, s9, v[0:1]
	v_mov_b32_e32 v0, v3
.LBB165_76:
	s_waitcnt lgkmcnt(0)
	v_dual_mov_b32 v1, s22 :: v_dual_add_nc_u32 v2, 0x80, v2
	global_store_b32 v0, v1, s[2:3]
	s_or_b32 exec_lo, exec_lo, s27
	s_delay_alu instid0(SALU_CYCLE_1)
	s_mov_b32 s27, exec_lo
	v_cmpx_gt_i32_e64 s24, v2
	s_cbranch_execnz .LBB165_15
.LBB165_77:
	s_or_b32 exec_lo, exec_lo, s27
	s_delay_alu instid0(SALU_CYCLE_1)
	s_mov_b32 s27, exec_lo
	v_cmpx_gt_i32_e64 s24, v2
	s_cbranch_execz .LBB165_92
.LBB165_78:
	s_and_not1_b32 vcc_lo, exec_lo, s20
	s_cbranch_vccnz .LBB165_83
; %bb.79:
	v_mov_b32_e32 v0, 0
	s_and_not1_b32 vcc_lo, exec_lo, s26
	s_cbranch_vccnz .LBB165_99
; %bb.80:
	s_add_i32 s29, s25, 1
	s_cmp_eq_u32 s19, 2
	s_mov_b32 s28, 0
	s_cbranch_scc1 .LBB165_95
; %bb.81:
	v_dual_mov_b32 v0, 0 :: v_dual_mov_b32 v1, v2
	s_and_b32 s28, s29, 28
	s_mov_b32 s30, 0
	s_mov_b64 s[14:15], s[0:1]
	s_mov_b64 s[16:17], s[12:13]
.LBB165_82:                             ; =>This Inner Loop Header: Depth=1
	s_clause 0x1
	s_load_b256 s[36:43], s[14:15], 0x4
	s_load_b128 s[44:47], s[14:15], 0x24
	s_load_b128 s[48:51], s[16:17], 0x0
	s_add_u32 s14, s14, 48
	s_addc_u32 s15, s15, 0
	s_add_i32 s30, s30, 4
	s_add_u32 s16, s16, 16
	s_addc_u32 s17, s17, 0
	s_cmp_eq_u32 s28, s30
	s_waitcnt lgkmcnt(0)
	v_mul_hi_u32 v3, s37, v1
	s_delay_alu instid0(VALU_DEP_1) | instskip(NEXT) | instid1(VALU_DEP_1)
	v_add_nc_u32_e32 v3, v1, v3
	v_lshrrev_b32_e32 v3, s38, v3
	s_delay_alu instid0(VALU_DEP_1) | instskip(SKIP_1) | instid1(VALU_DEP_2)
	v_mul_hi_u32 v4, s40, v3
	v_mul_lo_u32 v7, v3, s36
	v_add_nc_u32_e32 v4, v3, v4
	s_delay_alu instid0(VALU_DEP_2) | instskip(NEXT) | instid1(VALU_DEP_2)
	v_sub_nc_u32_e32 v7, v1, v7
	v_lshrrev_b32_e32 v4, s41, v4
	s_delay_alu instid0(VALU_DEP_2) | instskip(NEXT) | instid1(VALU_DEP_2)
	v_mul_lo_u32 v7, v7, s48
	v_mul_hi_u32 v5, s43, v4
	v_mul_lo_u32 v8, v4, s39
	s_delay_alu instid0(VALU_DEP_2) | instskip(NEXT) | instid1(VALU_DEP_2)
	v_add_nc_u32_e32 v5, v4, v5
	v_sub_nc_u32_e32 v3, v3, v8
	s_delay_alu instid0(VALU_DEP_2) | instskip(NEXT) | instid1(VALU_DEP_2)
	v_lshrrev_b32_e32 v5, s44, v5
	v_mul_lo_u32 v3, v3, s49
	s_delay_alu instid0(VALU_DEP_2) | instskip(NEXT) | instid1(VALU_DEP_2)
	v_mul_hi_u32 v6, s46, v5
	v_add3_u32 v0, v7, v0, v3
	s_delay_alu instid0(VALU_DEP_2) | instskip(NEXT) | instid1(VALU_DEP_1)
	v_add_nc_u32_e32 v6, v5, v6
	v_lshrrev_b32_e32 v1, s47, v6
	v_mul_lo_u32 v6, v5, s42
	s_delay_alu instid0(VALU_DEP_2) | instskip(NEXT) | instid1(VALU_DEP_2)
	v_mul_lo_u32 v9, v1, s45
	v_sub_nc_u32_e32 v4, v4, v6
	s_delay_alu instid0(VALU_DEP_2) | instskip(NEXT) | instid1(VALU_DEP_2)
	v_sub_nc_u32_e32 v5, v5, v9
	v_mul_lo_u32 v4, v4, s50
	s_delay_alu instid0(VALU_DEP_2) | instskip(NEXT) | instid1(VALU_DEP_1)
	v_mul_lo_u32 v5, v5, s51
	v_add3_u32 v0, v4, v0, v5
	s_cbranch_scc0 .LBB165_82
	s_branch .LBB165_96
.LBB165_83:
                                        ; implicit-def: $vgpr0
	s_branch .LBB165_100
.LBB165_84:
	v_mov_b32_e32 v1, v2
.LBB165_85:
	s_and_b32 s29, s29, 3
	s_delay_alu instid0(SALU_CYCLE_1)
	s_cmp_eq_u32 s29, 0
	s_cbranch_scc1 .LBB165_88
; %bb.86:
	s_lshl_b32 s14, s28, 2
	s_mul_i32 s16, s28, 12
	s_add_u32 s14, s14, s0
	s_addc_u32 s15, s1, 0
	s_add_u32 s14, s14, 0xc4
	s_addc_u32 s15, s15, 0
	;; [unrolled: 2-line block ×3, first 2 shown]
	.p2align	6
.LBB165_87:                             ; =>This Inner Loop Header: Depth=1
	s_clause 0x1
	s_load_b64 s[30:31], s[16:17], 0x4
	s_load_b32 s28, s[16:17], 0xc
	s_add_u32 s16, s16, 12
	s_addc_u32 s17, s17, 0
	s_waitcnt lgkmcnt(0)
	v_mul_hi_u32 v3, s31, v1
	s_load_b32 s31, s[14:15], 0x0
	s_add_u32 s14, s14, 4
	s_addc_u32 s15, s15, 0
	s_add_i32 s29, s29, -1
	s_delay_alu instid0(SALU_CYCLE_1) | instskip(NEXT) | instid1(VALU_DEP_1)
	s_cmp_lg_u32 s29, 0
	v_add_nc_u32_e32 v3, v1, v3
	s_delay_alu instid0(VALU_DEP_1) | instskip(NEXT) | instid1(VALU_DEP_1)
	v_lshrrev_b32_e32 v5, s28, v3
	v_mul_lo_u32 v3, v5, s30
	s_delay_alu instid0(VALU_DEP_1) | instskip(SKIP_1) | instid1(VALU_DEP_1)
	v_sub_nc_u32_e32 v1, v1, v3
	s_waitcnt lgkmcnt(0)
	v_mad_u64_u32 v[3:4], null, v1, s31, v[0:1]
	s_delay_alu instid0(VALU_DEP_1)
	v_dual_mov_b32 v1, v5 :: v_dual_mov_b32 v0, v3
	s_cbranch_scc1 .LBB165_87
.LBB165_88:
	s_cbranch_execnz .LBB165_91
.LBB165_89:
	s_waitcnt lgkmcnt(0)
	v_mul_hi_u32 v0, s5, v2
	s_and_not1_b32 vcc_lo, exec_lo, s23
	s_delay_alu instid0(VALU_DEP_1) | instskip(NEXT) | instid1(VALU_DEP_1)
	v_add_nc_u32_e32 v0, v2, v0
	v_lshrrev_b32_e32 v1, s6, v0
	s_delay_alu instid0(VALU_DEP_1) | instskip(NEXT) | instid1(VALU_DEP_1)
	v_mul_lo_u32 v0, v1, s4
	v_sub_nc_u32_e32 v0, v2, v0
	s_delay_alu instid0(VALU_DEP_1)
	v_mul_lo_u32 v0, v0, s8
	s_cbranch_vccnz .LBB165_91
; %bb.90:
	v_mul_hi_u32 v3, s10, v1
	s_delay_alu instid0(VALU_DEP_1) | instskip(NEXT) | instid1(VALU_DEP_1)
	v_add_nc_u32_e32 v3, v1, v3
	v_lshrrev_b32_e32 v3, s11, v3
	s_delay_alu instid0(VALU_DEP_1) | instskip(NEXT) | instid1(VALU_DEP_1)
	v_mul_lo_u32 v3, v3, s7
	v_sub_nc_u32_e32 v1, v1, v3
	s_delay_alu instid0(VALU_DEP_1) | instskip(NEXT) | instid1(VALU_DEP_1)
	v_mad_u64_u32 v[3:4], null, v1, s9, v[0:1]
	v_mov_b32_e32 v0, v3
.LBB165_91:
	s_waitcnt lgkmcnt(0)
	v_dual_mov_b32 v1, s22 :: v_dual_add_nc_u32 v2, 0x80, v2
	global_store_b32 v0, v1, s[2:3]
	s_or_b32 exec_lo, exec_lo, s27
	s_delay_alu instid0(SALU_CYCLE_1)
	s_mov_b32 s27, exec_lo
	v_cmpx_gt_i32_e64 s24, v2
	s_cbranch_execnz .LBB165_78
.LBB165_92:
	s_or_b32 exec_lo, exec_lo, s27
	s_delay_alu instid0(SALU_CYCLE_1)
	s_mov_b32 s16, exec_lo
	v_cmpx_gt_i32_e64 s24, v2
	s_cbranch_execnz .LBB165_103
.LBB165_93:
	s_or_b32 exec_lo, exec_lo, s16
                                        ; implicit-def: $vgpr4
                                        ; implicit-def: $vgpr2
	s_waitcnt lgkmcnt(0)
	s_and_not1_saveexec_b32 s2, s21
	s_cbranch_execnz .LBB165_8
.LBB165_94:
	s_nop 0
	s_sendmsg sendmsg(MSG_DEALLOC_VGPRS)
	s_endpgm
.LBB165_95:
	v_mov_b32_e32 v1, v2
.LBB165_96:
	s_and_b32 s29, s29, 3
	s_delay_alu instid0(SALU_CYCLE_1)
	s_cmp_eq_u32 s29, 0
	s_cbranch_scc1 .LBB165_99
; %bb.97:
	s_lshl_b32 s14, s28, 2
	s_mul_i32 s16, s28, 12
	s_add_u32 s14, s14, s0
	s_addc_u32 s15, s1, 0
	s_add_u32 s14, s14, 0xc4
	s_addc_u32 s15, s15, 0
	;; [unrolled: 2-line block ×3, first 2 shown]
	.p2align	6
.LBB165_98:                             ; =>This Inner Loop Header: Depth=1
	s_clause 0x1
	s_load_b64 s[30:31], s[16:17], 0x4
	s_load_b32 s28, s[16:17], 0xc
	s_add_u32 s16, s16, 12
	s_addc_u32 s17, s17, 0
	s_waitcnt lgkmcnt(0)
	v_mul_hi_u32 v3, s31, v1
	s_load_b32 s31, s[14:15], 0x0
	s_add_u32 s14, s14, 4
	s_addc_u32 s15, s15, 0
	s_add_i32 s29, s29, -1
	s_delay_alu instid0(SALU_CYCLE_1) | instskip(NEXT) | instid1(VALU_DEP_1)
	s_cmp_lg_u32 s29, 0
	v_add_nc_u32_e32 v3, v1, v3
	s_delay_alu instid0(VALU_DEP_1) | instskip(NEXT) | instid1(VALU_DEP_1)
	v_lshrrev_b32_e32 v5, s28, v3
	v_mul_lo_u32 v3, v5, s30
	s_delay_alu instid0(VALU_DEP_1) | instskip(SKIP_1) | instid1(VALU_DEP_1)
	v_sub_nc_u32_e32 v1, v1, v3
	s_waitcnt lgkmcnt(0)
	v_mad_u64_u32 v[3:4], null, v1, s31, v[0:1]
	s_delay_alu instid0(VALU_DEP_1)
	v_dual_mov_b32 v1, v5 :: v_dual_mov_b32 v0, v3
	s_cbranch_scc1 .LBB165_98
.LBB165_99:
	s_cbranch_execnz .LBB165_102
.LBB165_100:
	s_waitcnt lgkmcnt(0)
	v_mul_hi_u32 v0, s5, v2
	s_and_not1_b32 vcc_lo, exec_lo, s23
	s_delay_alu instid0(VALU_DEP_1) | instskip(NEXT) | instid1(VALU_DEP_1)
	v_add_nc_u32_e32 v0, v2, v0
	v_lshrrev_b32_e32 v1, s6, v0
	s_delay_alu instid0(VALU_DEP_1) | instskip(NEXT) | instid1(VALU_DEP_1)
	v_mul_lo_u32 v0, v1, s4
	v_sub_nc_u32_e32 v0, v2, v0
	s_delay_alu instid0(VALU_DEP_1)
	v_mul_lo_u32 v0, v0, s8
	s_cbranch_vccnz .LBB165_102
; %bb.101:
	v_mul_hi_u32 v3, s10, v1
	s_delay_alu instid0(VALU_DEP_1) | instskip(NEXT) | instid1(VALU_DEP_1)
	v_add_nc_u32_e32 v3, v1, v3
	v_lshrrev_b32_e32 v3, s11, v3
	s_delay_alu instid0(VALU_DEP_1) | instskip(NEXT) | instid1(VALU_DEP_1)
	v_mul_lo_u32 v3, v3, s7
	v_sub_nc_u32_e32 v1, v1, v3
	s_delay_alu instid0(VALU_DEP_1) | instskip(NEXT) | instid1(VALU_DEP_1)
	v_mad_u64_u32 v[3:4], null, v1, s9, v[0:1]
	v_mov_b32_e32 v0, v3
.LBB165_102:
	s_waitcnt lgkmcnt(0)
	v_dual_mov_b32 v1, s22 :: v_dual_add_nc_u32 v2, 0x80, v2
	global_store_b32 v0, v1, s[2:3]
	s_or_b32 exec_lo, exec_lo, s27
	s_delay_alu instid0(SALU_CYCLE_1)
	s_mov_b32 s16, exec_lo
	v_cmpx_gt_i32_e64 s24, v2
	s_cbranch_execz .LBB165_93
.LBB165_103:
	s_and_not1_b32 vcc_lo, exec_lo, s20
	s_cbranch_vccnz .LBB165_108
; %bb.104:
	v_mov_b32_e32 v0, 0
	s_and_not1_b32 vcc_lo, exec_lo, s26
	s_cbranch_vccnz .LBB165_113
; %bb.105:
	s_add_i32 s25, s25, 1
	s_cmp_eq_u32 s19, 2
	s_mov_b32 s17, 0
	s_cbranch_scc1 .LBB165_109
; %bb.106:
	v_dual_mov_b32 v0, 0 :: v_dual_mov_b32 v1, v2
	s_and_b32 s17, s25, 28
	s_mov_b32 s24, 0
	s_mov_b64 s[14:15], s[0:1]
.LBB165_107:                            ; =>This Inner Loop Header: Depth=1
	s_clause 0x1
	s_load_b256 s[36:43], s[14:15], 0x4
	s_load_b128 s[28:31], s[14:15], 0x24
	s_load_b128 s[44:47], s[12:13], 0x0
	s_add_u32 s14, s14, 48
	s_addc_u32 s15, s15, 0
	s_add_i32 s24, s24, 4
	s_add_u32 s12, s12, 16
	s_addc_u32 s13, s13, 0
	s_cmp_eq_u32 s17, s24
	s_waitcnt lgkmcnt(0)
	v_mul_hi_u32 v3, s37, v1
	s_delay_alu instid0(VALU_DEP_1) | instskip(NEXT) | instid1(VALU_DEP_1)
	v_add_nc_u32_e32 v3, v1, v3
	v_lshrrev_b32_e32 v3, s38, v3
	s_delay_alu instid0(VALU_DEP_1) | instskip(SKIP_1) | instid1(VALU_DEP_2)
	v_mul_hi_u32 v4, s40, v3
	v_mul_lo_u32 v7, v3, s36
	v_add_nc_u32_e32 v4, v3, v4
	s_delay_alu instid0(VALU_DEP_2) | instskip(NEXT) | instid1(VALU_DEP_2)
	v_sub_nc_u32_e32 v7, v1, v7
	v_lshrrev_b32_e32 v4, s41, v4
	s_delay_alu instid0(VALU_DEP_2) | instskip(NEXT) | instid1(VALU_DEP_2)
	v_mul_lo_u32 v7, v7, s44
	v_mul_hi_u32 v5, s43, v4
	v_mul_lo_u32 v8, v4, s39
	s_delay_alu instid0(VALU_DEP_2) | instskip(NEXT) | instid1(VALU_DEP_2)
	v_add_nc_u32_e32 v5, v4, v5
	v_sub_nc_u32_e32 v3, v3, v8
	s_delay_alu instid0(VALU_DEP_2) | instskip(NEXT) | instid1(VALU_DEP_2)
	v_lshrrev_b32_e32 v5, s28, v5
	v_mul_lo_u32 v3, v3, s45
	s_delay_alu instid0(VALU_DEP_2) | instskip(NEXT) | instid1(VALU_DEP_2)
	v_mul_hi_u32 v6, s30, v5
	v_add3_u32 v0, v7, v0, v3
	s_delay_alu instid0(VALU_DEP_2) | instskip(NEXT) | instid1(VALU_DEP_1)
	v_add_nc_u32_e32 v6, v5, v6
	v_lshrrev_b32_e32 v1, s31, v6
	v_mul_lo_u32 v6, v5, s42
	s_delay_alu instid0(VALU_DEP_2) | instskip(NEXT) | instid1(VALU_DEP_2)
	v_mul_lo_u32 v9, v1, s29
	v_sub_nc_u32_e32 v4, v4, v6
	s_delay_alu instid0(VALU_DEP_2) | instskip(NEXT) | instid1(VALU_DEP_2)
	v_sub_nc_u32_e32 v5, v5, v9
	v_mul_lo_u32 v4, v4, s46
	s_delay_alu instid0(VALU_DEP_2) | instskip(NEXT) | instid1(VALU_DEP_1)
	v_mul_lo_u32 v5, v5, s47
	v_add3_u32 v0, v4, v0, v5
	s_cbranch_scc0 .LBB165_107
	s_branch .LBB165_110
.LBB165_108:
                                        ; implicit-def: $vgpr0
	s_branch .LBB165_114
.LBB165_109:
	v_mov_b32_e32 v1, v2
.LBB165_110:
	s_and_b32 s24, s25, 3
	s_delay_alu instid0(SALU_CYCLE_1)
	s_cmp_eq_u32 s24, 0
	s_cbranch_scc1 .LBB165_113
; %bb.111:
	s_lshl_b32 s12, s17, 2
	s_mul_i32 s14, s17, 12
	s_add_u32 s12, s12, s0
	s_addc_u32 s13, s1, 0
	s_add_u32 s12, s12, 0xc4
	s_addc_u32 s13, s13, 0
	;; [unrolled: 2-line block ×3, first 2 shown]
	.p2align	6
.LBB165_112:                            ; =>This Inner Loop Header: Depth=1
	s_clause 0x1
	s_load_b64 s[26:27], s[14:15], 0x4
	s_load_b32 s17, s[14:15], 0xc
	s_load_b32 s25, s[12:13], 0x0
	s_add_u32 s14, s14, 12
	s_addc_u32 s15, s15, 0
	s_add_u32 s12, s12, 4
	s_addc_u32 s13, s13, 0
	s_add_i32 s24, s24, -1
	s_delay_alu instid0(SALU_CYCLE_1) | instskip(SKIP_2) | instid1(VALU_DEP_1)
	s_cmp_lg_u32 s24, 0
	s_waitcnt lgkmcnt(0)
	v_mul_hi_u32 v3, s27, v1
	v_add_nc_u32_e32 v3, v1, v3
	s_delay_alu instid0(VALU_DEP_1) | instskip(NEXT) | instid1(VALU_DEP_1)
	v_lshrrev_b32_e32 v5, s17, v3
	v_mul_lo_u32 v3, v5, s26
	s_delay_alu instid0(VALU_DEP_1) | instskip(NEXT) | instid1(VALU_DEP_1)
	v_sub_nc_u32_e32 v1, v1, v3
	v_mad_u64_u32 v[3:4], null, v1, s25, v[0:1]
	s_delay_alu instid0(VALU_DEP_1)
	v_dual_mov_b32 v1, v5 :: v_dual_mov_b32 v0, v3
	s_cbranch_scc1 .LBB165_112
.LBB165_113:
	s_cbranch_execnz .LBB165_116
.LBB165_114:
	s_waitcnt lgkmcnt(0)
	v_mul_hi_u32 v0, s5, v2
	s_and_not1_b32 vcc_lo, exec_lo, s23
	s_delay_alu instid0(VALU_DEP_1) | instskip(NEXT) | instid1(VALU_DEP_1)
	v_add_nc_u32_e32 v0, v2, v0
	v_lshrrev_b32_e32 v1, s6, v0
	s_delay_alu instid0(VALU_DEP_1) | instskip(NEXT) | instid1(VALU_DEP_1)
	v_mul_lo_u32 v0, v1, s4
	v_sub_nc_u32_e32 v0, v2, v0
	s_delay_alu instid0(VALU_DEP_1)
	v_mul_lo_u32 v0, v0, s8
	s_cbranch_vccnz .LBB165_116
; %bb.115:
	v_mul_hi_u32 v2, s10, v1
	s_delay_alu instid0(VALU_DEP_1) | instskip(NEXT) | instid1(VALU_DEP_1)
	v_add_nc_u32_e32 v2, v1, v2
	v_lshrrev_b32_e32 v2, s11, v2
	s_delay_alu instid0(VALU_DEP_1) | instskip(NEXT) | instid1(VALU_DEP_1)
	v_mul_lo_u32 v2, v2, s7
	v_sub_nc_u32_e32 v3, v1, v2
	s_delay_alu instid0(VALU_DEP_1) | instskip(NEXT) | instid1(VALU_DEP_1)
	v_mad_u64_u32 v[1:2], null, v3, s9, v[0:1]
	v_mov_b32_e32 v0, v1
.LBB165_116:
	s_waitcnt lgkmcnt(0)
	v_mov_b32_e32 v1, s22
	global_store_b32 v0, v1, s[2:3]
	s_or_b32 exec_lo, exec_lo, s16
                                        ; implicit-def: $vgpr4
                                        ; implicit-def: $vgpr2
	s_and_not1_saveexec_b32 s2, s21
	s_cbranch_execz .LBB165_94
	s_branch .LBB165_8
	.section	.rodata,"a",@progbits
	.p2align	6, 0x0
	.amdhsa_kernel _ZN2at6native32elementwise_kernel_manual_unrollILi128ELi4EZNS0_22gpu_kernel_impl_nocastINS0_11FillFunctorIjEEEEvRNS_18TensorIteratorBaseERKT_EUlibE_EEviT1_
		.amdhsa_group_segment_fixed_size 0
		.amdhsa_private_segment_fixed_size 0
		.amdhsa_kernarg_size 288
		.amdhsa_user_sgpr_count 15
		.amdhsa_user_sgpr_dispatch_ptr 0
		.amdhsa_user_sgpr_queue_ptr 0
		.amdhsa_user_sgpr_kernarg_segment_ptr 1
		.amdhsa_user_sgpr_dispatch_id 0
		.amdhsa_user_sgpr_private_segment_size 0
		.amdhsa_wavefront_size32 1
		.amdhsa_uses_dynamic_stack 0
		.amdhsa_enable_private_segment 0
		.amdhsa_system_sgpr_workgroup_id_x 1
		.amdhsa_system_sgpr_workgroup_id_y 0
		.amdhsa_system_sgpr_workgroup_id_z 0
		.amdhsa_system_sgpr_workgroup_info 0
		.amdhsa_system_vgpr_workitem_id 0
		.amdhsa_next_free_vgpr 14
		.amdhsa_next_free_sgpr 52
		.amdhsa_reserve_vcc 1
		.amdhsa_float_round_mode_32 0
		.amdhsa_float_round_mode_16_64 0
		.amdhsa_float_denorm_mode_32 3
		.amdhsa_float_denorm_mode_16_64 3
		.amdhsa_dx10_clamp 1
		.amdhsa_ieee_mode 1
		.amdhsa_fp16_overflow 0
		.amdhsa_workgroup_processor_mode 1
		.amdhsa_memory_ordered 1
		.amdhsa_forward_progress 0
		.amdhsa_shared_vgpr_count 0
		.amdhsa_exception_fp_ieee_invalid_op 0
		.amdhsa_exception_fp_denorm_src 0
		.amdhsa_exception_fp_ieee_div_zero 0
		.amdhsa_exception_fp_ieee_overflow 0
		.amdhsa_exception_fp_ieee_underflow 0
		.amdhsa_exception_fp_ieee_inexact 0
		.amdhsa_exception_int_div_zero 0
	.end_amdhsa_kernel
	.section	.text._ZN2at6native32elementwise_kernel_manual_unrollILi128ELi4EZNS0_22gpu_kernel_impl_nocastINS0_11FillFunctorIjEEEEvRNS_18TensorIteratorBaseERKT_EUlibE_EEviT1_,"axG",@progbits,_ZN2at6native32elementwise_kernel_manual_unrollILi128ELi4EZNS0_22gpu_kernel_impl_nocastINS0_11FillFunctorIjEEEEvRNS_18TensorIteratorBaseERKT_EUlibE_EEviT1_,comdat
.Lfunc_end165:
	.size	_ZN2at6native32elementwise_kernel_manual_unrollILi128ELi4EZNS0_22gpu_kernel_impl_nocastINS0_11FillFunctorIjEEEEvRNS_18TensorIteratorBaseERKT_EUlibE_EEviT1_, .Lfunc_end165-_ZN2at6native32elementwise_kernel_manual_unrollILi128ELi4EZNS0_22gpu_kernel_impl_nocastINS0_11FillFunctorIjEEEEvRNS_18TensorIteratorBaseERKT_EUlibE_EEviT1_
                                        ; -- End function
	.section	.AMDGPU.csdata,"",@progbits
; Kernel info:
; codeLenInByte = 5924
; NumSgprs: 54
; NumVgprs: 14
; ScratchSize: 0
; MemoryBound: 0
; FloatMode: 240
; IeeeMode: 1
; LDSByteSize: 0 bytes/workgroup (compile time only)
; SGPRBlocks: 6
; VGPRBlocks: 1
; NumSGPRsForWavesPerEU: 54
; NumVGPRsForWavesPerEU: 14
; Occupancy: 16
; WaveLimiterHint : 1
; COMPUTE_PGM_RSRC2:SCRATCH_EN: 0
; COMPUTE_PGM_RSRC2:USER_SGPR: 15
; COMPUTE_PGM_RSRC2:TRAP_HANDLER: 0
; COMPUTE_PGM_RSRC2:TGID_X_EN: 1
; COMPUTE_PGM_RSRC2:TGID_Y_EN: 0
; COMPUTE_PGM_RSRC2:TGID_Z_EN: 0
; COMPUTE_PGM_RSRC2:TIDIG_COMP_CNT: 0
	.section	.text._ZN2at6native32elementwise_kernel_manual_unrollILi128ELi4EZNS0_15gpu_kernel_implINS0_11FillFunctorIjEEEEvRNS_18TensorIteratorBaseERKT_EUlibE_EEviT1_,"axG",@progbits,_ZN2at6native32elementwise_kernel_manual_unrollILi128ELi4EZNS0_15gpu_kernel_implINS0_11FillFunctorIjEEEEvRNS_18TensorIteratorBaseERKT_EUlibE_EEviT1_,comdat
	.protected	_ZN2at6native32elementwise_kernel_manual_unrollILi128ELi4EZNS0_15gpu_kernel_implINS0_11FillFunctorIjEEEEvRNS_18TensorIteratorBaseERKT_EUlibE_EEviT1_ ; -- Begin function _ZN2at6native32elementwise_kernel_manual_unrollILi128ELi4EZNS0_15gpu_kernel_implINS0_11FillFunctorIjEEEEvRNS_18TensorIteratorBaseERKT_EUlibE_EEviT1_
	.globl	_ZN2at6native32elementwise_kernel_manual_unrollILi128ELi4EZNS0_15gpu_kernel_implINS0_11FillFunctorIjEEEEvRNS_18TensorIteratorBaseERKT_EUlibE_EEviT1_
	.p2align	8
	.type	_ZN2at6native32elementwise_kernel_manual_unrollILi128ELi4EZNS0_15gpu_kernel_implINS0_11FillFunctorIjEEEEvRNS_18TensorIteratorBaseERKT_EUlibE_EEviT1_,@function
_ZN2at6native32elementwise_kernel_manual_unrollILi128ELi4EZNS0_15gpu_kernel_implINS0_11FillFunctorIjEEEEvRNS_18TensorIteratorBaseERKT_EUlibE_EEviT1_: ; @_ZN2at6native32elementwise_kernel_manual_unrollILi128ELi4EZNS0_15gpu_kernel_implINS0_11FillFunctorIjEEEEvRNS_18TensorIteratorBaseERKT_EUlibE_EEviT1_
; %bb.0:
	s_clause 0x2
	s_load_b32 s21, s[0:1], 0x0
	s_load_b128 s[16:19], s[0:1], 0x8
	s_load_b32 s13, s[0:1], 0x18
	v_lshl_or_b32 v23, s15, 9, v0
	s_mov_b32 s12, 0
	s_mov_b32 s1, 0
	s_mov_b32 s0, exec_lo
	s_delay_alu instid0(VALU_DEP_1) | instskip(SKIP_1) | instid1(VALU_DEP_1)
	v_or_b32_e32 v0, 0x180, v23
	s_waitcnt lgkmcnt(0)
	v_cmpx_le_i32_e64 s21, v0
	s_xor_b32 s14, exec_lo, s0
	s_cbranch_execz .LBB166_151
; %bb.1:
	v_cvt_f32_u32_e32 v4, s19
	s_mov_b32 s24, 0
	s_mov_b32 s10, s19
	;; [unrolled: 1-line block ×3, first 2 shown]
	s_mov_b32 s25, -1
	v_lshrrev_b32_e32 v0, 23, v4
	v_and_b32_e32 v1, 0x3fffff, v4
	v_and_b32_e32 v2, 0x400000, v4
	v_bfe_u32 v3, v4, 20, 1
	v_bfe_u32 v6, v4, 16, 1
	v_add_f32_e32 v17, 0x46800000, v4
	v_or_b32_e32 v1, v0, v1
	v_cmp_ne_u32_e32 vcc_lo, 0, v2
	v_add_nc_u32_e32 v2, v4, v3
	v_cmp_eq_u32_e64 s8, 0xff, v0
	v_add_f32_e32 v12, 0x42800000, v4
	v_cmp_ne_u32_e64 s0, 0, v1
	v_bfe_u32 v1, v4, 21, 1
	v_add_nc_u32_e32 v3, 0x487ffff, v2
	v_add_f32_e32 v20, 0x46000000, v4
	v_add_nc_u32_e32 v2, 0x407ffff, v2
	s_and_b32 s0, vcc_lo, s0
	v_cvt_f16_f32_e32 v8, v4
	v_cndmask_b32_e64 v5, 0, 1, s0
	v_lshrrev_b32_e32 v21, 20, v3
	v_add_nc_u32_e32 v3, v4, v1
	v_readfirstlane_b32 s1, v20
	v_cmp_gt_u32_e64 s7, 0x43800000, v4
	v_add_nc_u32_e32 v22, v0, v5
	v_cvt_f64_u32_e32 v[0:1], s19
	v_add_nc_u32_e32 v5, 0x88fffff, v3
	s_and_b32 s1, s1, 0xff
	v_cmp_lt_u32_e64 s6, 0x3bffffff, v4
	s_cmp_lg_u32 s1, 0
	v_cmp_lt_u32_e64 s0, 0x477fffff, v4
	v_lshrrev_b32_e32 v19, 21, v5
	v_and_b32_e32 v5, 0xff00000, v2
	v_lshrrev_b32_e32 v2, 20, v2
	s_cselect_b32 s20, -1, 0
	v_cmp_gt_u32_e64 s5, 0x47800000, v4
	v_cmp_lt_u32_e64 s4, 0x37ffffff, v4
	v_cmp_ne_u32_e32 vcc_lo, 0x7f00000, v5
	v_add_nc_u32_e32 v5, v4, v6
	v_readfirstlane_b32 s1, v12
	v_cmp_lt_u32_e64 s2, 0x43efffff, v4
	v_cmp_gt_u32_e64 s3, 0x3c800000, v4
	v_cndmask_b32_e32 v16, 0x7e, v2, vcc_lo
	v_add_nc_u32_e32 v2, 0x80fffff, v3
	v_mov_b32_e32 v3, 0x7f
	s_and_b32 s1, s1, 0xff
	v_cmp_lt_u32_e32 vcc_lo, 0x7f800000, v4
	s_cmp_lg_u32 s1, 0
	v_lshrrev_b32_e32 v13, 21, v2
	v_add_nc_u32_e32 v2, 0x7fff, v5
	s_cselect_b32 s15, -1, 0
	s_cmp_lg_u32 s19, 0
	v_cmp_gt_u32_e64 s1, 0x38800000, v4
	s_cselect_b32 s9, -1, 0
	v_cndmask_b32_e32 v18, 0x7e, v3, vcc_lo
	v_add_f32_e32 v14, 0x43000000, v4
	v_cndmask_b32_e32 v15, 0x7c, v3, vcc_lo
	v_lshrrev_b32_e32 v11, 16, v2
	v_cndmask_b32_e64 v10, 0, 1, s9
	v_and_b32_e32 v9, 0xffff, v8
	s_mov_b32 s22, 0
	s_mov_b32 s23, exec_lo
	v_cmpx_gt_i32_e64 s21, v23
	s_cbranch_execz .LBB166_100
; %bb.2:
	v_mul_lo_u32 v2, v23, s18
	v_and_b32_e64 v24, 0xff, s13
	s_delay_alu instid0(VALU_DEP_1) | instskip(NEXT) | instid1(VALU_DEP_3)
	v_cmp_gt_i16_e32 vcc_lo, 11, v24
	v_ashrrev_i32_e32 v3, 31, v2
	v_add_co_u32 v6, s9, s16, v2
	s_delay_alu instid0(VALU_DEP_1)
	v_add_co_ci_u32_e64 v7, s9, s17, v3, s9
	s_cbranch_vccnz .LBB166_9
; %bb.3:
	v_cmp_lt_i16_e32 vcc_lo, 25, v24
	s_cbranch_vccz .LBB166_12
; %bb.4:
	v_cmp_lt_i16_e32 vcc_lo, 28, v24
	s_cbranch_vccz .LBB166_13
	;; [unrolled: 3-line block ×4, first 2 shown]
; %bb.7:
	v_cmp_eq_u16_e32 vcc_lo, 46, v24
	s_mov_b32 s25, 0
	s_mov_b32 s9, -1
	s_cbranch_vccz .LBB166_16
; %bb.8:
	s_mov_b32 s22, -1
	s_mov_b32 s9, 0
	global_store_b32 v[6:7], v11, off
	s_branch .LBB166_16
.LBB166_9:
	s_mov_b32 s9, 0
	s_and_b32 vcc_lo, exec_lo, s25
	s_cbranch_vccnz .LBB166_60
.LBB166_10:
	s_and_not1_b32 vcc_lo, exec_lo, s22
	s_cbranch_vccnz .LBB166_98
.LBB166_11:
	v_add_nc_u32_e32 v23, 0x80, v23
	s_mov_b32 s25, -1
	s_branch .LBB166_99
.LBB166_12:
	s_mov_b32 s9, 0
	s_and_b32 vcc_lo, exec_lo, s25
	s_cbranch_vccnz .LBB166_38
	s_branch .LBB166_59
.LBB166_13:
	s_mov_b32 s9, 0
	s_branch .LBB166_24
.LBB166_14:
	s_mov_b32 s9, 0
	s_branch .LBB166_20
.LBB166_15:
	s_mov_b32 s9, 0
.LBB166_16:
	s_and_b32 vcc_lo, exec_lo, s25
	s_cbranch_vccz .LBB166_19
; %bb.17:
	v_cmp_eq_u16_e32 vcc_lo, 44, v24
	s_mov_b32 s9, -1
	s_cbranch_vccz .LBB166_19
; %bb.18:
	v_cndmask_b32_e64 v2, v22, 0xff, s8
	s_mov_b32 s22, -1
	s_mov_b32 s9, 0
	s_mov_b32 s25, 0
	global_store_b8 v[6:7], v2, off
	s_branch .LBB166_20
.LBB166_19:
	s_mov_b32 s25, 0
.LBB166_20:
	s_delay_alu instid0(SALU_CYCLE_1)
	s_and_b32 vcc_lo, exec_lo, s25
	s_cbranch_vccz .LBB166_23
; %bb.21:
	v_cmp_eq_u16_e32 vcc_lo, 29, v24
	s_mov_b32 s9, -1
	s_cbranch_vccz .LBB166_23
; %bb.22:
	v_dual_mov_b32 v2, s10 :: v_dual_mov_b32 v3, s11
	s_mov_b32 s22, -1
	s_mov_b32 s9, 0
	s_mov_b32 s25, 0
	global_store_b64 v[6:7], v[2:3], off
	s_branch .LBB166_24
.LBB166_23:
	s_mov_b32 s25, 0
.LBB166_24:
	s_delay_alu instid0(SALU_CYCLE_1)
	s_and_b32 vcc_lo, exec_lo, s25
	s_cbranch_vccz .LBB166_37
; %bb.25:
	v_cmp_gt_i16_e32 vcc_lo, 27, v24
	s_mov_b32 s22, -1
	s_cbranch_vccnz .LBB166_31
; %bb.26:
	v_cmp_lt_i16_e32 vcc_lo, 27, v24
	s_cbranch_vccz .LBB166_28
; %bb.27:
	v_mov_b32_e32 v2, s19
	s_mov_b32 s22, 0
	global_store_b32 v[6:7], v2, off
.LBB166_28:
	s_and_not1_b32 vcc_lo, exec_lo, s22
	s_cbranch_vccnz .LBB166_30
; %bb.29:
	v_mov_b32_e32 v2, s19
	global_store_b16 v[6:7], v2, off
.LBB166_30:
	s_mov_b32 s22, 0
.LBB166_31:
	s_delay_alu instid0(SALU_CYCLE_1)
	s_and_not1_b32 vcc_lo, exec_lo, s22
	s_cbranch_vccnz .LBB166_36
; %bb.32:
	v_mov_b32_e32 v2, 0x80
	s_and_not1_b32 vcc_lo, exec_lo, s7
	s_cbranch_vccnz .LBB166_35
; %bb.33:
	v_mov_b32_e32 v2, 0
	s_or_b32 s22, s6, s20
	s_delay_alu instid0(SALU_CYCLE_1)
	s_and_not1_b32 vcc_lo, exec_lo, s22
	s_cbranch_vccnz .LBB166_35
; %bb.34:
	v_cndmask_b32_e64 v2, v20, v21, s6
.LBB166_35:
	global_store_b8 v[6:7], v2, off
.LBB166_36:
	s_mov_b32 s22, -1
.LBB166_37:
	s_branch .LBB166_59
.LBB166_38:
	v_cmp_lt_i16_e32 vcc_lo, 22, v24
	s_mov_b32 s25, -1
	s_cbranch_vccz .LBB166_51
; %bb.39:
	v_cmp_gt_i16_e32 vcc_lo, 24, v24
	s_mov_b32 s22, -1
	s_cbranch_vccnz .LBB166_48
; %bb.40:
	v_cmp_lt_i16_e32 vcc_lo, 24, v24
	s_cbranch_vccz .LBB166_45
; %bb.41:
	v_mov_b32_e32 v2, 0x80
	s_and_not1_b32 vcc_lo, exec_lo, s5
	s_cbranch_vccnz .LBB166_44
; %bb.42:
	v_mov_b32_e32 v2, 0
	s_or_b32 s22, s4, s15
	s_delay_alu instid0(SALU_CYCLE_1)
	s_and_not1_b32 vcc_lo, exec_lo, s22
	s_cbranch_vccnz .LBB166_44
; %bb.43:
	v_cndmask_b32_e64 v2, v12, v19, s4
.LBB166_44:
	s_mov_b32 s22, 0
	global_store_b8 v[6:7], v2, off
.LBB166_45:
	s_and_b32 vcc_lo, exec_lo, s22
	s_cbranch_vccz .LBB166_47
; %bb.46:
	v_cndmask_b32_e64 v2, v16, v17, s3
	s_delay_alu instid0(VALU_DEP_1)
	v_cndmask_b32_e64 v2, v2, v18, s2
	global_store_b8 v[6:7], v2, off
.LBB166_47:
	s_mov_b32 s22, 0
.LBB166_48:
	s_delay_alu instid0(SALU_CYCLE_1)
	s_and_not1_b32 vcc_lo, exec_lo, s22
	s_cbranch_vccnz .LBB166_50
; %bb.49:
	v_cndmask_b32_e64 v2, v13, v14, s1
	s_delay_alu instid0(VALU_DEP_1)
	v_cndmask_b32_e64 v2, v2, v15, s0
	global_store_b8 v[6:7], v2, off
.LBB166_50:
	s_mov_b32 s25, 0
	s_mov_b32 s22, -1
.LBB166_51:
	s_and_not1_b32 vcc_lo, exec_lo, s25
	s_cbranch_vccnz .LBB166_59
; %bb.52:
	v_cmp_lt_i16_e32 vcc_lo, 14, v24
	s_mov_b32 s25, -1
	s_cbranch_vccz .LBB166_56
; %bb.53:
	v_cmp_eq_u16_e32 vcc_lo, 15, v24
	s_mov_b32 s9, -1
	s_cbranch_vccz .LBB166_55
; %bb.54:
	s_mov_b32 s22, -1
	s_mov_b32 s9, 0
	global_store_b16 v[6:7], v11, off
.LBB166_55:
	s_mov_b32 s25, 0
.LBB166_56:
	s_delay_alu instid0(SALU_CYCLE_1)
	s_and_b32 vcc_lo, exec_lo, s25
	s_cbranch_vccz .LBB166_59
; %bb.57:
	v_cmp_eq_u16_e32 vcc_lo, 11, v24
	s_mov_b32 s9, -1
	s_cbranch_vccz .LBB166_59
; %bb.58:
	s_mov_b32 s22, -1
	s_mov_b32 s9, 0
	global_store_b8 v[6:7], v10, off
.LBB166_59:
	s_branch .LBB166_10
.LBB166_60:
	v_cmp_gt_i16_e32 vcc_lo, 5, v24
	s_mov_b32 s22, -1
	s_cbranch_vccnz .LBB166_81
; %bb.61:
	v_cmp_gt_i16_e32 vcc_lo, 8, v24
	s_cbranch_vccnz .LBB166_71
; %bb.62:
	v_cmp_gt_i16_e32 vcc_lo, 9, v24
	s_cbranch_vccnz .LBB166_68
; %bb.63:
	v_cmp_lt_i16_e32 vcc_lo, 9, v24
	s_cbranch_vccz .LBB166_65
; %bb.64:
	v_mov_b32_e32 v2, 0
	s_mov_b32 s22, 0
	s_delay_alu instid0(VALU_DEP_1)
	v_mov_b32_e32 v3, v2
	global_store_b128 v[6:7], v[0:3], off
.LBB166_65:
	s_and_not1_b32 vcc_lo, exec_lo, s22
	s_cbranch_vccnz .LBB166_67
; %bb.66:
	v_mov_b32_e32 v5, 0
	global_store_b64 v[6:7], v[4:5], off
.LBB166_67:
	s_mov_b32 s22, 0
.LBB166_68:
	s_delay_alu instid0(SALU_CYCLE_1)
	s_and_not1_b32 vcc_lo, exec_lo, s22
	s_cbranch_vccnz .LBB166_70
; %bb.69:
	global_store_b32 v[6:7], v9, off
.LBB166_70:
	s_mov_b32 s22, 0
.LBB166_71:
	s_delay_alu instid0(SALU_CYCLE_1)
	s_and_not1_b32 vcc_lo, exec_lo, s22
	s_cbranch_vccnz .LBB166_80
; %bb.72:
	v_cmp_gt_i16_e32 vcc_lo, 6, v24
	s_mov_b32 s22, -1
	s_cbranch_vccnz .LBB166_78
; %bb.73:
	v_cmp_lt_i16_e32 vcc_lo, 6, v24
	s_cbranch_vccz .LBB166_75
; %bb.74:
	s_mov_b32 s22, 0
	global_store_b64 v[6:7], v[0:1], off
.LBB166_75:
	s_and_not1_b32 vcc_lo, exec_lo, s22
	s_cbranch_vccnz .LBB166_77
; %bb.76:
	global_store_b32 v[6:7], v4, off
.LBB166_77:
	s_mov_b32 s22, 0
.LBB166_78:
	s_delay_alu instid0(SALU_CYCLE_1)
	s_and_not1_b32 vcc_lo, exec_lo, s22
	s_cbranch_vccnz .LBB166_80
; %bb.79:
	global_store_b16 v[6:7], v8, off
.LBB166_80:
	s_mov_b32 s22, 0
.LBB166_81:
	s_delay_alu instid0(SALU_CYCLE_1)
	s_and_not1_b32 vcc_lo, exec_lo, s22
	s_cbranch_vccnz .LBB166_97
; %bb.82:
	v_cmp_gt_i16_e32 vcc_lo, 2, v24
	s_mov_b32 s22, -1
	s_cbranch_vccnz .LBB166_92
; %bb.83:
	v_cmp_gt_i16_e32 vcc_lo, 3, v24
	s_cbranch_vccnz .LBB166_89
; %bb.84:
	v_cmp_lt_i16_e32 vcc_lo, 3, v24
	s_cbranch_vccz .LBB166_86
; %bb.85:
	v_dual_mov_b32 v2, s10 :: v_dual_mov_b32 v3, s11
	s_mov_b32 s22, 0
	global_store_b64 v[6:7], v[2:3], off
.LBB166_86:
	s_and_not1_b32 vcc_lo, exec_lo, s22
	s_cbranch_vccnz .LBB166_88
; %bb.87:
	v_mov_b32_e32 v2, s19
	global_store_b32 v[6:7], v2, off
.LBB166_88:
	s_mov_b32 s22, 0
.LBB166_89:
	s_delay_alu instid0(SALU_CYCLE_1)
	s_and_not1_b32 vcc_lo, exec_lo, s22
	s_cbranch_vccnz .LBB166_91
; %bb.90:
	v_mov_b32_e32 v2, s19
	global_store_b16 v[6:7], v2, off
.LBB166_91:
	s_mov_b32 s22, 0
.LBB166_92:
	s_delay_alu instid0(SALU_CYCLE_1)
	s_and_not1_b32 vcc_lo, exec_lo, s22
	s_cbranch_vccnz .LBB166_97
; %bb.93:
	v_cmp_lt_i16_e32 vcc_lo, 0, v24
	s_mov_b32 s22, -1
	s_cbranch_vccz .LBB166_95
; %bb.94:
	v_mov_b32_e32 v2, s19
	s_mov_b32 s22, 0
	global_store_b8 v[6:7], v2, off
.LBB166_95:
	s_and_not1_b32 vcc_lo, exec_lo, s22
	s_cbranch_vccnz .LBB166_97
; %bb.96:
	v_mov_b32_e32 v2, s19
	global_store_b8 v[6:7], v2, off
.LBB166_97:
	s_branch .LBB166_11
.LBB166_98:
	s_mov_b32 s25, 0
                                        ; implicit-def: $vgpr23
.LBB166_99:
	s_and_b32 s22, s9, exec_lo
	s_or_not1_b32 s25, s25, exec_lo
.LBB166_100:
	s_or_b32 exec_lo, exec_lo, s23
	s_mov_b32 s9, 0
                                        ; implicit-def: $vgpr24
                                        ; implicit-def: $vgpr6_vgpr7
	s_and_saveexec_b32 s23, s25
	s_cbranch_execz .LBB166_109
; %bb.101:
	s_mov_b32 s9, -1
	s_mov_b32 s24, s22
	s_mov_b32 s25, exec_lo
	v_cmpx_gt_i32_e64 s21, v23
	s_cbranch_execz .LBB166_326
; %bb.102:
	v_mul_lo_u32 v2, v23, s18
	v_and_b32_e64 v24, 0xff, s13
	s_delay_alu instid0(VALU_DEP_1) | instskip(NEXT) | instid1(VALU_DEP_3)
	v_cmp_gt_i16_e32 vcc_lo, 11, v24
	v_ashrrev_i32_e32 v3, 31, v2
	v_add_co_u32 v6, s9, s16, v2
	s_delay_alu instid0(VALU_DEP_1)
	v_add_co_ci_u32_e64 v7, s9, s17, v3, s9
	s_cbranch_vccnz .LBB166_219
; %bb.103:
	v_cmp_lt_i16_e32 vcc_lo, 25, v24
	s_cbranch_vccz .LBB166_222
; %bb.104:
	v_cmp_lt_i16_e32 vcc_lo, 28, v24
	s_cbranch_vccz .LBB166_223
	;; [unrolled: 3-line block ×4, first 2 shown]
; %bb.107:
	v_cmp_eq_u16_e32 vcc_lo, 46, v24
	s_mov_b32 s26, 0
	s_mov_b32 s9, -1
	s_mov_b32 s24, 0
	s_cbranch_vccz .LBB166_241
; %bb.108:
	s_mov_b32 s24, -1
	s_mov_b32 s9, 0
	global_store_b32 v[6:7], v11, off
	s_branch .LBB166_241
.LBB166_109:
	s_or_b32 exec_lo, exec_lo, s23
	s_mov_b32 s0, 0
	s_and_saveexec_b32 s1, s22
	s_cbranch_execnz .LBB166_791
.LBB166_110:
	s_or_b32 exec_lo, exec_lo, s1
	s_and_saveexec_b32 s1, s24
	s_delay_alu instid0(SALU_CYCLE_1)
	s_xor_b32 s1, exec_lo, s1
	s_cbranch_execz .LBB166_112
.LBB166_111:
	global_store_b8 v[6:7], v10, off
.LBB166_112:
	s_or_b32 exec_lo, exec_lo, s1
	s_and_saveexec_b32 s1, s9
	s_delay_alu instid0(SALU_CYCLE_1)
	s_xor_b32 s1, exec_lo, s1
	s_cbranch_execz .LBB166_150
; %bb.113:
	v_cmp_gt_i16_e32 vcc_lo, 5, v24
	s_mov_b32 s2, -1
	s_cbranch_vccnz .LBB166_134
; %bb.114:
	v_cmp_gt_i16_e32 vcc_lo, 8, v24
	s_cbranch_vccnz .LBB166_124
; %bb.115:
	v_cmp_gt_i16_e32 vcc_lo, 9, v24
	s_cbranch_vccnz .LBB166_121
; %bb.116:
	v_cmp_lt_i16_e32 vcc_lo, 9, v24
	s_cbranch_vccz .LBB166_118
; %bb.117:
	v_mov_b32_e32 v2, 0
	s_mov_b32 s2, 0
	s_delay_alu instid0(VALU_DEP_1)
	v_mov_b32_e32 v3, v2
	global_store_b128 v[6:7], v[0:3], off
.LBB166_118:
	s_and_not1_b32 vcc_lo, exec_lo, s2
	s_cbranch_vccnz .LBB166_120
; %bb.119:
	v_mov_b32_e32 v5, 0
	global_store_b64 v[6:7], v[4:5], off
.LBB166_120:
	s_mov_b32 s2, 0
.LBB166_121:
	s_delay_alu instid0(SALU_CYCLE_1)
	s_and_not1_b32 vcc_lo, exec_lo, s2
	s_cbranch_vccnz .LBB166_123
; %bb.122:
	global_store_b32 v[6:7], v9, off
.LBB166_123:
	s_mov_b32 s2, 0
.LBB166_124:
	s_delay_alu instid0(SALU_CYCLE_1)
	s_and_not1_b32 vcc_lo, exec_lo, s2
	s_cbranch_vccnz .LBB166_133
; %bb.125:
	v_cmp_gt_i16_e32 vcc_lo, 6, v24
	s_mov_b32 s2, -1
	s_cbranch_vccnz .LBB166_131
; %bb.126:
	v_cmp_lt_i16_e32 vcc_lo, 6, v24
	s_cbranch_vccz .LBB166_128
; %bb.127:
	s_mov_b32 s2, 0
	global_store_b64 v[6:7], v[0:1], off
.LBB166_128:
	s_and_not1_b32 vcc_lo, exec_lo, s2
	s_cbranch_vccnz .LBB166_130
; %bb.129:
	global_store_b32 v[6:7], v4, off
.LBB166_130:
	s_mov_b32 s2, 0
.LBB166_131:
	s_delay_alu instid0(SALU_CYCLE_1)
	s_and_not1_b32 vcc_lo, exec_lo, s2
	s_cbranch_vccnz .LBB166_133
; %bb.132:
	global_store_b16 v[6:7], v8, off
.LBB166_133:
	s_mov_b32 s2, 0
.LBB166_134:
	s_delay_alu instid0(SALU_CYCLE_1)
	s_and_not1_b32 vcc_lo, exec_lo, s2
	s_cbranch_vccnz .LBB166_150
; %bb.135:
	v_cmp_gt_i16_e32 vcc_lo, 2, v24
	s_mov_b32 s2, -1
	s_cbranch_vccnz .LBB166_145
; %bb.136:
	v_cmp_gt_i16_e32 vcc_lo, 3, v24
	s_cbranch_vccnz .LBB166_142
; %bb.137:
	v_cmp_lt_i16_e32 vcc_lo, 3, v24
	s_cbranch_vccz .LBB166_139
; %bb.138:
	v_dual_mov_b32 v0, s10 :: v_dual_mov_b32 v1, s11
	s_mov_b32 s2, 0
	global_store_b64 v[6:7], v[0:1], off
.LBB166_139:
	s_and_not1_b32 vcc_lo, exec_lo, s2
	s_cbranch_vccnz .LBB166_141
; %bb.140:
	v_mov_b32_e32 v0, s19
	global_store_b32 v[6:7], v0, off
.LBB166_141:
	s_mov_b32 s2, 0
.LBB166_142:
	s_delay_alu instid0(SALU_CYCLE_1)
	s_and_not1_b32 vcc_lo, exec_lo, s2
	s_cbranch_vccnz .LBB166_144
; %bb.143:
	v_mov_b32_e32 v0, s19
	global_store_b16 v[6:7], v0, off
.LBB166_144:
	s_mov_b32 s2, 0
.LBB166_145:
	s_delay_alu instid0(SALU_CYCLE_1)
	s_and_not1_b32 vcc_lo, exec_lo, s2
	s_cbranch_vccnz .LBB166_150
; %bb.146:
	v_cmp_lt_i16_e32 vcc_lo, 0, v24
	s_mov_b32 s2, -1
	s_cbranch_vccz .LBB166_148
; %bb.147:
	v_mov_b32_e32 v0, s19
	s_mov_b32 s2, 0
	global_store_b8 v[6:7], v0, off
.LBB166_148:
	s_and_not1_b32 vcc_lo, exec_lo, s2
	s_cbranch_vccnz .LBB166_150
; %bb.149:
	v_mov_b32_e32 v0, s19
	global_store_b8 v[6:7], v0, off
.LBB166_150:
	s_or_b32 exec_lo, exec_lo, s1
	s_delay_alu instid0(SALU_CYCLE_1)
	s_and_b32 s1, s0, exec_lo
                                        ; implicit-def: $vgpr23
.LBB166_151:
	s_or_saveexec_b32 s2, s14
	s_mov_b32 s0, 0
                                        ; implicit-def: $vgpr2
                                        ; implicit-def: $vgpr0_vgpr1
	s_xor_b32 exec_lo, exec_lo, s2
	s_cbranch_execz .LBB166_685
; %bb.152:
	v_mul_lo_u32 v3, s18, v23
	v_and_b32_e64 v2, 0xff, s13
	s_delay_alu instid0(VALU_DEP_1) | instskip(NEXT) | instid1(VALU_DEP_3)
	v_cmp_gt_i16_e32 vcc_lo, 11, v2
	v_ashrrev_i32_e32 v1, 31, v3
	v_add_co_u32 v0, s0, s16, v3
	s_delay_alu instid0(VALU_DEP_1)
	v_add_co_ci_u32_e64 v1, s0, s17, v1, s0
	s_cbranch_vccnz .LBB166_180
; %bb.153:
	v_cmp_lt_i16_e32 vcc_lo, 25, v2
	s_mov_b32 s3, -1
	s_mov_b32 s4, 0
	s_mov_b32 s5, 0
	;; [unrolled: 1-line block ×3, first 2 shown]
	s_cbranch_vccz .LBB166_233
; %bb.154:
	v_cmp_lt_i16_e32 vcc_lo, 28, v2
	s_cbranch_vccz .LBB166_169
; %bb.155:
	v_cmp_lt_i16_e32 vcc_lo, 43, v2
	;; [unrolled: 3-line block ×3, first 2 shown]
	s_cbranch_vccz .LBB166_159
; %bb.157:
	v_cmp_eq_u16_e32 vcc_lo, 46, v2
	s_mov_b32 s0, -1
	s_mov_b32 s3, 0
	s_cbranch_vccz .LBB166_159
; %bb.158:
	v_cvt_f32_u32_e32 v4, s19
	s_mov_b32 s0, 0
	s_mov_b32 s5, -1
	s_delay_alu instid0(VALU_DEP_1) | instskip(NEXT) | instid1(VALU_DEP_1)
	v_bfe_u32 v5, v4, 16, 1
	v_add_nc_u32_e32 v4, v4, v5
	s_delay_alu instid0(VALU_DEP_1) | instskip(NEXT) | instid1(VALU_DEP_1)
	v_add_nc_u32_e32 v4, 0x7fff, v4
	v_lshrrev_b32_e32 v4, 16, v4
	global_store_b32 v[0:1], v4, off
.LBB166_159:
	s_and_b32 vcc_lo, exec_lo, s3
	s_cbranch_vccz .LBB166_164
; %bb.160:
	v_cmp_eq_u16_e32 vcc_lo, 44, v2
	s_mov_b32 s0, -1
	s_cbranch_vccz .LBB166_164
; %bb.161:
	v_cvt_f32_u32_e32 v4, s19
	s_delay_alu instid0(VALU_DEP_1) | instskip(SKIP_1) | instid1(VALU_DEP_2)
	v_readfirstlane_b32 s3, v4
	v_mov_b32_e32 v4, 0xff
	s_lshr_b32 s0, s3, 23
	s_delay_alu instid0(SALU_CYCLE_1)
	s_cmpk_eq_i32 s0, 0xff
	s_cbranch_scc1 .LBB166_163
; %bb.162:
	s_bitcmp1_b32 s3, 22
	s_cselect_b32 s5, -1, 0
	s_and_b32 s3, s3, 0x3fffff
	s_delay_alu instid0(SALU_CYCLE_1) | instskip(NEXT) | instid1(SALU_CYCLE_1)
	s_or_b32 s3, s0, s3
	s_cmp_lg_u32 s3, 0
	s_cselect_b32 s3, -1, 0
	s_delay_alu instid0(SALU_CYCLE_1) | instskip(NEXT) | instid1(SALU_CYCLE_1)
	s_and_b32 s3, s5, s3
	v_cndmask_b32_e64 v4, 0, 1, s3
	s_delay_alu instid0(VALU_DEP_1)
	v_add_nc_u32_e32 v4, s0, v4
.LBB166_163:
	s_mov_b32 s0, 0
	s_mov_b32 s5, -1
	global_store_b8 v[0:1], v4, off
.LBB166_164:
	s_mov_b32 s3, 0
.LBB166_165:
	s_delay_alu instid0(SALU_CYCLE_1)
	s_and_b32 vcc_lo, exec_lo, s3
	s_cbranch_vccz .LBB166_168
; %bb.166:
	v_cmp_eq_u16_e32 vcc_lo, 29, v2
	s_mov_b32 s0, -1
	s_cbranch_vccz .LBB166_168
; %bb.167:
	v_dual_mov_b32 v4, s19 :: v_dual_mov_b32 v5, 0
	s_mov_b32 s0, 0
	s_mov_b32 s5, -1
	global_store_b64 v[0:1], v[4:5], off
.LBB166_168:
	s_mov_b32 s3, 0
.LBB166_169:
	s_delay_alu instid0(SALU_CYCLE_1)
	s_and_b32 vcc_lo, exec_lo, s3
	s_cbranch_vccz .LBB166_232
; %bb.170:
	v_cmp_gt_i16_e32 vcc_lo, 27, v2
	s_mov_b32 s3, -1
	s_cbranch_vccnz .LBB166_176
; %bb.171:
	v_cmp_lt_i16_e32 vcc_lo, 27, v2
	s_cbranch_vccz .LBB166_173
; %bb.172:
	v_mov_b32_e32 v4, s19
	s_mov_b32 s3, 0
	global_store_b32 v[0:1], v4, off
.LBB166_173:
	s_and_not1_b32 vcc_lo, exec_lo, s3
	s_cbranch_vccnz .LBB166_175
; %bb.174:
	v_mov_b32_e32 v4, s19
	global_store_b16 v[0:1], v4, off
.LBB166_175:
	s_mov_b32 s3, 0
.LBB166_176:
	s_delay_alu instid0(SALU_CYCLE_1)
	s_and_not1_b32 vcc_lo, exec_lo, s3
	s_cbranch_vccnz .LBB166_231
; %bb.177:
	v_cvt_f32_u32_e32 v4, s19
	v_mov_b32_e32 v6, 0x80
	s_delay_alu instid0(VALU_DEP_2)
	v_cmp_lt_u32_e32 vcc_lo, 0x437fffff, v4
	v_readfirstlane_b32 s3, v4
	s_cbranch_vccnz .LBB166_230
; %bb.178:
	s_delay_alu instid0(VALU_DEP_1)
	s_cmp_gt_u32 s3, 0x3bffffff
	s_cbranch_scc0 .LBB166_225
; %bb.179:
	s_bfe_u32 s5, s3, 0x10014
	s_delay_alu instid0(SALU_CYCLE_1) | instskip(SKIP_2) | instid1(SALU_CYCLE_1)
	s_add_i32 s3, s3, s5
	s_mov_b32 s5, 0
	s_add_i32 s3, s3, 0x487ffff
	s_lshr_b32 s6, s3, 20
	s_mov_b32 s3, -1
	s_branch .LBB166_226
.LBB166_180:
	s_mov_b32 s5, 0
	s_mov_b32 s3, s1
	s_cbranch_execz .LBB166_382
; %bb.181:
	v_cmp_gt_i16_e32 vcc_lo, 5, v2
	s_mov_b32 s0, -1
	s_cbranch_vccnz .LBB166_202
; %bb.182:
	v_cmp_gt_i16_e32 vcc_lo, 8, v2
	s_cbranch_vccnz .LBB166_192
; %bb.183:
	v_cmp_gt_i16_e32 vcc_lo, 9, v2
	s_cbranch_vccnz .LBB166_189
; %bb.184:
	v_cmp_lt_i16_e32 vcc_lo, 9, v2
	s_cbranch_vccz .LBB166_186
; %bb.185:
	v_cvt_f64_u32_e32 v[4:5], s19
	v_mov_b32_e32 v6, 0
	s_mov_b32 s0, 0
	s_delay_alu instid0(VALU_DEP_1)
	v_mov_b32_e32 v7, v6
	global_store_b128 v[0:1], v[4:7], off
.LBB166_186:
	s_and_not1_b32 vcc_lo, exec_lo, s0
	s_cbranch_vccnz .LBB166_188
; %bb.187:
	v_cvt_f32_u32_e32 v4, s19
	v_mov_b32_e32 v5, 0
	global_store_b64 v[0:1], v[4:5], off
.LBB166_188:
	s_mov_b32 s0, 0
.LBB166_189:
	s_delay_alu instid0(SALU_CYCLE_1)
	s_and_not1_b32 vcc_lo, exec_lo, s0
	s_cbranch_vccnz .LBB166_191
; %bb.190:
	v_cvt_f32_u32_e32 v4, s19
	s_delay_alu instid0(VALU_DEP_1) | instskip(NEXT) | instid1(VALU_DEP_1)
	v_cvt_f16_f32_e32 v4, v4
	v_and_b32_e32 v4, 0xffff, v4
	global_store_b32 v[0:1], v4, off
.LBB166_191:
	s_mov_b32 s0, 0
.LBB166_192:
	s_delay_alu instid0(SALU_CYCLE_1)
	s_and_not1_b32 vcc_lo, exec_lo, s0
	s_cbranch_vccnz .LBB166_201
; %bb.193:
	v_cmp_gt_i16_e32 vcc_lo, 6, v2
	s_mov_b32 s0, -1
	s_cbranch_vccnz .LBB166_199
; %bb.194:
	v_cmp_lt_i16_e32 vcc_lo, 6, v2
	s_cbranch_vccz .LBB166_196
; %bb.195:
	v_cvt_f64_u32_e32 v[4:5], s19
	s_mov_b32 s0, 0
	global_store_b64 v[0:1], v[4:5], off
.LBB166_196:
	s_and_not1_b32 vcc_lo, exec_lo, s0
	s_cbranch_vccnz .LBB166_198
; %bb.197:
	v_cvt_f32_u32_e32 v4, s19
	global_store_b32 v[0:1], v4, off
.LBB166_198:
	s_mov_b32 s0, 0
.LBB166_199:
	s_delay_alu instid0(SALU_CYCLE_1)
	s_and_not1_b32 vcc_lo, exec_lo, s0
	s_cbranch_vccnz .LBB166_201
; %bb.200:
	v_cvt_f32_u32_e32 v4, s19
	s_delay_alu instid0(VALU_DEP_1)
	v_cvt_f16_f32_e32 v4, v4
	global_store_b16 v[0:1], v4, off
.LBB166_201:
	s_mov_b32 s0, 0
.LBB166_202:
	s_delay_alu instid0(SALU_CYCLE_1)
	s_and_not1_b32 vcc_lo, exec_lo, s0
	s_cbranch_vccnz .LBB166_218
; %bb.203:
	v_cmp_gt_i16_e32 vcc_lo, 2, v2
	s_mov_b32 s0, -1
	s_cbranch_vccnz .LBB166_213
; %bb.204:
	v_cmp_gt_i16_e32 vcc_lo, 3, v2
	s_cbranch_vccnz .LBB166_210
; %bb.205:
	v_cmp_lt_i16_e32 vcc_lo, 3, v2
	s_cbranch_vccz .LBB166_207
; %bb.206:
	v_dual_mov_b32 v4, s19 :: v_dual_mov_b32 v5, 0
	s_mov_b32 s0, 0
	global_store_b64 v[0:1], v[4:5], off
.LBB166_207:
	s_and_not1_b32 vcc_lo, exec_lo, s0
	s_cbranch_vccnz .LBB166_209
; %bb.208:
	v_mov_b32_e32 v4, s19
	global_store_b32 v[0:1], v4, off
.LBB166_209:
	s_mov_b32 s0, 0
.LBB166_210:
	s_delay_alu instid0(SALU_CYCLE_1)
	s_and_not1_b32 vcc_lo, exec_lo, s0
	s_cbranch_vccnz .LBB166_212
; %bb.211:
	v_mov_b32_e32 v4, s19
	global_store_b16 v[0:1], v4, off
.LBB166_212:
	s_mov_b32 s0, 0
.LBB166_213:
	s_delay_alu instid0(SALU_CYCLE_1)
	s_and_not1_b32 vcc_lo, exec_lo, s0
	s_cbranch_vccnz .LBB166_218
; %bb.214:
	v_cmp_lt_i16_e32 vcc_lo, 0, v2
	s_mov_b32 s0, -1
	s_cbranch_vccz .LBB166_216
; %bb.215:
	v_mov_b32_e32 v4, s19
	s_mov_b32 s0, 0
	global_store_b8 v[0:1], v4, off
.LBB166_216:
	s_and_not1_b32 vcc_lo, exec_lo, s0
	s_cbranch_vccnz .LBB166_218
; %bb.217:
	v_mov_b32_e32 v4, s19
	global_store_b8 v[0:1], v4, off
.LBB166_218:
	s_branch .LBB166_383
.LBB166_219:
	s_mov_b32 s24, 0
	s_mov_b32 s9, s22
	s_cbranch_execnz .LBB166_286
.LBB166_220:
	s_and_not1_b32 vcc_lo, exec_lo, s24
	s_cbranch_vccnz .LBB166_324
.LBB166_221:
	v_add_nc_u32_e32 v23, 0x80, v23
	s_mov_b32 s26, -1
	s_branch .LBB166_325
.LBB166_222:
	s_mov_b32 s26, -1
	s_mov_b32 s24, 0
	s_mov_b32 s9, s22
	s_branch .LBB166_263
.LBB166_223:
	s_mov_b32 s26, -1
	s_mov_b32 s24, 0
	s_mov_b32 s9, s22
	s_branch .LBB166_249
.LBB166_224:
	s_mov_b32 s26, -1
	s_mov_b32 s24, 0
	s_mov_b32 s9, s22
	s_branch .LBB166_245
.LBB166_225:
	s_mov_b32 s5, -1
	s_mov_b32 s3, 0
                                        ; implicit-def: $sgpr6
.LBB166_226:
	v_mov_b32_e32 v5, s6
	s_and_not1_b32 vcc_lo, exec_lo, s5
                                        ; implicit-def: $sgpr5
	s_cbranch_vccnz .LBB166_228
; %bb.227:
	v_add_f32_e32 v4, 0x46000000, v4
	s_mov_b32 s5, 0
	s_delay_alu instid0(VALU_DEP_1) | instskip(NEXT) | instid1(VALU_DEP_1)
	v_and_b32_e32 v5, 0xff, v4
	v_cmp_ne_u32_e64 s3, 0, v5
.LBB166_228:
	v_mov_b32_e32 v6, s5
	s_delay_alu instid0(VALU_DEP_2)
	s_and_not1_b32 vcc_lo, exec_lo, s3
	s_cbranch_vccnz .LBB166_230
; %bb.229:
	v_mov_b32_e32 v6, v5
.LBB166_230:
	global_store_b8 v[0:1], v6, off
.LBB166_231:
	s_mov_b32 s5, -1
.LBB166_232:
	s_mov_b32 s3, 0
.LBB166_233:
	s_delay_alu instid0(SALU_CYCLE_1)
	s_and_b32 vcc_lo, exec_lo, s3
	s_cbranch_vccz .LBB166_378
; %bb.234:
	v_cmp_lt_i16_e32 vcc_lo, 22, v2
	s_mov_b32 s3, -1
	s_cbranch_vccz .LBB166_371
; %bb.235:
	v_cmp_gt_i16_e32 vcc_lo, 24, v2
	s_cbranch_vccnz .LBB166_358
; %bb.236:
	v_cmp_lt_i16_e32 vcc_lo, 24, v2
	s_cbranch_vccz .LBB166_345
; %bb.237:
	v_cvt_f32_u32_e32 v4, s19
	v_mov_b32_e32 v6, 0x80
	s_delay_alu instid0(VALU_DEP_2)
	v_cmp_lt_u32_e32 vcc_lo, 0x477fffff, v4
	v_readfirstlane_b32 s3, v4
	s_cbranch_vccnz .LBB166_344
; %bb.238:
	s_delay_alu instid0(VALU_DEP_1)
	s_cmp_gt_u32 s3, 0x37ffffff
	s_cbranch_scc0 .LBB166_339
; %bb.239:
	s_bfe_u32 s4, s3, 0x10015
	s_delay_alu instid0(SALU_CYCLE_1) | instskip(SKIP_2) | instid1(SALU_CYCLE_1)
	s_add_i32 s3, s3, s4
	s_mov_b32 s4, 0
	s_add_i32 s3, s3, 0x88fffff
	s_lshr_b32 s5, s3, 21
	s_mov_b32 s3, -1
	s_branch .LBB166_340
.LBB166_240:
	s_mov_b32 s26, -1
	s_mov_b32 s24, 0
	s_mov_b32 s9, s22
.LBB166_241:
	s_and_b32 vcc_lo, exec_lo, s26
	s_cbranch_vccz .LBB166_244
; %bb.242:
	v_cmp_eq_u16_e32 vcc_lo, 44, v24
	s_mov_b32 s9, -1
	s_cbranch_vccz .LBB166_244
; %bb.243:
	v_cndmask_b32_e64 v2, v22, 0xff, s8
	s_mov_b32 s24, -1
	s_mov_b32 s9, 0
	global_store_b8 v[6:7], v2, off
.LBB166_244:
	s_mov_b32 s26, 0
.LBB166_245:
	s_delay_alu instid0(SALU_CYCLE_1)
	s_and_b32 vcc_lo, exec_lo, s26
	s_cbranch_vccz .LBB166_248
; %bb.246:
	v_cmp_eq_u16_e32 vcc_lo, 29, v24
	s_mov_b32 s9, -1
	s_cbranch_vccz .LBB166_248
; %bb.247:
	v_dual_mov_b32 v2, s10 :: v_dual_mov_b32 v3, s11
	s_mov_b32 s24, -1
	s_mov_b32 s9, 0
	s_mov_b32 s26, 0
	global_store_b64 v[6:7], v[2:3], off
	s_branch .LBB166_249
.LBB166_248:
	s_mov_b32 s26, 0
.LBB166_249:
	s_delay_alu instid0(SALU_CYCLE_1)
	s_and_b32 vcc_lo, exec_lo, s26
	s_cbranch_vccz .LBB166_262
; %bb.250:
	v_cmp_gt_i16_e32 vcc_lo, 27, v24
	s_mov_b32 s24, -1
	s_cbranch_vccnz .LBB166_256
; %bb.251:
	v_cmp_lt_i16_e32 vcc_lo, 27, v24
	s_cbranch_vccz .LBB166_253
; %bb.252:
	v_mov_b32_e32 v2, s19
	s_mov_b32 s24, 0
	global_store_b32 v[6:7], v2, off
.LBB166_253:
	s_and_not1_b32 vcc_lo, exec_lo, s24
	s_cbranch_vccnz .LBB166_255
; %bb.254:
	v_mov_b32_e32 v2, s19
	global_store_b16 v[6:7], v2, off
.LBB166_255:
	s_mov_b32 s24, 0
.LBB166_256:
	s_delay_alu instid0(SALU_CYCLE_1)
	s_and_not1_b32 vcc_lo, exec_lo, s24
	s_cbranch_vccnz .LBB166_261
; %bb.257:
	v_mov_b32_e32 v2, 0x80
	s_and_not1_b32 vcc_lo, exec_lo, s7
	s_cbranch_vccnz .LBB166_260
; %bb.258:
	v_mov_b32_e32 v2, 0
	s_or_b32 s24, s6, s20
	s_delay_alu instid0(SALU_CYCLE_1)
	s_and_not1_b32 vcc_lo, exec_lo, s24
	s_cbranch_vccnz .LBB166_260
; %bb.259:
	v_cndmask_b32_e64 v2, v20, v21, s6
.LBB166_260:
	global_store_b8 v[6:7], v2, off
.LBB166_261:
	s_mov_b32 s24, -1
.LBB166_262:
	s_mov_b32 s26, 0
.LBB166_263:
	s_delay_alu instid0(SALU_CYCLE_1)
	s_and_b32 vcc_lo, exec_lo, s26
	s_cbranch_vccz .LBB166_285
; %bb.264:
	v_cmp_lt_i16_e32 vcc_lo, 22, v24
	s_mov_b32 s26, -1
	s_cbranch_vccz .LBB166_277
; %bb.265:
	v_cmp_gt_i16_e32 vcc_lo, 24, v24
	s_mov_b32 s24, -1
	s_cbranch_vccnz .LBB166_274
; %bb.266:
	v_cmp_lt_i16_e32 vcc_lo, 24, v24
	s_cbranch_vccz .LBB166_271
; %bb.267:
	v_mov_b32_e32 v2, 0x80
	s_and_not1_b32 vcc_lo, exec_lo, s5
	s_cbranch_vccnz .LBB166_270
; %bb.268:
	v_mov_b32_e32 v2, 0
	s_or_b32 s24, s4, s15
	s_delay_alu instid0(SALU_CYCLE_1)
	s_and_not1_b32 vcc_lo, exec_lo, s24
	s_cbranch_vccnz .LBB166_270
; %bb.269:
	v_cndmask_b32_e64 v2, v12, v19, s4
.LBB166_270:
	s_mov_b32 s24, 0
	global_store_b8 v[6:7], v2, off
.LBB166_271:
	s_and_b32 vcc_lo, exec_lo, s24
	s_cbranch_vccz .LBB166_273
; %bb.272:
	v_cndmask_b32_e64 v2, v16, v17, s3
	s_delay_alu instid0(VALU_DEP_1)
	v_cndmask_b32_e64 v2, v2, v18, s2
	global_store_b8 v[6:7], v2, off
.LBB166_273:
	s_mov_b32 s24, 0
.LBB166_274:
	s_delay_alu instid0(SALU_CYCLE_1)
	s_and_not1_b32 vcc_lo, exec_lo, s24
	s_cbranch_vccnz .LBB166_276
; %bb.275:
	v_cndmask_b32_e64 v2, v13, v14, s1
	s_delay_alu instid0(VALU_DEP_1)
	v_cndmask_b32_e64 v2, v2, v15, s0
	global_store_b8 v[6:7], v2, off
.LBB166_276:
	s_mov_b32 s26, 0
	s_mov_b32 s24, -1
.LBB166_277:
	s_and_not1_b32 vcc_lo, exec_lo, s26
	s_cbranch_vccnz .LBB166_285
; %bb.278:
	v_cmp_lt_i16_e32 vcc_lo, 14, v24
	s_mov_b32 s26, -1
	s_cbranch_vccz .LBB166_282
; %bb.279:
	v_cmp_eq_u16_e32 vcc_lo, 15, v24
	s_mov_b32 s9, -1
	s_cbranch_vccz .LBB166_281
; %bb.280:
	s_mov_b32 s24, -1
	s_mov_b32 s9, 0
	global_store_b16 v[6:7], v11, off
.LBB166_281:
	s_mov_b32 s26, 0
.LBB166_282:
	s_delay_alu instid0(SALU_CYCLE_1)
	s_and_b32 vcc_lo, exec_lo, s26
	s_cbranch_vccz .LBB166_285
; %bb.283:
	v_cmp_eq_u16_e32 vcc_lo, 11, v24
	s_mov_b32 s9, -1
	s_cbranch_vccz .LBB166_285
; %bb.284:
	s_mov_b32 s24, -1
	s_mov_b32 s9, 0
	global_store_b8 v[6:7], v10, off
.LBB166_285:
	s_branch .LBB166_220
.LBB166_286:
	v_cmp_gt_i16_e32 vcc_lo, 5, v24
	s_mov_b32 s24, -1
	s_cbranch_vccnz .LBB166_307
; %bb.287:
	v_cmp_gt_i16_e32 vcc_lo, 8, v24
	s_cbranch_vccnz .LBB166_297
; %bb.288:
	v_cmp_gt_i16_e32 vcc_lo, 9, v24
	s_cbranch_vccnz .LBB166_294
; %bb.289:
	v_cmp_lt_i16_e32 vcc_lo, 9, v24
	s_cbranch_vccz .LBB166_291
; %bb.290:
	v_mov_b32_e32 v2, 0
	s_mov_b32 s24, 0
	s_delay_alu instid0(VALU_DEP_1)
	v_mov_b32_e32 v3, v2
	global_store_b128 v[6:7], v[0:3], off
.LBB166_291:
	s_and_not1_b32 vcc_lo, exec_lo, s24
	s_cbranch_vccnz .LBB166_293
; %bb.292:
	v_mov_b32_e32 v5, 0
	global_store_b64 v[6:7], v[4:5], off
.LBB166_293:
	s_mov_b32 s24, 0
.LBB166_294:
	s_delay_alu instid0(SALU_CYCLE_1)
	s_and_not1_b32 vcc_lo, exec_lo, s24
	s_cbranch_vccnz .LBB166_296
; %bb.295:
	global_store_b32 v[6:7], v9, off
.LBB166_296:
	s_mov_b32 s24, 0
.LBB166_297:
	s_delay_alu instid0(SALU_CYCLE_1)
	s_and_not1_b32 vcc_lo, exec_lo, s24
	s_cbranch_vccnz .LBB166_306
; %bb.298:
	v_cmp_gt_i16_e32 vcc_lo, 6, v24
	s_mov_b32 s24, -1
	s_cbranch_vccnz .LBB166_304
; %bb.299:
	v_cmp_lt_i16_e32 vcc_lo, 6, v24
	s_cbranch_vccz .LBB166_301
; %bb.300:
	s_mov_b32 s24, 0
	global_store_b64 v[6:7], v[0:1], off
.LBB166_301:
	s_and_not1_b32 vcc_lo, exec_lo, s24
	s_cbranch_vccnz .LBB166_303
; %bb.302:
	global_store_b32 v[6:7], v4, off
.LBB166_303:
	s_mov_b32 s24, 0
.LBB166_304:
	s_delay_alu instid0(SALU_CYCLE_1)
	s_and_not1_b32 vcc_lo, exec_lo, s24
	s_cbranch_vccnz .LBB166_306
; %bb.305:
	global_store_b16 v[6:7], v8, off
.LBB166_306:
	s_mov_b32 s24, 0
.LBB166_307:
	s_delay_alu instid0(SALU_CYCLE_1)
	s_and_not1_b32 vcc_lo, exec_lo, s24
	s_cbranch_vccnz .LBB166_323
; %bb.308:
	v_cmp_gt_i16_e32 vcc_lo, 2, v24
	s_mov_b32 s24, -1
	s_cbranch_vccnz .LBB166_318
; %bb.309:
	v_cmp_gt_i16_e32 vcc_lo, 3, v24
	s_cbranch_vccnz .LBB166_315
; %bb.310:
	v_cmp_lt_i16_e32 vcc_lo, 3, v24
	s_cbranch_vccz .LBB166_312
; %bb.311:
	v_dual_mov_b32 v2, s10 :: v_dual_mov_b32 v3, s11
	s_mov_b32 s24, 0
	global_store_b64 v[6:7], v[2:3], off
.LBB166_312:
	s_and_not1_b32 vcc_lo, exec_lo, s24
	s_cbranch_vccnz .LBB166_314
; %bb.313:
	v_mov_b32_e32 v2, s19
	global_store_b32 v[6:7], v2, off
.LBB166_314:
	s_mov_b32 s24, 0
.LBB166_315:
	s_delay_alu instid0(SALU_CYCLE_1)
	s_and_not1_b32 vcc_lo, exec_lo, s24
	s_cbranch_vccnz .LBB166_317
; %bb.316:
	v_mov_b32_e32 v2, s19
	global_store_b16 v[6:7], v2, off
.LBB166_317:
	s_mov_b32 s24, 0
.LBB166_318:
	s_delay_alu instid0(SALU_CYCLE_1)
	s_and_not1_b32 vcc_lo, exec_lo, s24
	s_cbranch_vccnz .LBB166_323
; %bb.319:
	v_cmp_lt_i16_e32 vcc_lo, 0, v24
	s_mov_b32 s24, -1
	s_cbranch_vccz .LBB166_321
; %bb.320:
	v_mov_b32_e32 v2, s19
	s_mov_b32 s24, 0
	global_store_b8 v[6:7], v2, off
.LBB166_321:
	s_and_not1_b32 vcc_lo, exec_lo, s24
	s_cbranch_vccnz .LBB166_323
; %bb.322:
	v_mov_b32_e32 v2, s19
	global_store_b8 v[6:7], v2, off
.LBB166_323:
	s_branch .LBB166_221
.LBB166_324:
	s_mov_b32 s26, 0
                                        ; implicit-def: $vgpr23
.LBB166_325:
	s_and_not1_b32 s24, s22, exec_lo
	s_and_b32 s9, s9, exec_lo
	s_delay_alu instid0(SALU_CYCLE_1)
	s_or_b32 s24, s24, s9
	s_or_not1_b32 s9, s26, exec_lo
.LBB166_326:
	s_or_b32 exec_lo, exec_lo, s25
	s_mov_b32 s26, 0
	s_mov_b32 s28, 0
                                        ; implicit-def: $vgpr24
                                        ; implicit-def: $vgpr6_vgpr7
	s_and_saveexec_b32 s25, s9
	s_cbranch_execz .LBB166_790
; %bb.327:
	s_mov_b32 s29, -1
	s_mov_b32 s27, s24
	s_mov_b32 s26, exec_lo
	v_cmpx_gt_i32_e64 s21, v23
	s_cbranch_execz .LBB166_558
; %bb.328:
	v_mul_lo_u32 v2, v23, s18
	v_and_b32_e64 v24, 0xff, s13
	s_delay_alu instid0(VALU_DEP_1) | instskip(NEXT) | instid1(VALU_DEP_3)
	v_cmp_gt_i16_e32 vcc_lo, 11, v24
	v_ashrrev_i32_e32 v3, 31, v2
	v_add_co_u32 v6, s9, s16, v2
	s_delay_alu instid0(VALU_DEP_1)
	v_add_co_ci_u32_e64 v7, s9, s17, v3, s9
	s_cbranch_vccnz .LBB166_335
; %bb.329:
	v_cmp_lt_i16_e32 vcc_lo, 25, v24
	s_cbranch_vccz .LBB166_336
; %bb.330:
	v_cmp_lt_i16_e32 vcc_lo, 28, v24
	s_cbranch_vccz .LBB166_337
	;; [unrolled: 3-line block ×4, first 2 shown]
; %bb.333:
	v_cmp_eq_u16_e32 vcc_lo, 46, v24
	s_mov_b32 s9, -1
	s_mov_b32 s27, 0
	s_cbranch_vccz .LBB166_470
; %bb.334:
	s_mov_b32 s27, -1
	s_mov_b32 s9, 0
	global_store_b32 v[6:7], v11, off
	s_branch .LBB166_470
.LBB166_335:
	s_mov_b32 s28, -1
	s_mov_b32 s27, 0
	s_mov_b32 s9, s24
	s_branch .LBB166_515
.LBB166_336:
	s_mov_b32 s28, -1
	s_mov_b32 s27, 0
	s_mov_b32 s9, s24
	s_branch .LBB166_492
.LBB166_337:
	s_mov_b32 s28, -1
	s_mov_b32 s27, 0
	s_mov_b32 s9, s24
	s_branch .LBB166_478
.LBB166_338:
	s_mov_b32 s28, -1
	s_mov_b32 s27, 0
	s_mov_b32 s9, s24
	s_branch .LBB166_474
.LBB166_339:
	s_mov_b32 s4, -1
	s_mov_b32 s3, 0
                                        ; implicit-def: $sgpr5
.LBB166_340:
	v_mov_b32_e32 v5, s5
	s_and_not1_b32 vcc_lo, exec_lo, s4
                                        ; implicit-def: $sgpr4
	s_cbranch_vccnz .LBB166_342
; %bb.341:
	v_add_f32_e32 v4, 0x42800000, v4
	s_mov_b32 s4, 0
	s_delay_alu instid0(VALU_DEP_1) | instskip(NEXT) | instid1(VALU_DEP_1)
	v_and_b32_e32 v5, 0xff, v4
	v_cmp_ne_u32_e64 s3, 0, v5
.LBB166_342:
	v_mov_b32_e32 v6, s4
	s_delay_alu instid0(VALU_DEP_2)
	s_and_not1_b32 vcc_lo, exec_lo, s3
	s_cbranch_vccnz .LBB166_344
; %bb.343:
	v_mov_b32_e32 v6, v5
.LBB166_344:
	s_mov_b32 s3, 0
	global_store_b8 v[0:1], v6, off
.LBB166_345:
	s_and_b32 vcc_lo, exec_lo, s3
	s_cbranch_vccz .LBB166_357
; %bb.346:
	v_cvt_f32_u32_e32 v4, s19
	s_delay_alu instid0(VALU_DEP_1)
	v_cmp_gt_u32_e32 vcc_lo, 0x43f00000, v4
	v_readfirstlane_b32 s3, v4
	s_cbranch_vccz .LBB166_349
; %bb.347:
	s_delay_alu instid0(VALU_DEP_1)
	s_cmp_gt_u32 s3, 0x3c7fffff
	s_cbranch_scc0 .LBB166_350
; %bb.348:
	s_bfe_u32 s4, s3, 0x10014
	s_delay_alu instid0(SALU_CYCLE_1) | instskip(NEXT) | instid1(SALU_CYCLE_1)
	s_add_i32 s4, s3, s4
	s_add_i32 s4, s4, 0x407ffff
	s_delay_alu instid0(SALU_CYCLE_1)
	s_and_b32 s5, s4, 0xff00000
	s_lshr_b32 s4, s4, 20
	s_cmp_lg_u32 s5, 0x7f00000
	s_cselect_b32 s5, s4, 0x7e
	s_mov_b32 s4, 0
	s_branch .LBB166_351
.LBB166_349:
	s_mov_b32 s4, -1
                                        ; implicit-def: $vgpr5
	s_branch .LBB166_354
.LBB166_350:
	s_mov_b32 s4, -1
                                        ; implicit-def: $sgpr5
.LBB166_351:
	v_mov_b32_e32 v5, s5
	s_and_not1_b32 vcc_lo, exec_lo, s4
	s_cbranch_vccnz .LBB166_353
; %bb.352:
	v_add_f32_e32 v5, 0x46800000, v4
.LBB166_353:
	s_mov_b32 s4, 0
.LBB166_354:
	s_delay_alu instid0(SALU_CYCLE_1)
	s_and_not1_b32 vcc_lo, exec_lo, s4
	s_cbranch_vccnz .LBB166_356
; %bb.355:
	s_cmp_gt_u32 s3, 0x7f800000
	s_movk_i32 s3, 0x7f
	s_delay_alu instid0(SALU_CYCLE_1) | instskip(NEXT) | instid1(SALU_CYCLE_1)
	s_cselect_b32 s3, s3, 0x7e
	v_mov_b32_e32 v5, s3
.LBB166_356:
	global_store_b8 v[0:1], v5, off
.LBB166_357:
	s_mov_b32 s3, 0
.LBB166_358:
	s_delay_alu instid0(SALU_CYCLE_1)
	s_and_not1_b32 vcc_lo, exec_lo, s3
	s_cbranch_vccnz .LBB166_370
; %bb.359:
	v_cvt_f32_u32_e32 v4, s19
	s_delay_alu instid0(VALU_DEP_1)
	v_cmp_gt_u32_e32 vcc_lo, 0x47800000, v4
	v_readfirstlane_b32 s3, v4
	s_cbranch_vccz .LBB166_362
; %bb.360:
	s_delay_alu instid0(VALU_DEP_1)
	s_cmp_gt_u32 s3, 0x387fffff
	s_cbranch_scc0 .LBB166_363
; %bb.361:
	s_bfe_u32 s4, s3, 0x10015
	s_delay_alu instid0(SALU_CYCLE_1) | instskip(NEXT) | instid1(SALU_CYCLE_1)
	s_add_i32 s4, s3, s4
	s_add_i32 s4, s4, 0x80fffff
	s_delay_alu instid0(SALU_CYCLE_1)
	s_lshr_b32 s5, s4, 21
	s_mov_b32 s4, 0
	s_branch .LBB166_364
.LBB166_362:
	s_mov_b32 s4, -1
                                        ; implicit-def: $vgpr5
	s_branch .LBB166_367
.LBB166_363:
	s_mov_b32 s4, -1
                                        ; implicit-def: $sgpr5
.LBB166_364:
	v_mov_b32_e32 v5, s5
	s_and_not1_b32 vcc_lo, exec_lo, s4
	s_cbranch_vccnz .LBB166_366
; %bb.365:
	v_add_f32_e32 v5, 0x43000000, v4
.LBB166_366:
	s_mov_b32 s4, 0
.LBB166_367:
	s_delay_alu instid0(SALU_CYCLE_1)
	s_and_not1_b32 vcc_lo, exec_lo, s4
	s_cbranch_vccnz .LBB166_369
; %bb.368:
	s_cmp_gt_u32 s3, 0x7f800000
	s_movk_i32 s3, 0x7f
	s_delay_alu instid0(SALU_CYCLE_1) | instskip(NEXT) | instid1(SALU_CYCLE_1)
	s_cselect_b32 s3, s3, 0x7c
	v_mov_b32_e32 v5, s3
.LBB166_369:
	global_store_b8 v[0:1], v5, off
.LBB166_370:
	s_mov_b32 s3, 0
	s_mov_b32 s5, -1
.LBB166_371:
	s_and_not1_b32 vcc_lo, exec_lo, s3
	s_mov_b32 s4, 0
	s_cbranch_vccnz .LBB166_378
; %bb.372:
	v_cmp_lt_i16_e32 vcc_lo, 14, v2
	s_mov_b32 s3, -1
	s_cbranch_vccz .LBB166_376
; %bb.373:
	v_cmp_eq_u16_e32 vcc_lo, 15, v2
	s_mov_b32 s0, -1
	s_cbranch_vccz .LBB166_375
; %bb.374:
	v_cvt_f32_u32_e32 v4, s19
	s_mov_b32 s0, 0
	s_mov_b32 s5, -1
	s_delay_alu instid0(VALU_DEP_1) | instskip(NEXT) | instid1(VALU_DEP_1)
	v_bfe_u32 v5, v4, 16, 1
	v_add_nc_u32_e32 v4, v4, v5
	s_delay_alu instid0(VALU_DEP_1)
	v_add_nc_u32_e32 v4, 0x7fff, v4
	global_store_d16_hi_b16 v[0:1], v4, off
.LBB166_375:
	s_mov_b32 s3, 0
.LBB166_376:
	s_delay_alu instid0(SALU_CYCLE_1)
	s_and_b32 vcc_lo, exec_lo, s3
	s_cbranch_vccz .LBB166_378
; %bb.377:
	v_cmp_ne_u16_e64 s0, 11, v2
	s_mov_b32 s4, -1
.LBB166_378:
	s_delay_alu instid0(VALU_DEP_1)
	s_and_b32 vcc_lo, exec_lo, s0
	s_mov_b32 s3, s1
	s_cbranch_vccnz .LBB166_450
; %bb.379:
	s_and_not1_b32 vcc_lo, exec_lo, s4
	s_cbranch_vccnz .LBB166_381
.LBB166_380:
	s_cmp_lg_u32 s19, 0
	s_mov_b32 s5, -1
	s_cselect_b32 s0, -1, 0
	s_delay_alu instid0(SALU_CYCLE_1)
	v_cndmask_b32_e64 v4, 0, 1, s0
	global_store_b8 v[0:1], v4, off
.LBB166_381:
.LBB166_382:
	s_and_not1_b32 vcc_lo, exec_lo, s5
	s_cbranch_vccnz .LBB166_683
.LBB166_383:
	s_lshl_b32 s4, s18, 7
	v_cmp_gt_i16_e32 vcc_lo, 11, v2
	v_add_nc_u32_e32 v3, s4, v3
	s_delay_alu instid0(VALU_DEP_1) | instskip(SKIP_1) | instid1(VALU_DEP_1)
	v_ashrrev_i32_e32 v1, 31, v3
	v_add_co_u32 v0, s0, s16, v3
	v_add_co_ci_u32_e64 v1, s0, s17, v1, s0
	s_cbranch_vccnz .LBB166_411
; %bb.384:
	v_cmp_lt_i16_e32 vcc_lo, 25, v2
	s_mov_b32 s7, -1
	s_mov_b32 s5, 0
	s_mov_b32 s6, 0
	;; [unrolled: 1-line block ×3, first 2 shown]
	s_cbranch_vccz .LBB166_462
; %bb.385:
	v_cmp_lt_i16_e32 vcc_lo, 28, v2
	s_cbranch_vccz .LBB166_400
; %bb.386:
	v_cmp_lt_i16_e32 vcc_lo, 43, v2
	;; [unrolled: 3-line block ×3, first 2 shown]
	s_cbranch_vccz .LBB166_390
; %bb.388:
	v_cmp_eq_u16_e32 vcc_lo, 46, v2
	s_mov_b32 s0, -1
	s_mov_b32 s7, 0
	s_cbranch_vccz .LBB166_390
; %bb.389:
	v_cvt_f32_u32_e32 v4, s19
	s_mov_b32 s0, 0
	s_mov_b32 s6, -1
	s_delay_alu instid0(VALU_DEP_1) | instskip(NEXT) | instid1(VALU_DEP_1)
	v_bfe_u32 v5, v4, 16, 1
	v_add_nc_u32_e32 v4, v4, v5
	s_delay_alu instid0(VALU_DEP_1) | instskip(NEXT) | instid1(VALU_DEP_1)
	v_add_nc_u32_e32 v4, 0x7fff, v4
	v_lshrrev_b32_e32 v4, 16, v4
	global_store_b32 v[0:1], v4, off
.LBB166_390:
	s_and_b32 vcc_lo, exec_lo, s7
	s_cbranch_vccz .LBB166_395
; %bb.391:
	v_cmp_eq_u16_e32 vcc_lo, 44, v2
	s_mov_b32 s0, -1
	s_cbranch_vccz .LBB166_395
; %bb.392:
	v_cvt_f32_u32_e32 v4, s19
	s_delay_alu instid0(VALU_DEP_1) | instskip(SKIP_1) | instid1(VALU_DEP_2)
	v_readfirstlane_b32 s6, v4
	v_mov_b32_e32 v4, 0xff
	s_lshr_b32 s0, s6, 23
	s_delay_alu instid0(SALU_CYCLE_1)
	s_cmpk_eq_i32 s0, 0xff
	s_cbranch_scc1 .LBB166_394
; %bb.393:
	s_bitcmp1_b32 s6, 22
	s_cselect_b32 s7, -1, 0
	s_and_b32 s6, s6, 0x3fffff
	s_delay_alu instid0(SALU_CYCLE_1) | instskip(NEXT) | instid1(SALU_CYCLE_1)
	s_or_b32 s6, s0, s6
	s_cmp_lg_u32 s6, 0
	s_cselect_b32 s6, -1, 0
	s_delay_alu instid0(SALU_CYCLE_1) | instskip(NEXT) | instid1(SALU_CYCLE_1)
	s_and_b32 s6, s7, s6
	v_cndmask_b32_e64 v4, 0, 1, s6
	s_delay_alu instid0(VALU_DEP_1)
	v_add_nc_u32_e32 v4, s0, v4
.LBB166_394:
	s_mov_b32 s0, 0
	s_mov_b32 s6, -1
	global_store_b8 v[0:1], v4, off
.LBB166_395:
	s_mov_b32 s7, 0
.LBB166_396:
	s_delay_alu instid0(SALU_CYCLE_1)
	s_and_b32 vcc_lo, exec_lo, s7
	s_cbranch_vccz .LBB166_399
; %bb.397:
	v_cmp_eq_u16_e32 vcc_lo, 29, v2
	s_mov_b32 s0, -1
	s_cbranch_vccz .LBB166_399
; %bb.398:
	v_dual_mov_b32 v4, s19 :: v_dual_mov_b32 v5, 0
	s_mov_b32 s0, 0
	s_mov_b32 s6, -1
	global_store_b64 v[0:1], v[4:5], off
.LBB166_399:
	s_mov_b32 s7, 0
.LBB166_400:
	s_delay_alu instid0(SALU_CYCLE_1)
	s_and_b32 vcc_lo, exec_lo, s7
	s_cbranch_vccz .LBB166_461
; %bb.401:
	v_cmp_gt_i16_e32 vcc_lo, 27, v2
	s_mov_b32 s6, -1
	s_cbranch_vccnz .LBB166_407
; %bb.402:
	v_cmp_lt_i16_e32 vcc_lo, 27, v2
	s_cbranch_vccz .LBB166_404
; %bb.403:
	v_mov_b32_e32 v4, s19
	s_mov_b32 s6, 0
	global_store_b32 v[0:1], v4, off
.LBB166_404:
	s_and_not1_b32 vcc_lo, exec_lo, s6
	s_cbranch_vccnz .LBB166_406
; %bb.405:
	v_mov_b32_e32 v4, s19
	global_store_b16 v[0:1], v4, off
.LBB166_406:
	s_mov_b32 s6, 0
.LBB166_407:
	s_delay_alu instid0(SALU_CYCLE_1)
	s_and_not1_b32 vcc_lo, exec_lo, s6
	s_cbranch_vccnz .LBB166_460
; %bb.408:
	v_cvt_f32_u32_e32 v4, s19
	v_mov_b32_e32 v6, 0x80
	s_delay_alu instid0(VALU_DEP_2)
	v_cmp_lt_u32_e32 vcc_lo, 0x437fffff, v4
	v_readfirstlane_b32 s6, v4
	s_cbranch_vccnz .LBB166_459
; %bb.409:
	s_delay_alu instid0(VALU_DEP_1)
	s_cmp_gt_u32 s6, 0x3bffffff
	s_cbranch_scc0 .LBB166_454
; %bb.410:
	s_bfe_u32 s7, s6, 0x10014
	s_delay_alu instid0(SALU_CYCLE_1) | instskip(SKIP_2) | instid1(SALU_CYCLE_1)
	s_add_i32 s6, s6, s7
	s_mov_b32 s7, 0
	s_add_i32 s6, s6, 0x487ffff
	s_lshr_b32 s8, s6, 20
	s_mov_b32 s6, -1
	s_branch .LBB166_455
.LBB166_411:
	s_mov_b32 s6, 0
	s_cbranch_execz .LBB166_615
; %bb.412:
	v_cmp_gt_i16_e32 vcc_lo, 5, v2
	s_mov_b32 s0, -1
	s_cbranch_vccnz .LBB166_433
; %bb.413:
	v_cmp_gt_i16_e32 vcc_lo, 8, v2
	s_cbranch_vccnz .LBB166_423
; %bb.414:
	v_cmp_gt_i16_e32 vcc_lo, 9, v2
	s_cbranch_vccnz .LBB166_420
; %bb.415:
	v_cmp_lt_i16_e32 vcc_lo, 9, v2
	s_cbranch_vccz .LBB166_417
; %bb.416:
	v_cvt_f64_u32_e32 v[4:5], s19
	v_mov_b32_e32 v6, 0
	s_mov_b32 s0, 0
	s_delay_alu instid0(VALU_DEP_1)
	v_mov_b32_e32 v7, v6
	global_store_b128 v[0:1], v[4:7], off
.LBB166_417:
	s_and_not1_b32 vcc_lo, exec_lo, s0
	s_cbranch_vccnz .LBB166_419
; %bb.418:
	v_cvt_f32_u32_e32 v4, s19
	v_mov_b32_e32 v5, 0
	global_store_b64 v[0:1], v[4:5], off
.LBB166_419:
	s_mov_b32 s0, 0
.LBB166_420:
	s_delay_alu instid0(SALU_CYCLE_1)
	s_and_not1_b32 vcc_lo, exec_lo, s0
	s_cbranch_vccnz .LBB166_422
; %bb.421:
	v_cvt_f32_u32_e32 v4, s19
	s_delay_alu instid0(VALU_DEP_1) | instskip(NEXT) | instid1(VALU_DEP_1)
	v_cvt_f16_f32_e32 v4, v4
	v_and_b32_e32 v4, 0xffff, v4
	global_store_b32 v[0:1], v4, off
.LBB166_422:
	s_mov_b32 s0, 0
.LBB166_423:
	s_delay_alu instid0(SALU_CYCLE_1)
	s_and_not1_b32 vcc_lo, exec_lo, s0
	s_cbranch_vccnz .LBB166_432
; %bb.424:
	v_cmp_gt_i16_e32 vcc_lo, 6, v2
	s_mov_b32 s0, -1
	s_cbranch_vccnz .LBB166_430
; %bb.425:
	v_cmp_lt_i16_e32 vcc_lo, 6, v2
	s_cbranch_vccz .LBB166_427
; %bb.426:
	v_cvt_f64_u32_e32 v[4:5], s19
	s_mov_b32 s0, 0
	global_store_b64 v[0:1], v[4:5], off
.LBB166_427:
	s_and_not1_b32 vcc_lo, exec_lo, s0
	s_cbranch_vccnz .LBB166_429
; %bb.428:
	v_cvt_f32_u32_e32 v4, s19
	global_store_b32 v[0:1], v4, off
.LBB166_429:
	s_mov_b32 s0, 0
.LBB166_430:
	s_delay_alu instid0(SALU_CYCLE_1)
	s_and_not1_b32 vcc_lo, exec_lo, s0
	s_cbranch_vccnz .LBB166_432
; %bb.431:
	v_cvt_f32_u32_e32 v4, s19
	s_delay_alu instid0(VALU_DEP_1)
	v_cvt_f16_f32_e32 v4, v4
	global_store_b16 v[0:1], v4, off
.LBB166_432:
	s_mov_b32 s0, 0
.LBB166_433:
	s_delay_alu instid0(SALU_CYCLE_1)
	s_and_not1_b32 vcc_lo, exec_lo, s0
	s_cbranch_vccnz .LBB166_449
; %bb.434:
	v_cmp_gt_i16_e32 vcc_lo, 2, v2
	s_mov_b32 s0, -1
	s_cbranch_vccnz .LBB166_444
; %bb.435:
	v_cmp_gt_i16_e32 vcc_lo, 3, v2
	s_cbranch_vccnz .LBB166_441
; %bb.436:
	v_cmp_lt_i16_e32 vcc_lo, 3, v2
	s_cbranch_vccz .LBB166_438
; %bb.437:
	v_dual_mov_b32 v4, s19 :: v_dual_mov_b32 v5, 0
	s_mov_b32 s0, 0
	global_store_b64 v[0:1], v[4:5], off
.LBB166_438:
	s_and_not1_b32 vcc_lo, exec_lo, s0
	s_cbranch_vccnz .LBB166_440
; %bb.439:
	v_mov_b32_e32 v4, s19
	global_store_b32 v[0:1], v4, off
.LBB166_440:
	s_mov_b32 s0, 0
.LBB166_441:
	s_delay_alu instid0(SALU_CYCLE_1)
	s_and_not1_b32 vcc_lo, exec_lo, s0
	s_cbranch_vccnz .LBB166_443
; %bb.442:
	v_mov_b32_e32 v4, s19
	global_store_b16 v[0:1], v4, off
.LBB166_443:
	s_mov_b32 s0, 0
.LBB166_444:
	s_delay_alu instid0(SALU_CYCLE_1)
	s_and_not1_b32 vcc_lo, exec_lo, s0
	s_cbranch_vccnz .LBB166_449
; %bb.445:
	v_cmp_lt_i16_e32 vcc_lo, 0, v2
	s_mov_b32 s0, -1
	s_cbranch_vccz .LBB166_447
; %bb.446:
	v_mov_b32_e32 v4, s19
	s_mov_b32 s0, 0
	global_store_b8 v[0:1], v4, off
.LBB166_447:
	s_and_not1_b32 vcc_lo, exec_lo, s0
	s_cbranch_vccnz .LBB166_449
; %bb.448:
	v_mov_b32_e32 v4, s19
	global_store_b8 v[0:1], v4, off
.LBB166_449:
	s_branch .LBB166_616
.LBB166_450:
	s_cbranch_execnz .LBB166_452
; %bb.451:
	s_or_b32 s3, s1, exec_lo
	s_cbranch_execz .LBB166_380
	s_branch .LBB166_381
.LBB166_452:
	s_trap 2
	s_sendmsg_rtn_b32 s0, sendmsg(MSG_RTN_GET_DOORBELL)
	s_mov_b32 ttmp2, m0
	s_waitcnt lgkmcnt(0)
	s_and_b32 s0, s0, 0x3ff
	s_delay_alu instid0(SALU_CYCLE_1) | instskip(NEXT) | instid1(SALU_CYCLE_1)
	s_bitset1_b32 s0, 10
	s_mov_b32 m0, s0
	s_sendmsg sendmsg(MSG_INTERRUPT)
	s_mov_b32 m0, ttmp2
.LBB166_453:                            ; =>This Inner Loop Header: Depth=1
	s_sethalt 5
	s_branch .LBB166_453
.LBB166_454:
	s_mov_b32 s7, -1
	s_mov_b32 s6, 0
                                        ; implicit-def: $sgpr8
.LBB166_455:
	v_mov_b32_e32 v5, s8
	s_and_not1_b32 vcc_lo, exec_lo, s7
                                        ; implicit-def: $sgpr7
	s_cbranch_vccnz .LBB166_457
; %bb.456:
	v_add_f32_e32 v4, 0x46000000, v4
	s_mov_b32 s7, 0
	s_delay_alu instid0(VALU_DEP_1) | instskip(NEXT) | instid1(VALU_DEP_1)
	v_and_b32_e32 v5, 0xff, v4
	v_cmp_ne_u32_e64 s6, 0, v5
.LBB166_457:
	v_mov_b32_e32 v6, s7
	s_delay_alu instid0(VALU_DEP_2)
	s_and_not1_b32 vcc_lo, exec_lo, s6
	s_cbranch_vccnz .LBB166_459
; %bb.458:
	v_mov_b32_e32 v6, v5
.LBB166_459:
	global_store_b8 v[0:1], v6, off
.LBB166_460:
	s_mov_b32 s6, -1
.LBB166_461:
	s_mov_b32 s7, 0
.LBB166_462:
	s_delay_alu instid0(SALU_CYCLE_1)
	s_and_b32 vcc_lo, exec_lo, s7
	s_cbranch_vccz .LBB166_611
; %bb.463:
	v_cmp_lt_i16_e32 vcc_lo, 22, v2
	s_mov_b32 s5, -1
	s_cbranch_vccz .LBB166_604
; %bb.464:
	v_cmp_gt_i16_e32 vcc_lo, 24, v2
	s_cbranch_vccnz .LBB166_591
; %bb.465:
	v_cmp_lt_i16_e32 vcc_lo, 24, v2
	s_cbranch_vccz .LBB166_578
; %bb.466:
	v_cvt_f32_u32_e32 v4, s19
	v_mov_b32_e32 v6, 0x80
	s_delay_alu instid0(VALU_DEP_2)
	v_cmp_lt_u32_e32 vcc_lo, 0x477fffff, v4
	v_readfirstlane_b32 s5, v4
	s_cbranch_vccnz .LBB166_577
; %bb.467:
	s_delay_alu instid0(VALU_DEP_1)
	s_cmp_gt_u32 s5, 0x37ffffff
	s_cbranch_scc0 .LBB166_572
; %bb.468:
	s_bfe_u32 s6, s5, 0x10015
	s_delay_alu instid0(SALU_CYCLE_1) | instskip(SKIP_2) | instid1(SALU_CYCLE_1)
	s_add_i32 s5, s5, s6
	s_mov_b32 s6, 0
	s_add_i32 s5, s5, 0x88fffff
	s_lshr_b32 s7, s5, 21
	s_mov_b32 s5, -1
	s_branch .LBB166_573
.LBB166_469:
	s_mov_b32 s28, -1
	s_mov_b32 s27, 0
	s_mov_b32 s9, s24
.LBB166_470:
	s_and_b32 vcc_lo, exec_lo, s28
	s_cbranch_vccz .LBB166_473
; %bb.471:
	v_cmp_eq_u16_e32 vcc_lo, 44, v24
	s_mov_b32 s9, -1
	s_cbranch_vccz .LBB166_473
; %bb.472:
	v_cndmask_b32_e64 v2, v22, 0xff, s8
	s_mov_b32 s27, -1
	s_mov_b32 s9, 0
	global_store_b8 v[6:7], v2, off
.LBB166_473:
	s_mov_b32 s28, 0
.LBB166_474:
	s_delay_alu instid0(SALU_CYCLE_1)
	s_and_b32 vcc_lo, exec_lo, s28
	s_cbranch_vccz .LBB166_477
; %bb.475:
	v_cmp_eq_u16_e32 vcc_lo, 29, v24
	s_mov_b32 s9, -1
	s_cbranch_vccz .LBB166_477
; %bb.476:
	v_dual_mov_b32 v2, s10 :: v_dual_mov_b32 v3, s11
	s_mov_b32 s27, -1
	s_mov_b32 s9, 0
	s_mov_b32 s28, 0
	global_store_b64 v[6:7], v[2:3], off
	s_branch .LBB166_478
.LBB166_477:
	s_mov_b32 s28, 0
.LBB166_478:
	s_delay_alu instid0(SALU_CYCLE_1)
	s_and_b32 vcc_lo, exec_lo, s28
	s_cbranch_vccz .LBB166_491
; %bb.479:
	v_cmp_gt_i16_e32 vcc_lo, 27, v24
	s_mov_b32 s27, -1
	s_cbranch_vccnz .LBB166_485
; %bb.480:
	v_cmp_lt_i16_e32 vcc_lo, 27, v24
	s_cbranch_vccz .LBB166_482
; %bb.481:
	v_mov_b32_e32 v2, s19
	s_mov_b32 s27, 0
	global_store_b32 v[6:7], v2, off
.LBB166_482:
	s_and_not1_b32 vcc_lo, exec_lo, s27
	s_cbranch_vccnz .LBB166_484
; %bb.483:
	v_mov_b32_e32 v2, s19
	global_store_b16 v[6:7], v2, off
.LBB166_484:
	s_mov_b32 s27, 0
.LBB166_485:
	s_delay_alu instid0(SALU_CYCLE_1)
	s_and_not1_b32 vcc_lo, exec_lo, s27
	s_cbranch_vccnz .LBB166_490
; %bb.486:
	v_mov_b32_e32 v2, 0x80
	s_and_not1_b32 vcc_lo, exec_lo, s7
	s_cbranch_vccnz .LBB166_489
; %bb.487:
	v_mov_b32_e32 v2, 0
	s_or_b32 s27, s6, s20
	s_delay_alu instid0(SALU_CYCLE_1)
	s_and_not1_b32 vcc_lo, exec_lo, s27
	s_cbranch_vccnz .LBB166_489
; %bb.488:
	v_cndmask_b32_e64 v2, v20, v21, s6
.LBB166_489:
	global_store_b8 v[6:7], v2, off
.LBB166_490:
	s_mov_b32 s27, -1
.LBB166_491:
	s_mov_b32 s28, 0
.LBB166_492:
	s_delay_alu instid0(SALU_CYCLE_1)
	s_and_b32 vcc_lo, exec_lo, s28
	s_cbranch_vccz .LBB166_514
; %bb.493:
	v_cmp_lt_i16_e32 vcc_lo, 22, v24
	s_mov_b32 s28, -1
	s_cbranch_vccz .LBB166_506
; %bb.494:
	v_cmp_gt_i16_e32 vcc_lo, 24, v24
	s_mov_b32 s27, -1
	s_cbranch_vccnz .LBB166_503
; %bb.495:
	v_cmp_lt_i16_e32 vcc_lo, 24, v24
	s_cbranch_vccz .LBB166_500
; %bb.496:
	v_mov_b32_e32 v2, 0x80
	s_and_not1_b32 vcc_lo, exec_lo, s5
	s_cbranch_vccnz .LBB166_499
; %bb.497:
	v_mov_b32_e32 v2, 0
	s_or_b32 s27, s4, s15
	s_delay_alu instid0(SALU_CYCLE_1)
	s_and_not1_b32 vcc_lo, exec_lo, s27
	s_cbranch_vccnz .LBB166_499
; %bb.498:
	v_cndmask_b32_e64 v2, v12, v19, s4
.LBB166_499:
	s_mov_b32 s27, 0
	global_store_b8 v[6:7], v2, off
.LBB166_500:
	s_and_b32 vcc_lo, exec_lo, s27
	s_cbranch_vccz .LBB166_502
; %bb.501:
	v_cndmask_b32_e64 v2, v16, v17, s3
	s_delay_alu instid0(VALU_DEP_1)
	v_cndmask_b32_e64 v2, v2, v18, s2
	global_store_b8 v[6:7], v2, off
.LBB166_502:
	s_mov_b32 s27, 0
.LBB166_503:
	s_delay_alu instid0(SALU_CYCLE_1)
	s_and_not1_b32 vcc_lo, exec_lo, s27
	s_cbranch_vccnz .LBB166_505
; %bb.504:
	v_cndmask_b32_e64 v2, v13, v14, s1
	s_delay_alu instid0(VALU_DEP_1)
	v_cndmask_b32_e64 v2, v2, v15, s0
	global_store_b8 v[6:7], v2, off
.LBB166_505:
	s_mov_b32 s28, 0
	s_mov_b32 s27, -1
.LBB166_506:
	s_and_not1_b32 vcc_lo, exec_lo, s28
	s_cbranch_vccnz .LBB166_514
; %bb.507:
	v_cmp_lt_i16_e32 vcc_lo, 14, v24
	s_mov_b32 s28, -1
	s_cbranch_vccz .LBB166_511
; %bb.508:
	v_cmp_eq_u16_e32 vcc_lo, 15, v24
	s_mov_b32 s9, -1
	s_cbranch_vccz .LBB166_510
; %bb.509:
	s_mov_b32 s27, -1
	s_mov_b32 s9, 0
	global_store_b16 v[6:7], v11, off
.LBB166_510:
	s_mov_b32 s28, 0
.LBB166_511:
	s_delay_alu instid0(SALU_CYCLE_1)
	s_and_b32 vcc_lo, exec_lo, s28
	s_cbranch_vccz .LBB166_514
; %bb.512:
	v_cmp_eq_u16_e32 vcc_lo, 11, v24
	s_mov_b32 s9, -1
	s_cbranch_vccz .LBB166_514
; %bb.513:
	s_mov_b32 s27, -1
	s_mov_b32 s9, 0
	global_store_b8 v[6:7], v10, off
.LBB166_514:
	s_mov_b32 s28, 0
.LBB166_515:
	s_delay_alu instid0(SALU_CYCLE_1)
	s_and_b32 vcc_lo, exec_lo, s28
	s_cbranch_vccz .LBB166_554
; %bb.516:
	v_cmp_gt_i16_e32 vcc_lo, 5, v24
	s_mov_b32 s27, -1
	s_cbranch_vccnz .LBB166_537
; %bb.517:
	v_cmp_gt_i16_e32 vcc_lo, 8, v24
	s_cbranch_vccnz .LBB166_527
; %bb.518:
	v_cmp_gt_i16_e32 vcc_lo, 9, v24
	s_cbranch_vccnz .LBB166_524
; %bb.519:
	v_cmp_lt_i16_e32 vcc_lo, 9, v24
	s_cbranch_vccz .LBB166_521
; %bb.520:
	v_mov_b32_e32 v2, 0
	s_mov_b32 s27, 0
	s_delay_alu instid0(VALU_DEP_1)
	v_mov_b32_e32 v3, v2
	global_store_b128 v[6:7], v[0:3], off
.LBB166_521:
	s_and_not1_b32 vcc_lo, exec_lo, s27
	s_cbranch_vccnz .LBB166_523
; %bb.522:
	v_mov_b32_e32 v5, 0
	global_store_b64 v[6:7], v[4:5], off
.LBB166_523:
	s_mov_b32 s27, 0
.LBB166_524:
	s_delay_alu instid0(SALU_CYCLE_1)
	s_and_not1_b32 vcc_lo, exec_lo, s27
	s_cbranch_vccnz .LBB166_526
; %bb.525:
	global_store_b32 v[6:7], v9, off
.LBB166_526:
	s_mov_b32 s27, 0
.LBB166_527:
	s_delay_alu instid0(SALU_CYCLE_1)
	s_and_not1_b32 vcc_lo, exec_lo, s27
	s_cbranch_vccnz .LBB166_536
; %bb.528:
	v_cmp_gt_i16_e32 vcc_lo, 6, v24
	s_mov_b32 s27, -1
	s_cbranch_vccnz .LBB166_534
; %bb.529:
	v_cmp_lt_i16_e32 vcc_lo, 6, v24
	s_cbranch_vccz .LBB166_531
; %bb.530:
	s_mov_b32 s27, 0
	global_store_b64 v[6:7], v[0:1], off
.LBB166_531:
	s_and_not1_b32 vcc_lo, exec_lo, s27
	s_cbranch_vccnz .LBB166_533
; %bb.532:
	global_store_b32 v[6:7], v4, off
.LBB166_533:
	s_mov_b32 s27, 0
.LBB166_534:
	s_delay_alu instid0(SALU_CYCLE_1)
	s_and_not1_b32 vcc_lo, exec_lo, s27
	s_cbranch_vccnz .LBB166_536
; %bb.535:
	global_store_b16 v[6:7], v8, off
.LBB166_536:
	s_mov_b32 s27, 0
.LBB166_537:
	s_delay_alu instid0(SALU_CYCLE_1)
	s_and_not1_b32 vcc_lo, exec_lo, s27
	s_cbranch_vccnz .LBB166_553
; %bb.538:
	v_cmp_gt_i16_e32 vcc_lo, 2, v24
	s_mov_b32 s27, -1
	s_cbranch_vccnz .LBB166_548
; %bb.539:
	v_cmp_gt_i16_e32 vcc_lo, 3, v24
	s_cbranch_vccnz .LBB166_545
; %bb.540:
	v_cmp_lt_i16_e32 vcc_lo, 3, v24
	s_cbranch_vccz .LBB166_542
; %bb.541:
	v_dual_mov_b32 v2, s10 :: v_dual_mov_b32 v3, s11
	s_mov_b32 s27, 0
	global_store_b64 v[6:7], v[2:3], off
.LBB166_542:
	s_and_not1_b32 vcc_lo, exec_lo, s27
	s_cbranch_vccnz .LBB166_544
; %bb.543:
	v_mov_b32_e32 v2, s19
	global_store_b32 v[6:7], v2, off
.LBB166_544:
	s_mov_b32 s27, 0
.LBB166_545:
	s_delay_alu instid0(SALU_CYCLE_1)
	s_and_not1_b32 vcc_lo, exec_lo, s27
	s_cbranch_vccnz .LBB166_547
; %bb.546:
	v_mov_b32_e32 v2, s19
	global_store_b16 v[6:7], v2, off
.LBB166_547:
	s_mov_b32 s27, 0
.LBB166_548:
	s_delay_alu instid0(SALU_CYCLE_1)
	s_and_not1_b32 vcc_lo, exec_lo, s27
	s_cbranch_vccnz .LBB166_553
; %bb.549:
	v_cmp_lt_i16_e32 vcc_lo, 0, v24
	s_mov_b32 s27, -1
	s_cbranch_vccz .LBB166_551
; %bb.550:
	v_mov_b32_e32 v2, s19
	s_mov_b32 s27, 0
	global_store_b8 v[6:7], v2, off
.LBB166_551:
	s_and_not1_b32 vcc_lo, exec_lo, s27
	s_cbranch_vccnz .LBB166_553
; %bb.552:
	v_mov_b32_e32 v2, s19
	global_store_b8 v[6:7], v2, off
.LBB166_553:
	s_mov_b32 s27, -1
.LBB166_554:
	s_delay_alu instid0(SALU_CYCLE_1)
	s_and_not1_b32 vcc_lo, exec_lo, s27
	s_cbranch_vccnz .LBB166_556
; %bb.555:
	v_add_nc_u32_e32 v23, 0x80, v23
	s_mov_b32 s28, -1
	s_branch .LBB166_557
.LBB166_556:
	s_mov_b32 s28, 0
                                        ; implicit-def: $vgpr23
.LBB166_557:
	s_and_not1_b32 s27, s24, exec_lo
	s_and_b32 s9, s9, exec_lo
	s_or_not1_b32 s29, s28, exec_lo
	s_or_b32 s27, s27, s9
.LBB166_558:
	s_or_b32 exec_lo, exec_lo, s26
	s_mov_b32 s9, 0
	s_mov_b32 s28, 0
                                        ; implicit-def: $vgpr24
                                        ; implicit-def: $vgpr6_vgpr7
	s_and_saveexec_b32 s26, s29
	s_cbranch_execz .LBB166_789
; %bb.559:
	v_cmp_gt_i32_e32 vcc_lo, s21, v23
	s_mov_b32 s29, s27
                                        ; implicit-def: $vgpr24
                                        ; implicit-def: $vgpr6_vgpr7
	s_and_saveexec_b32 s21, vcc_lo
	s_cbranch_execz .LBB166_788
; %bb.560:
	v_mul_lo_u32 v2, v23, s18
	v_and_b32_e64 v24, 0xff, s13
	s_delay_alu instid0(VALU_DEP_1) | instskip(NEXT) | instid1(VALU_DEP_3)
	v_cmp_gt_i16_e32 vcc_lo, 11, v24
	v_ashrrev_i32_e32 v3, 31, v2
	v_add_co_u32 v6, s9, s16, v2
	s_delay_alu instid0(VALU_DEP_1)
	v_add_co_ci_u32_e64 v7, s9, s17, v3, s9
	s_cbranch_vccnz .LBB166_571
; %bb.561:
	v_cmp_lt_i16_e32 vcc_lo, 25, v24
	s_mov_b32 s28, -1
	s_mov_b32 s9, s27
	s_cbranch_vccz .LBB166_765
; %bb.562:
	v_cmp_lt_i16_e32 vcc_lo, 28, v24
	s_mov_b32 s9, s27
	s_cbranch_vccz .LBB166_752
; %bb.563:
	v_cmp_lt_i16_e32 vcc_lo, 43, v24
	;; [unrolled: 4-line block ×3, first 2 shown]
	s_mov_b32 s9, s27
	s_cbranch_vccz .LBB166_568
; %bb.565:
	v_cmp_eq_u16_e32 vcc_lo, 46, v24
	s_mov_b32 s9, -1
	s_cbranch_vccz .LBB166_567
; %bb.566:
	s_mov_b32 s9, 0
	global_store_b32 v[6:7], v11, off
.LBB166_567:
	s_mov_b32 s28, 0
.LBB166_568:
	s_delay_alu instid0(SALU_CYCLE_1)
	s_and_b32 vcc_lo, exec_lo, s28
	s_cbranch_vccz .LBB166_747
; %bb.569:
	v_cmp_eq_u16_e32 vcc_lo, 44, v24
	s_mov_b32 s9, -1
	s_cbranch_vccz .LBB166_747
; %bb.570:
	v_cndmask_b32_e64 v2, v22, 0xff, s8
	s_mov_b32 s9, 0
	s_mov_b32 s28, 0
	global_store_b8 v[6:7], v2, off
	s_branch .LBB166_748
.LBB166_571:
	s_mov_b32 s0, 0
	s_mov_b32 s6, -1
	s_mov_b32 s9, s27
	s_branch .LBB166_787
.LBB166_572:
	s_mov_b32 s6, -1
	s_mov_b32 s5, 0
                                        ; implicit-def: $sgpr7
.LBB166_573:
	v_mov_b32_e32 v5, s7
	s_and_not1_b32 vcc_lo, exec_lo, s6
                                        ; implicit-def: $sgpr6
	s_cbranch_vccnz .LBB166_575
; %bb.574:
	v_add_f32_e32 v4, 0x42800000, v4
	s_mov_b32 s6, 0
	s_delay_alu instid0(VALU_DEP_1) | instskip(NEXT) | instid1(VALU_DEP_1)
	v_and_b32_e32 v5, 0xff, v4
	v_cmp_ne_u32_e64 s5, 0, v5
.LBB166_575:
	v_mov_b32_e32 v6, s6
	s_delay_alu instid0(VALU_DEP_2)
	s_and_not1_b32 vcc_lo, exec_lo, s5
	s_cbranch_vccnz .LBB166_577
; %bb.576:
	v_mov_b32_e32 v6, v5
.LBB166_577:
	s_mov_b32 s5, 0
	global_store_b8 v[0:1], v6, off
.LBB166_578:
	s_and_b32 vcc_lo, exec_lo, s5
	s_cbranch_vccz .LBB166_590
; %bb.579:
	v_cvt_f32_u32_e32 v4, s19
	s_delay_alu instid0(VALU_DEP_1)
	v_cmp_gt_u32_e32 vcc_lo, 0x43f00000, v4
	v_readfirstlane_b32 s5, v4
	s_cbranch_vccz .LBB166_582
; %bb.580:
	s_delay_alu instid0(VALU_DEP_1)
	s_cmp_gt_u32 s5, 0x3c7fffff
	s_cbranch_scc0 .LBB166_583
; %bb.581:
	s_bfe_u32 s6, s5, 0x10014
	s_delay_alu instid0(SALU_CYCLE_1) | instskip(NEXT) | instid1(SALU_CYCLE_1)
	s_add_i32 s6, s5, s6
	s_add_i32 s6, s6, 0x407ffff
	s_delay_alu instid0(SALU_CYCLE_1)
	s_and_b32 s7, s6, 0xff00000
	s_lshr_b32 s6, s6, 20
	s_cmp_lg_u32 s7, 0x7f00000
	s_cselect_b32 s7, s6, 0x7e
	s_mov_b32 s6, 0
	s_branch .LBB166_584
.LBB166_582:
	s_mov_b32 s6, -1
                                        ; implicit-def: $vgpr5
	s_branch .LBB166_587
.LBB166_583:
	s_mov_b32 s6, -1
                                        ; implicit-def: $sgpr7
.LBB166_584:
	v_mov_b32_e32 v5, s7
	s_and_not1_b32 vcc_lo, exec_lo, s6
	s_cbranch_vccnz .LBB166_586
; %bb.585:
	v_add_f32_e32 v5, 0x46800000, v4
.LBB166_586:
	s_mov_b32 s6, 0
.LBB166_587:
	s_delay_alu instid0(SALU_CYCLE_1)
	s_and_not1_b32 vcc_lo, exec_lo, s6
	s_cbranch_vccnz .LBB166_589
; %bb.588:
	s_cmp_gt_u32 s5, 0x7f800000
	s_movk_i32 s5, 0x7f
	s_delay_alu instid0(SALU_CYCLE_1) | instskip(NEXT) | instid1(SALU_CYCLE_1)
	s_cselect_b32 s5, s5, 0x7e
	v_mov_b32_e32 v5, s5
.LBB166_589:
	global_store_b8 v[0:1], v5, off
.LBB166_590:
	s_mov_b32 s5, 0
.LBB166_591:
	s_delay_alu instid0(SALU_CYCLE_1)
	s_and_not1_b32 vcc_lo, exec_lo, s5
	s_cbranch_vccnz .LBB166_603
; %bb.592:
	v_cvt_f32_u32_e32 v4, s19
	s_delay_alu instid0(VALU_DEP_1)
	v_cmp_gt_u32_e32 vcc_lo, 0x47800000, v4
	v_readfirstlane_b32 s5, v4
	s_cbranch_vccz .LBB166_595
; %bb.593:
	s_delay_alu instid0(VALU_DEP_1)
	s_cmp_gt_u32 s5, 0x387fffff
	s_cbranch_scc0 .LBB166_596
; %bb.594:
	s_bfe_u32 s6, s5, 0x10015
	s_delay_alu instid0(SALU_CYCLE_1) | instskip(NEXT) | instid1(SALU_CYCLE_1)
	s_add_i32 s6, s5, s6
	s_add_i32 s6, s6, 0x80fffff
	s_delay_alu instid0(SALU_CYCLE_1)
	s_lshr_b32 s7, s6, 21
	s_mov_b32 s6, 0
	s_branch .LBB166_597
.LBB166_595:
	s_mov_b32 s6, -1
                                        ; implicit-def: $vgpr5
	s_branch .LBB166_600
.LBB166_596:
	s_mov_b32 s6, -1
                                        ; implicit-def: $sgpr7
.LBB166_597:
	v_mov_b32_e32 v5, s7
	s_and_not1_b32 vcc_lo, exec_lo, s6
	s_cbranch_vccnz .LBB166_599
; %bb.598:
	v_add_f32_e32 v5, 0x43000000, v4
.LBB166_599:
	s_mov_b32 s6, 0
.LBB166_600:
	s_delay_alu instid0(SALU_CYCLE_1)
	s_and_not1_b32 vcc_lo, exec_lo, s6
	s_cbranch_vccnz .LBB166_602
; %bb.601:
	s_cmp_gt_u32 s5, 0x7f800000
	s_movk_i32 s5, 0x7f
	s_delay_alu instid0(SALU_CYCLE_1) | instskip(NEXT) | instid1(SALU_CYCLE_1)
	s_cselect_b32 s5, s5, 0x7c
	v_mov_b32_e32 v5, s5
.LBB166_602:
	global_store_b8 v[0:1], v5, off
.LBB166_603:
	s_mov_b32 s5, 0
	s_mov_b32 s6, -1
.LBB166_604:
	s_and_not1_b32 vcc_lo, exec_lo, s5
	s_mov_b32 s5, 0
	s_cbranch_vccnz .LBB166_611
; %bb.605:
	v_cmp_lt_i16_e32 vcc_lo, 14, v2
	s_mov_b32 s5, -1
	s_cbranch_vccz .LBB166_609
; %bb.606:
	v_cmp_eq_u16_e32 vcc_lo, 15, v2
	s_mov_b32 s0, -1
	s_cbranch_vccz .LBB166_608
; %bb.607:
	v_cvt_f32_u32_e32 v4, s19
	s_mov_b32 s0, 0
	s_mov_b32 s6, -1
	s_delay_alu instid0(VALU_DEP_1) | instskip(NEXT) | instid1(VALU_DEP_1)
	v_bfe_u32 v5, v4, 16, 1
	v_add_nc_u32_e32 v4, v4, v5
	s_delay_alu instid0(VALU_DEP_1)
	v_add_nc_u32_e32 v4, 0x7fff, v4
	global_store_d16_hi_b16 v[0:1], v4, off
.LBB166_608:
	s_mov_b32 s5, 0
.LBB166_609:
	s_delay_alu instid0(SALU_CYCLE_1)
	s_and_b32 vcc_lo, exec_lo, s5
	s_mov_b32 s5, 0
	s_cbranch_vccz .LBB166_611
; %bb.610:
	v_cmp_ne_u16_e64 s0, 11, v2
	s_mov_b32 s5, -1
.LBB166_611:
	s_delay_alu instid0(VALU_DEP_1)
	s_and_b32 vcc_lo, exec_lo, s0
	s_cbranch_vccnz .LBB166_728
; %bb.612:
	s_and_not1_b32 vcc_lo, exec_lo, s5
	s_cbranch_vccnz .LBB166_614
.LBB166_613:
	s_cmp_lg_u32 s19, 0
	s_mov_b32 s6, -1
	s_cselect_b32 s0, -1, 0
	s_delay_alu instid0(SALU_CYCLE_1)
	v_cndmask_b32_e64 v4, 0, 1, s0
	global_store_b8 v[0:1], v4, off
.LBB166_614:
.LBB166_615:
	s_and_not1_b32 vcc_lo, exec_lo, s6
	s_cbranch_vccnz .LBB166_683
.LBB166_616:
	v_add_nc_u32_e32 v3, s4, v3
	v_cmp_gt_i16_e32 vcc_lo, 11, v2
	s_delay_alu instid0(VALU_DEP_2) | instskip(SKIP_1) | instid1(VALU_DEP_1)
	v_ashrrev_i32_e32 v1, 31, v3
	v_add_co_u32 v0, s0, s16, v3
	v_add_co_ci_u32_e64 v1, s0, s17, v1, s0
	s_cbranch_vccnz .LBB166_644
; %bb.617:
	v_cmp_lt_i16_e32 vcc_lo, 25, v2
	s_mov_b32 s7, -1
	s_mov_b32 s5, 0
	s_mov_b32 s6, 0
	;; [unrolled: 1-line block ×3, first 2 shown]
	s_cbranch_vccz .LBB166_740
; %bb.618:
	v_cmp_lt_i16_e32 vcc_lo, 28, v2
	s_cbranch_vccz .LBB166_633
; %bb.619:
	v_cmp_lt_i16_e32 vcc_lo, 43, v2
	;; [unrolled: 3-line block ×3, first 2 shown]
	s_cbranch_vccz .LBB166_623
; %bb.621:
	v_cmp_eq_u16_e32 vcc_lo, 46, v2
	s_mov_b32 s0, -1
	s_mov_b32 s7, 0
	s_cbranch_vccz .LBB166_623
; %bb.622:
	v_cvt_f32_u32_e32 v4, s19
	s_mov_b32 s0, 0
	s_mov_b32 s6, -1
	s_delay_alu instid0(VALU_DEP_1) | instskip(NEXT) | instid1(VALU_DEP_1)
	v_bfe_u32 v5, v4, 16, 1
	v_add_nc_u32_e32 v4, v4, v5
	s_delay_alu instid0(VALU_DEP_1) | instskip(NEXT) | instid1(VALU_DEP_1)
	v_add_nc_u32_e32 v4, 0x7fff, v4
	v_lshrrev_b32_e32 v4, 16, v4
	global_store_b32 v[0:1], v4, off
.LBB166_623:
	s_and_b32 vcc_lo, exec_lo, s7
	s_cbranch_vccz .LBB166_628
; %bb.624:
	v_cmp_eq_u16_e32 vcc_lo, 44, v2
	s_mov_b32 s0, -1
	s_cbranch_vccz .LBB166_628
; %bb.625:
	v_cvt_f32_u32_e32 v4, s19
	s_delay_alu instid0(VALU_DEP_1) | instskip(SKIP_1) | instid1(VALU_DEP_2)
	v_readfirstlane_b32 s6, v4
	v_mov_b32_e32 v4, 0xff
	s_lshr_b32 s0, s6, 23
	s_delay_alu instid0(SALU_CYCLE_1)
	s_cmpk_eq_i32 s0, 0xff
	s_cbranch_scc1 .LBB166_627
; %bb.626:
	s_bitcmp1_b32 s6, 22
	s_cselect_b32 s7, -1, 0
	s_and_b32 s6, s6, 0x3fffff
	s_delay_alu instid0(SALU_CYCLE_1) | instskip(NEXT) | instid1(SALU_CYCLE_1)
	s_or_b32 s6, s0, s6
	s_cmp_lg_u32 s6, 0
	s_cselect_b32 s6, -1, 0
	s_delay_alu instid0(SALU_CYCLE_1) | instskip(NEXT) | instid1(SALU_CYCLE_1)
	s_and_b32 s6, s7, s6
	v_cndmask_b32_e64 v4, 0, 1, s6
	s_delay_alu instid0(VALU_DEP_1)
	v_add_nc_u32_e32 v4, s0, v4
.LBB166_627:
	s_mov_b32 s0, 0
	s_mov_b32 s6, -1
	global_store_b8 v[0:1], v4, off
.LBB166_628:
	s_mov_b32 s7, 0
.LBB166_629:
	s_delay_alu instid0(SALU_CYCLE_1)
	s_and_b32 vcc_lo, exec_lo, s7
	s_cbranch_vccz .LBB166_632
; %bb.630:
	v_cmp_eq_u16_e32 vcc_lo, 29, v2
	s_mov_b32 s0, -1
	s_cbranch_vccz .LBB166_632
; %bb.631:
	v_dual_mov_b32 v4, s19 :: v_dual_mov_b32 v5, 0
	s_mov_b32 s0, 0
	s_mov_b32 s6, -1
	global_store_b64 v[0:1], v[4:5], off
.LBB166_632:
	s_mov_b32 s7, 0
.LBB166_633:
	s_delay_alu instid0(SALU_CYCLE_1)
	s_and_b32 vcc_lo, exec_lo, s7
	s_cbranch_vccz .LBB166_739
; %bb.634:
	v_cmp_gt_i16_e32 vcc_lo, 27, v2
	s_mov_b32 s6, -1
	s_cbranch_vccnz .LBB166_640
; %bb.635:
	v_cmp_lt_i16_e32 vcc_lo, 27, v2
	s_cbranch_vccz .LBB166_637
; %bb.636:
	v_mov_b32_e32 v4, s19
	s_mov_b32 s6, 0
	global_store_b32 v[0:1], v4, off
.LBB166_637:
	s_and_not1_b32 vcc_lo, exec_lo, s6
	s_cbranch_vccnz .LBB166_639
; %bb.638:
	v_mov_b32_e32 v4, s19
	global_store_b16 v[0:1], v4, off
.LBB166_639:
	s_mov_b32 s6, 0
.LBB166_640:
	s_delay_alu instid0(SALU_CYCLE_1)
	s_and_not1_b32 vcc_lo, exec_lo, s6
	s_cbranch_vccnz .LBB166_738
; %bb.641:
	v_cvt_f32_u32_e32 v4, s19
	v_mov_b32_e32 v6, 0x80
	s_delay_alu instid0(VALU_DEP_2)
	v_cmp_lt_u32_e32 vcc_lo, 0x437fffff, v4
	v_readfirstlane_b32 s6, v4
	s_cbranch_vccnz .LBB166_737
; %bb.642:
	s_delay_alu instid0(VALU_DEP_1)
	s_cmp_gt_u32 s6, 0x3bffffff
	s_cbranch_scc0 .LBB166_732
; %bb.643:
	s_bfe_u32 s7, s6, 0x10014
	s_delay_alu instid0(SALU_CYCLE_1) | instskip(SKIP_2) | instid1(SALU_CYCLE_1)
	s_add_i32 s6, s6, s7
	s_mov_b32 s7, 0
	s_add_i32 s6, s6, 0x487ffff
	s_lshr_b32 s8, s6, 20
	s_mov_b32 s6, -1
	s_branch .LBB166_733
.LBB166_644:
	s_mov_b32 s6, 0
	s_cbranch_execz .LBB166_838
; %bb.645:
	v_cmp_gt_i16_e32 vcc_lo, 5, v2
	s_mov_b32 s0, -1
	s_cbranch_vccnz .LBB166_666
; %bb.646:
	v_cmp_gt_i16_e32 vcc_lo, 8, v2
	s_cbranch_vccnz .LBB166_656
; %bb.647:
	v_cmp_gt_i16_e32 vcc_lo, 9, v2
	s_cbranch_vccnz .LBB166_653
; %bb.648:
	v_cmp_lt_i16_e32 vcc_lo, 9, v2
	s_cbranch_vccz .LBB166_650
; %bb.649:
	v_cvt_f64_u32_e32 v[4:5], s19
	v_mov_b32_e32 v6, 0
	s_mov_b32 s0, 0
	s_delay_alu instid0(VALU_DEP_1)
	v_mov_b32_e32 v7, v6
	global_store_b128 v[0:1], v[4:7], off
.LBB166_650:
	s_and_not1_b32 vcc_lo, exec_lo, s0
	s_cbranch_vccnz .LBB166_652
; %bb.651:
	v_cvt_f32_u32_e32 v4, s19
	v_mov_b32_e32 v5, 0
	global_store_b64 v[0:1], v[4:5], off
.LBB166_652:
	s_mov_b32 s0, 0
.LBB166_653:
	s_delay_alu instid0(SALU_CYCLE_1)
	s_and_not1_b32 vcc_lo, exec_lo, s0
	s_cbranch_vccnz .LBB166_655
; %bb.654:
	v_cvt_f32_u32_e32 v4, s19
	s_delay_alu instid0(VALU_DEP_1) | instskip(NEXT) | instid1(VALU_DEP_1)
	v_cvt_f16_f32_e32 v4, v4
	v_and_b32_e32 v4, 0xffff, v4
	global_store_b32 v[0:1], v4, off
.LBB166_655:
	s_mov_b32 s0, 0
.LBB166_656:
	s_delay_alu instid0(SALU_CYCLE_1)
	s_and_not1_b32 vcc_lo, exec_lo, s0
	s_cbranch_vccnz .LBB166_665
; %bb.657:
	v_cmp_gt_i16_e32 vcc_lo, 6, v2
	s_mov_b32 s0, -1
	s_cbranch_vccnz .LBB166_663
; %bb.658:
	v_cmp_lt_i16_e32 vcc_lo, 6, v2
	s_cbranch_vccz .LBB166_660
; %bb.659:
	v_cvt_f64_u32_e32 v[4:5], s19
	s_mov_b32 s0, 0
	global_store_b64 v[0:1], v[4:5], off
.LBB166_660:
	s_and_not1_b32 vcc_lo, exec_lo, s0
	s_cbranch_vccnz .LBB166_662
; %bb.661:
	v_cvt_f32_u32_e32 v4, s19
	global_store_b32 v[0:1], v4, off
.LBB166_662:
	s_mov_b32 s0, 0
.LBB166_663:
	s_delay_alu instid0(SALU_CYCLE_1)
	s_and_not1_b32 vcc_lo, exec_lo, s0
	s_cbranch_vccnz .LBB166_665
; %bb.664:
	v_cvt_f32_u32_e32 v4, s19
	s_delay_alu instid0(VALU_DEP_1)
	v_cvt_f16_f32_e32 v4, v4
	global_store_b16 v[0:1], v4, off
.LBB166_665:
	s_mov_b32 s0, 0
.LBB166_666:
	s_delay_alu instid0(SALU_CYCLE_1)
	s_and_not1_b32 vcc_lo, exec_lo, s0
	s_cbranch_vccnz .LBB166_682
; %bb.667:
	v_cmp_gt_i16_e32 vcc_lo, 2, v2
	s_mov_b32 s0, -1
	s_cbranch_vccnz .LBB166_677
; %bb.668:
	v_cmp_gt_i16_e32 vcc_lo, 3, v2
	s_cbranch_vccnz .LBB166_674
; %bb.669:
	v_cmp_lt_i16_e32 vcc_lo, 3, v2
	s_cbranch_vccz .LBB166_671
; %bb.670:
	v_dual_mov_b32 v4, s19 :: v_dual_mov_b32 v5, 0
	s_mov_b32 s0, 0
	global_store_b64 v[0:1], v[4:5], off
.LBB166_671:
	s_and_not1_b32 vcc_lo, exec_lo, s0
	s_cbranch_vccnz .LBB166_673
; %bb.672:
	v_mov_b32_e32 v4, s19
	global_store_b32 v[0:1], v4, off
.LBB166_673:
	s_mov_b32 s0, 0
.LBB166_674:
	s_delay_alu instid0(SALU_CYCLE_1)
	s_and_not1_b32 vcc_lo, exec_lo, s0
	s_cbranch_vccnz .LBB166_676
; %bb.675:
	v_mov_b32_e32 v4, s19
	global_store_b16 v[0:1], v4, off
.LBB166_676:
	s_mov_b32 s0, 0
.LBB166_677:
	s_delay_alu instid0(SALU_CYCLE_1)
	s_and_not1_b32 vcc_lo, exec_lo, s0
	s_cbranch_vccnz .LBB166_682
; %bb.678:
	v_cmp_lt_i16_e32 vcc_lo, 0, v2
	s_mov_b32 s0, -1
	s_cbranch_vccz .LBB166_680
; %bb.679:
	v_mov_b32_e32 v4, s19
	s_mov_b32 s0, 0
	global_store_b8 v[0:1], v4, off
.LBB166_680:
	s_and_not1_b32 vcc_lo, exec_lo, s0
	s_cbranch_vccnz .LBB166_682
; %bb.681:
	v_mov_b32_e32 v4, s19
	global_store_b8 v[0:1], v4, off
.LBB166_682:
	s_branch .LBB166_839
.LBB166_683:
	s_mov_b32 s0, 0
	s_mov_b32 s4, 0
                                        ; implicit-def: $vgpr2
                                        ; implicit-def: $vgpr0_vgpr1
.LBB166_684:
	s_and_not1_b32 s1, s1, exec_lo
	s_and_b32 s3, s3, exec_lo
	s_and_b32 s0, s0, exec_lo
	;; [unrolled: 1-line block ×3, first 2 shown]
	s_or_b32 s1, s1, s3
.LBB166_685:
	s_or_b32 exec_lo, exec_lo, s2
	s_and_saveexec_b32 s2, s1
	s_cbranch_execz .LBB166_688
; %bb.686:
	; divergent unreachable
	s_or_b32 exec_lo, exec_lo, s2
	s_and_saveexec_b32 s1, s12
	s_delay_alu instid0(SALU_CYCLE_1)
	s_xor_b32 s1, exec_lo, s1
	s_cbranch_execnz .LBB166_689
.LBB166_687:
	s_or_b32 exec_lo, exec_lo, s1
	s_and_saveexec_b32 s1, s0
	s_cbranch_execnz .LBB166_690
	s_branch .LBB166_727
.LBB166_688:
	s_or_b32 exec_lo, exec_lo, s2
	s_and_saveexec_b32 s1, s12
	s_delay_alu instid0(SALU_CYCLE_1)
	s_xor_b32 s1, exec_lo, s1
	s_cbranch_execz .LBB166_687
.LBB166_689:
	s_cmp_lg_u32 s19, 0
	s_cselect_b32 s2, -1, 0
	s_delay_alu instid0(SALU_CYCLE_1)
	v_cndmask_b32_e64 v3, 0, 1, s2
	global_store_b8 v[0:1], v3, off
	s_or_b32 exec_lo, exec_lo, s1
	s_and_saveexec_b32 s1, s0
	s_cbranch_execz .LBB166_727
.LBB166_690:
	v_cmp_gt_i16_e32 vcc_lo, 5, v2
	s_mov_b32 s0, -1
	s_cbranch_vccnz .LBB166_711
; %bb.691:
	v_cmp_gt_i16_e32 vcc_lo, 8, v2
	s_cbranch_vccnz .LBB166_701
; %bb.692:
	v_cmp_gt_i16_e32 vcc_lo, 9, v2
	s_cbranch_vccnz .LBB166_698
; %bb.693:
	v_cmp_lt_i16_e32 vcc_lo, 9, v2
	s_cbranch_vccz .LBB166_695
; %bb.694:
	v_cvt_f64_u32_e32 v[3:4], s19
	v_mov_b32_e32 v5, 0
	s_mov_b32 s0, 0
	s_delay_alu instid0(VALU_DEP_1)
	v_mov_b32_e32 v6, v5
	global_store_b128 v[0:1], v[3:6], off
.LBB166_695:
	s_and_not1_b32 vcc_lo, exec_lo, s0
	s_cbranch_vccnz .LBB166_697
; %bb.696:
	v_cvt_f32_u32_e32 v3, s19
	v_mov_b32_e32 v4, 0
	global_store_b64 v[0:1], v[3:4], off
.LBB166_697:
	s_mov_b32 s0, 0
.LBB166_698:
	s_delay_alu instid0(SALU_CYCLE_1)
	s_and_not1_b32 vcc_lo, exec_lo, s0
	s_cbranch_vccnz .LBB166_700
; %bb.699:
	v_cvt_f32_u32_e32 v3, s19
	s_delay_alu instid0(VALU_DEP_1) | instskip(NEXT) | instid1(VALU_DEP_1)
	v_cvt_f16_f32_e32 v3, v3
	v_and_b32_e32 v3, 0xffff, v3
	global_store_b32 v[0:1], v3, off
.LBB166_700:
	s_mov_b32 s0, 0
.LBB166_701:
	s_delay_alu instid0(SALU_CYCLE_1)
	s_and_not1_b32 vcc_lo, exec_lo, s0
	s_cbranch_vccnz .LBB166_710
; %bb.702:
	v_cmp_gt_i16_e32 vcc_lo, 6, v2
	s_mov_b32 s0, -1
	s_cbranch_vccnz .LBB166_708
; %bb.703:
	v_cmp_lt_i16_e32 vcc_lo, 6, v2
	s_cbranch_vccz .LBB166_705
; %bb.704:
	v_cvt_f64_u32_e32 v[3:4], s19
	s_mov_b32 s0, 0
	global_store_b64 v[0:1], v[3:4], off
.LBB166_705:
	s_and_not1_b32 vcc_lo, exec_lo, s0
	s_cbranch_vccnz .LBB166_707
; %bb.706:
	v_cvt_f32_u32_e32 v3, s19
	global_store_b32 v[0:1], v3, off
.LBB166_707:
	s_mov_b32 s0, 0
.LBB166_708:
	s_delay_alu instid0(SALU_CYCLE_1)
	s_and_not1_b32 vcc_lo, exec_lo, s0
	s_cbranch_vccnz .LBB166_710
; %bb.709:
	v_cvt_f32_u32_e32 v3, s19
	s_delay_alu instid0(VALU_DEP_1)
	v_cvt_f16_f32_e32 v3, v3
	global_store_b16 v[0:1], v3, off
.LBB166_710:
	s_mov_b32 s0, 0
.LBB166_711:
	s_delay_alu instid0(SALU_CYCLE_1)
	s_and_not1_b32 vcc_lo, exec_lo, s0
	s_cbranch_vccnz .LBB166_727
; %bb.712:
	v_cmp_gt_i16_e32 vcc_lo, 2, v2
	s_mov_b32 s0, -1
	s_cbranch_vccnz .LBB166_722
; %bb.713:
	v_cmp_gt_i16_e32 vcc_lo, 3, v2
	s_cbranch_vccnz .LBB166_719
; %bb.714:
	v_cmp_lt_i16_e32 vcc_lo, 3, v2
	s_cbranch_vccz .LBB166_716
; %bb.715:
	v_dual_mov_b32 v3, s19 :: v_dual_mov_b32 v4, 0
	s_mov_b32 s0, 0
	global_store_b64 v[0:1], v[3:4], off
.LBB166_716:
	s_and_not1_b32 vcc_lo, exec_lo, s0
	s_cbranch_vccnz .LBB166_718
; %bb.717:
	v_mov_b32_e32 v3, s19
	global_store_b32 v[0:1], v3, off
.LBB166_718:
	s_mov_b32 s0, 0
.LBB166_719:
	s_delay_alu instid0(SALU_CYCLE_1)
	s_and_not1_b32 vcc_lo, exec_lo, s0
	s_cbranch_vccnz .LBB166_721
; %bb.720:
	v_mov_b32_e32 v3, s19
	global_store_b16 v[0:1], v3, off
.LBB166_721:
	s_mov_b32 s0, 0
.LBB166_722:
	s_delay_alu instid0(SALU_CYCLE_1)
	s_and_not1_b32 vcc_lo, exec_lo, s0
	s_cbranch_vccnz .LBB166_727
; %bb.723:
	v_cmp_lt_i16_e32 vcc_lo, 0, v2
	s_mov_b32 s0, -1
	s_cbranch_vccz .LBB166_725
; %bb.724:
	v_mov_b32_e32 v2, s19
	s_mov_b32 s0, 0
	global_store_b8 v[0:1], v2, off
.LBB166_725:
	s_and_not1_b32 vcc_lo, exec_lo, s0
	s_cbranch_vccnz .LBB166_727
; %bb.726:
	v_mov_b32_e32 v2, s19
	global_store_b8 v[0:1], v2, off
	s_nop 0
	s_sendmsg sendmsg(MSG_DEALLOC_VGPRS)
	s_endpgm
.LBB166_727:
	s_nop 0
	s_sendmsg sendmsg(MSG_DEALLOC_VGPRS)
	s_endpgm
.LBB166_728:
	s_cbranch_execnz .LBB166_730
; %bb.729:
	s_or_b32 s3, s3, exec_lo
	s_cbranch_execz .LBB166_613
	s_branch .LBB166_614
.LBB166_730:
	s_trap 2
	s_sendmsg_rtn_b32 s0, sendmsg(MSG_RTN_GET_DOORBELL)
	s_mov_b32 ttmp2, m0
	s_waitcnt lgkmcnt(0)
	s_and_b32 s0, s0, 0x3ff
	s_delay_alu instid0(SALU_CYCLE_1) | instskip(NEXT) | instid1(SALU_CYCLE_1)
	s_bitset1_b32 s0, 10
	s_mov_b32 m0, s0
	s_sendmsg sendmsg(MSG_INTERRUPT)
	s_mov_b32 m0, ttmp2
.LBB166_731:                            ; =>This Inner Loop Header: Depth=1
	s_sethalt 5
	s_branch .LBB166_731
.LBB166_732:
	s_mov_b32 s7, -1
	s_mov_b32 s6, 0
                                        ; implicit-def: $sgpr8
.LBB166_733:
	v_mov_b32_e32 v5, s8
	s_and_not1_b32 vcc_lo, exec_lo, s7
                                        ; implicit-def: $sgpr7
	s_cbranch_vccnz .LBB166_735
; %bb.734:
	v_add_f32_e32 v4, 0x46000000, v4
	s_mov_b32 s7, 0
	s_delay_alu instid0(VALU_DEP_1) | instskip(NEXT) | instid1(VALU_DEP_1)
	v_and_b32_e32 v5, 0xff, v4
	v_cmp_ne_u32_e64 s6, 0, v5
.LBB166_735:
	v_mov_b32_e32 v6, s7
	s_delay_alu instid0(VALU_DEP_2)
	s_and_not1_b32 vcc_lo, exec_lo, s6
	s_cbranch_vccnz .LBB166_737
; %bb.736:
	v_mov_b32_e32 v6, v5
.LBB166_737:
	global_store_b8 v[0:1], v6, off
.LBB166_738:
	s_mov_b32 s6, -1
.LBB166_739:
	s_mov_b32 s7, 0
.LBB166_740:
	s_delay_alu instid0(SALU_CYCLE_1)
	s_and_b32 vcc_lo, exec_lo, s7
	s_cbranch_vccz .LBB166_834
; %bb.741:
	v_cmp_lt_i16_e32 vcc_lo, 22, v2
	s_mov_b32 s5, -1
	s_cbranch_vccz .LBB166_827
; %bb.742:
	v_cmp_gt_i16_e32 vcc_lo, 24, v2
	s_cbranch_vccnz .LBB166_814
; %bb.743:
	v_cmp_lt_i16_e32 vcc_lo, 24, v2
	s_cbranch_vccz .LBB166_801
; %bb.744:
	v_cvt_f32_u32_e32 v4, s19
	v_mov_b32_e32 v6, 0x80
	s_delay_alu instid0(VALU_DEP_2)
	v_cmp_lt_u32_e32 vcc_lo, 0x477fffff, v4
	v_readfirstlane_b32 s5, v4
	s_cbranch_vccnz .LBB166_800
; %bb.745:
	s_delay_alu instid0(VALU_DEP_1)
	s_cmp_gt_u32 s5, 0x37ffffff
	s_cbranch_scc0 .LBB166_795
; %bb.746:
	s_bfe_u32 s6, s5, 0x10015
	s_delay_alu instid0(SALU_CYCLE_1) | instskip(SKIP_2) | instid1(SALU_CYCLE_1)
	s_add_i32 s5, s5, s6
	s_mov_b32 s6, 0
	s_add_i32 s5, s5, 0x88fffff
	s_lshr_b32 s7, s5, 21
	s_mov_b32 s5, -1
	s_branch .LBB166_796
.LBB166_747:
	s_mov_b32 s28, 0
.LBB166_748:
	s_delay_alu instid0(SALU_CYCLE_1)
	s_and_b32 vcc_lo, exec_lo, s28
	s_cbranch_vccz .LBB166_751
; %bb.749:
	v_cmp_eq_u16_e32 vcc_lo, 29, v24
	s_mov_b32 s9, -1
	s_cbranch_vccz .LBB166_751
; %bb.750:
	v_dual_mov_b32 v2, s10 :: v_dual_mov_b32 v3, s11
	s_mov_b32 s9, 0
	s_mov_b32 s28, 0
	global_store_b64 v[6:7], v[2:3], off
	s_branch .LBB166_752
.LBB166_751:
	s_mov_b32 s28, 0
.LBB166_752:
	s_delay_alu instid0(SALU_CYCLE_1)
	s_and_b32 vcc_lo, exec_lo, s28
	s_cbranch_vccz .LBB166_764
; %bb.753:
	v_cmp_gt_i16_e32 vcc_lo, 27, v24
	s_mov_b32 s8, -1
	s_cbranch_vccnz .LBB166_759
; %bb.754:
	v_cmp_lt_i16_e32 vcc_lo, 27, v24
	s_cbranch_vccz .LBB166_756
; %bb.755:
	v_mov_b32_e32 v2, s19
	s_mov_b32 s8, 0
	global_store_b32 v[6:7], v2, off
.LBB166_756:
	s_and_not1_b32 vcc_lo, exec_lo, s8
	s_cbranch_vccnz .LBB166_758
; %bb.757:
	v_mov_b32_e32 v2, s19
	global_store_b16 v[6:7], v2, off
.LBB166_758:
	s_mov_b32 s8, 0
.LBB166_759:
	s_delay_alu instid0(SALU_CYCLE_1)
	s_and_not1_b32 vcc_lo, exec_lo, s8
	s_cbranch_vccnz .LBB166_764
; %bb.760:
	v_mov_b32_e32 v2, 0x80
	s_and_not1_b32 vcc_lo, exec_lo, s7
	s_cbranch_vccnz .LBB166_763
; %bb.761:
	v_mov_b32_e32 v2, 0
	s_or_b32 s7, s6, s20
	s_delay_alu instid0(SALU_CYCLE_1)
	s_and_not1_b32 vcc_lo, exec_lo, s7
	s_cbranch_vccnz .LBB166_763
; %bb.762:
	v_cndmask_b32_e64 v2, v20, v21, s6
.LBB166_763:
	global_store_b8 v[6:7], v2, off
.LBB166_764:
	s_mov_b32 s28, 0
.LBB166_765:
	s_delay_alu instid0(SALU_CYCLE_1)
	s_and_b32 vcc_lo, exec_lo, s28
	s_mov_b32 s6, 0
	s_cbranch_vccz .LBB166_786
; %bb.766:
	v_cmp_lt_i16_e32 vcc_lo, 22, v24
	s_mov_b32 s7, -1
	s_cbranch_vccz .LBB166_779
; %bb.767:
	v_cmp_gt_i16_e32 vcc_lo, 24, v24
	s_cbranch_vccnz .LBB166_776
; %bb.768:
	v_cmp_lt_i16_e32 vcc_lo, 24, v24
	s_cbranch_vccz .LBB166_773
; %bb.769:
	v_mov_b32_e32 v2, 0x80
	s_and_not1_b32 vcc_lo, exec_lo, s5
	s_cbranch_vccnz .LBB166_772
; %bb.770:
	v_mov_b32_e32 v2, 0
	s_or_b32 s5, s4, s15
	s_delay_alu instid0(SALU_CYCLE_1)
	s_and_not1_b32 vcc_lo, exec_lo, s5
	s_cbranch_vccnz .LBB166_772
; %bb.771:
	v_cndmask_b32_e64 v2, v12, v19, s4
.LBB166_772:
	s_mov_b32 s7, 0
	global_store_b8 v[6:7], v2, off
.LBB166_773:
	s_and_b32 vcc_lo, exec_lo, s7
	s_cbranch_vccz .LBB166_775
; %bb.774:
	v_cndmask_b32_e64 v2, v16, v17, s3
	s_delay_alu instid0(VALU_DEP_1)
	v_cndmask_b32_e64 v2, v2, v18, s2
	global_store_b8 v[6:7], v2, off
.LBB166_775:
	s_mov_b32 s7, 0
.LBB166_776:
	s_delay_alu instid0(SALU_CYCLE_1)
	s_and_not1_b32 vcc_lo, exec_lo, s7
	s_cbranch_vccnz .LBB166_778
; %bb.777:
	v_cndmask_b32_e64 v2, v13, v14, s1
	s_delay_alu instid0(VALU_DEP_1)
	v_cndmask_b32_e64 v2, v2, v15, s0
	global_store_b8 v[6:7], v2, off
.LBB166_778:
	s_mov_b32 s7, 0
.LBB166_779:
	s_delay_alu instid0(SALU_CYCLE_1)
	s_and_not1_b32 vcc_lo, exec_lo, s7
	s_mov_b32 s0, 0
	s_cbranch_vccnz .LBB166_787
; %bb.780:
	v_cmp_lt_i16_e32 vcc_lo, 14, v24
	s_mov_b32 s0, -1
	s_cbranch_vccz .LBB166_784
; %bb.781:
	v_cmp_eq_u16_e32 vcc_lo, 15, v24
	s_mov_b32 s9, -1
	s_cbranch_vccz .LBB166_783
; %bb.782:
	s_mov_b32 s9, 0
	global_store_b16 v[6:7], v11, off
.LBB166_783:
	s_mov_b32 s0, 0
.LBB166_784:
	s_delay_alu instid0(SALU_CYCLE_1)
	s_and_b32 vcc_lo, exec_lo, s0
	s_mov_b32 s0, 0
	s_cbranch_vccz .LBB166_787
; %bb.785:
	v_cmp_ne_u16_e32 vcc_lo, 11, v24
	s_and_not1_b32 s1, s9, exec_lo
	s_mov_b32 s0, -1
	s_and_b32 s2, vcc_lo, exec_lo
	s_delay_alu instid0(SALU_CYCLE_1)
	s_or_b32 s9, s1, s2
	s_branch .LBB166_787
.LBB166_786:
	s_mov_b32 s0, 0
.LBB166_787:
	s_and_not1_b32 s1, s27, exec_lo
	s_and_b32 s2, s9, exec_lo
	s_and_b32 s28, s6, exec_lo
	;; [unrolled: 1-line block ×3, first 2 shown]
	s_or_b32 s29, s1, s2
.LBB166_788:
	s_or_b32 exec_lo, exec_lo, s21
	s_delay_alu instid0(SALU_CYCLE_1)
	s_and_not1_b32 s0, s27, exec_lo
	s_and_b32 s1, s29, exec_lo
	s_and_b32 s28, s28, exec_lo
	;; [unrolled: 1-line block ×3, first 2 shown]
	s_or_b32 s27, s0, s1
.LBB166_789:
	s_or_b32 exec_lo, exec_lo, s26
	s_delay_alu instid0(SALU_CYCLE_1)
	s_and_not1_b32 s0, s24, exec_lo
	s_and_b32 s1, s27, exec_lo
	s_and_b32 s28, s28, exec_lo
	;; [unrolled: 1-line block ×3, first 2 shown]
	s_or_b32 s24, s0, s1
.LBB166_790:
	s_or_b32 exec_lo, exec_lo, s25
	s_delay_alu instid0(SALU_CYCLE_1)
	s_and_not1_b32 s0, s22, exec_lo
	s_and_b32 s1, s24, exec_lo
	s_and_b32 s9, s28, exec_lo
	;; [unrolled: 1-line block ×3, first 2 shown]
	s_or_b32 s22, s0, s1
	s_or_b32 exec_lo, exec_lo, s23
	s_mov_b32 s0, 0
	s_and_saveexec_b32 s1, s22
	s_cbranch_execz .LBB166_110
.LBB166_791:
	s_cbranch_execnz .LBB166_793
; %bb.792:
	s_mov_b32 s0, exec_lo
	s_and_not1_b32 s24, s24, exec_lo
	s_or_b32 exec_lo, exec_lo, s1
	s_and_saveexec_b32 s1, s24
	s_delay_alu instid0(SALU_CYCLE_1)
	s_xor_b32 s1, exec_lo, s1
	s_cbranch_execnz .LBB166_111
	s_branch .LBB166_112
.LBB166_793:
	s_trap 2
	s_sendmsg_rtn_b32 s0, sendmsg(MSG_RTN_GET_DOORBELL)
	s_mov_b32 ttmp2, m0
	s_waitcnt lgkmcnt(0)
	s_and_b32 s0, s0, 0x3ff
	s_delay_alu instid0(SALU_CYCLE_1) | instskip(NEXT) | instid1(SALU_CYCLE_1)
	s_bitset1_b32 s0, 10
	s_mov_b32 m0, s0
	s_sendmsg sendmsg(MSG_INTERRUPT)
	s_mov_b32 m0, ttmp2
.LBB166_794:                            ; =>This Inner Loop Header: Depth=1
	s_sethalt 5
	s_branch .LBB166_794
.LBB166_795:
	s_mov_b32 s6, -1
	s_mov_b32 s5, 0
                                        ; implicit-def: $sgpr7
.LBB166_796:
	v_mov_b32_e32 v5, s7
	s_and_not1_b32 vcc_lo, exec_lo, s6
                                        ; implicit-def: $sgpr6
	s_cbranch_vccnz .LBB166_798
; %bb.797:
	v_add_f32_e32 v4, 0x42800000, v4
	s_mov_b32 s6, 0
	s_delay_alu instid0(VALU_DEP_1) | instskip(NEXT) | instid1(VALU_DEP_1)
	v_and_b32_e32 v5, 0xff, v4
	v_cmp_ne_u32_e64 s5, 0, v5
.LBB166_798:
	v_mov_b32_e32 v6, s6
	s_delay_alu instid0(VALU_DEP_2)
	s_and_not1_b32 vcc_lo, exec_lo, s5
	s_cbranch_vccnz .LBB166_800
; %bb.799:
	v_mov_b32_e32 v6, v5
.LBB166_800:
	s_mov_b32 s5, 0
	global_store_b8 v[0:1], v6, off
.LBB166_801:
	s_and_b32 vcc_lo, exec_lo, s5
	s_cbranch_vccz .LBB166_813
; %bb.802:
	v_cvt_f32_u32_e32 v4, s19
	s_delay_alu instid0(VALU_DEP_1)
	v_cmp_gt_u32_e32 vcc_lo, 0x43f00000, v4
	v_readfirstlane_b32 s5, v4
	s_cbranch_vccz .LBB166_805
; %bb.803:
	s_delay_alu instid0(VALU_DEP_1)
	s_cmp_gt_u32 s5, 0x3c7fffff
	s_cbranch_scc0 .LBB166_806
; %bb.804:
	s_bfe_u32 s6, s5, 0x10014
	s_delay_alu instid0(SALU_CYCLE_1) | instskip(NEXT) | instid1(SALU_CYCLE_1)
	s_add_i32 s6, s5, s6
	s_add_i32 s6, s6, 0x407ffff
	s_delay_alu instid0(SALU_CYCLE_1)
	s_and_b32 s7, s6, 0xff00000
	s_lshr_b32 s6, s6, 20
	s_cmp_lg_u32 s7, 0x7f00000
	s_cselect_b32 s7, s6, 0x7e
	s_mov_b32 s6, 0
	s_branch .LBB166_807
.LBB166_805:
	s_mov_b32 s6, -1
                                        ; implicit-def: $vgpr5
	s_branch .LBB166_810
.LBB166_806:
	s_mov_b32 s6, -1
                                        ; implicit-def: $sgpr7
.LBB166_807:
	v_mov_b32_e32 v5, s7
	s_and_not1_b32 vcc_lo, exec_lo, s6
	s_cbranch_vccnz .LBB166_809
; %bb.808:
	v_add_f32_e32 v5, 0x46800000, v4
.LBB166_809:
	s_mov_b32 s6, 0
.LBB166_810:
	s_delay_alu instid0(SALU_CYCLE_1)
	s_and_not1_b32 vcc_lo, exec_lo, s6
	s_cbranch_vccnz .LBB166_812
; %bb.811:
	s_cmp_gt_u32 s5, 0x7f800000
	s_movk_i32 s5, 0x7f
	s_delay_alu instid0(SALU_CYCLE_1) | instskip(NEXT) | instid1(SALU_CYCLE_1)
	s_cselect_b32 s5, s5, 0x7e
	v_mov_b32_e32 v5, s5
.LBB166_812:
	global_store_b8 v[0:1], v5, off
.LBB166_813:
	s_mov_b32 s5, 0
.LBB166_814:
	s_delay_alu instid0(SALU_CYCLE_1)
	s_and_not1_b32 vcc_lo, exec_lo, s5
	s_cbranch_vccnz .LBB166_826
; %bb.815:
	v_cvt_f32_u32_e32 v4, s19
	s_delay_alu instid0(VALU_DEP_1)
	v_cmp_gt_u32_e32 vcc_lo, 0x47800000, v4
	v_readfirstlane_b32 s5, v4
	s_cbranch_vccz .LBB166_818
; %bb.816:
	s_delay_alu instid0(VALU_DEP_1)
	s_cmp_gt_u32 s5, 0x387fffff
	s_cbranch_scc0 .LBB166_819
; %bb.817:
	s_bfe_u32 s6, s5, 0x10015
	s_delay_alu instid0(SALU_CYCLE_1) | instskip(NEXT) | instid1(SALU_CYCLE_1)
	s_add_i32 s6, s5, s6
	s_add_i32 s6, s6, 0x80fffff
	s_delay_alu instid0(SALU_CYCLE_1)
	s_lshr_b32 s7, s6, 21
	s_mov_b32 s6, 0
	s_branch .LBB166_820
.LBB166_818:
	s_mov_b32 s6, -1
                                        ; implicit-def: $vgpr5
	s_branch .LBB166_823
.LBB166_819:
	s_mov_b32 s6, -1
                                        ; implicit-def: $sgpr7
.LBB166_820:
	v_mov_b32_e32 v5, s7
	s_and_not1_b32 vcc_lo, exec_lo, s6
	s_cbranch_vccnz .LBB166_822
; %bb.821:
	v_add_f32_e32 v5, 0x43000000, v4
.LBB166_822:
	s_mov_b32 s6, 0
.LBB166_823:
	s_delay_alu instid0(SALU_CYCLE_1)
	s_and_not1_b32 vcc_lo, exec_lo, s6
	s_cbranch_vccnz .LBB166_825
; %bb.824:
	s_cmp_gt_u32 s5, 0x7f800000
	s_movk_i32 s5, 0x7f
	s_delay_alu instid0(SALU_CYCLE_1) | instskip(NEXT) | instid1(SALU_CYCLE_1)
	s_cselect_b32 s5, s5, 0x7c
	v_mov_b32_e32 v5, s5
.LBB166_825:
	global_store_b8 v[0:1], v5, off
.LBB166_826:
	s_mov_b32 s5, 0
	s_mov_b32 s6, -1
.LBB166_827:
	s_and_not1_b32 vcc_lo, exec_lo, s5
	s_mov_b32 s5, 0
	s_cbranch_vccnz .LBB166_834
; %bb.828:
	v_cmp_lt_i16_e32 vcc_lo, 14, v2
	s_mov_b32 s5, -1
	s_cbranch_vccz .LBB166_832
; %bb.829:
	v_cmp_eq_u16_e32 vcc_lo, 15, v2
	s_mov_b32 s0, -1
	s_cbranch_vccz .LBB166_831
; %bb.830:
	v_cvt_f32_u32_e32 v4, s19
	s_mov_b32 s0, 0
	s_mov_b32 s6, -1
	s_delay_alu instid0(VALU_DEP_1) | instskip(NEXT) | instid1(VALU_DEP_1)
	v_bfe_u32 v5, v4, 16, 1
	v_add_nc_u32_e32 v4, v4, v5
	s_delay_alu instid0(VALU_DEP_1)
	v_add_nc_u32_e32 v4, 0x7fff, v4
	global_store_d16_hi_b16 v[0:1], v4, off
.LBB166_831:
	s_mov_b32 s5, 0
.LBB166_832:
	s_delay_alu instid0(SALU_CYCLE_1)
	s_and_b32 vcc_lo, exec_lo, s5
	s_mov_b32 s5, 0
	s_cbranch_vccz .LBB166_834
; %bb.833:
	v_cmp_ne_u16_e64 s0, 11, v2
	s_mov_b32 s5, -1
.LBB166_834:
	s_delay_alu instid0(VALU_DEP_1)
	s_and_b32 vcc_lo, exec_lo, s0
	s_cbranch_vccnz .LBB166_869
; %bb.835:
	s_and_not1_b32 vcc_lo, exec_lo, s5
	s_cbranch_vccnz .LBB166_837
.LBB166_836:
	s_cmp_lg_u32 s19, 0
	s_mov_b32 s6, -1
	s_cselect_b32 s0, -1, 0
	s_delay_alu instid0(SALU_CYCLE_1)
	v_cndmask_b32_e64 v4, 0, 1, s0
	global_store_b8 v[0:1], v4, off
.LBB166_837:
.LBB166_838:
	s_and_not1_b32 vcc_lo, exec_lo, s6
	s_cbranch_vccnz .LBB166_683
.LBB166_839:
	v_add_nc_u32_e32 v0, s4, v3
	v_cmp_gt_i16_e32 vcc_lo, 11, v2
	s_delay_alu instid0(VALU_DEP_2) | instskip(SKIP_1) | instid1(VALU_DEP_1)
	v_ashrrev_i32_e32 v1, 31, v0
	v_add_co_u32 v0, s0, s16, v0
	v_add_co_ci_u32_e64 v1, s0, s17, v1, s0
	s_cbranch_vccnz .LBB166_868
; %bb.840:
	v_cmp_lt_i16_e32 vcc_lo, 25, v2
	s_mov_b32 s5, -1
	s_mov_b32 s4, 0
	s_mov_b32 s0, 0
	s_cbranch_vccz .LBB166_880
; %bb.841:
	v_cmp_lt_i16_e32 vcc_lo, 28, v2
	s_cbranch_vccz .LBB166_857
; %bb.842:
	v_cmp_lt_i16_e32 vcc_lo, 43, v2
	;; [unrolled: 3-line block ×3, first 2 shown]
	s_cbranch_vccz .LBB166_847
; %bb.844:
	v_cmp_eq_u16_e32 vcc_lo, 46, v2
	s_mov_b32 s0, -1
	s_cbranch_vccz .LBB166_846
; %bb.845:
	v_cvt_f32_u32_e32 v3, s19
	s_mov_b32 s0, 0
	s_delay_alu instid0(VALU_DEP_1) | instskip(NEXT) | instid1(VALU_DEP_1)
	v_bfe_u32 v4, v3, 16, 1
	v_add_nc_u32_e32 v3, v3, v4
	s_delay_alu instid0(VALU_DEP_1) | instskip(NEXT) | instid1(VALU_DEP_1)
	v_add_nc_u32_e32 v3, 0x7fff, v3
	v_lshrrev_b32_e32 v3, 16, v3
	global_store_b32 v[0:1], v3, off
.LBB166_846:
	s_mov_b32 s5, 0
.LBB166_847:
	s_delay_alu instid0(SALU_CYCLE_1)
	s_and_b32 vcc_lo, exec_lo, s5
	s_cbranch_vccz .LBB166_852
; %bb.848:
	v_cmp_eq_u16_e32 vcc_lo, 44, v2
	s_mov_b32 s0, -1
	s_cbranch_vccz .LBB166_852
; %bb.849:
	v_cvt_f32_u32_e32 v3, s19
	s_delay_alu instid0(VALU_DEP_1) | instskip(SKIP_1) | instid1(VALU_DEP_2)
	v_readfirstlane_b32 s5, v3
	v_mov_b32_e32 v3, 0xff
	s_lshr_b32 s0, s5, 23
	s_delay_alu instid0(SALU_CYCLE_1)
	s_cmpk_eq_i32 s0, 0xff
	s_cbranch_scc1 .LBB166_851
; %bb.850:
	s_bitcmp1_b32 s5, 22
	s_cselect_b32 s6, -1, 0
	s_and_b32 s5, s5, 0x3fffff
	s_delay_alu instid0(SALU_CYCLE_1) | instskip(NEXT) | instid1(SALU_CYCLE_1)
	s_or_b32 s5, s0, s5
	s_cmp_lg_u32 s5, 0
	s_cselect_b32 s5, -1, 0
	s_delay_alu instid0(SALU_CYCLE_1) | instskip(NEXT) | instid1(SALU_CYCLE_1)
	s_and_b32 s5, s6, s5
	v_cndmask_b32_e64 v3, 0, 1, s5
	s_delay_alu instid0(VALU_DEP_1)
	v_add_nc_u32_e32 v3, s0, v3
.LBB166_851:
	s_mov_b32 s0, 0
	global_store_b8 v[0:1], v3, off
.LBB166_852:
	s_mov_b32 s5, 0
.LBB166_853:
	s_delay_alu instid0(SALU_CYCLE_1)
	s_and_b32 vcc_lo, exec_lo, s5
	s_cbranch_vccz .LBB166_856
; %bb.854:
	v_cmp_eq_u16_e32 vcc_lo, 29, v2
	s_mov_b32 s0, -1
	s_cbranch_vccz .LBB166_856
; %bb.855:
	v_dual_mov_b32 v3, s19 :: v_dual_mov_b32 v4, 0
	s_mov_b32 s0, 0
	global_store_b64 v[0:1], v[3:4], off
.LBB166_856:
	s_mov_b32 s5, 0
.LBB166_857:
	s_delay_alu instid0(SALU_CYCLE_1)
	s_and_b32 vcc_lo, exec_lo, s5
	s_cbranch_vccz .LBB166_879
; %bb.858:
	v_cmp_gt_i16_e32 vcc_lo, 27, v2
	s_mov_b32 s5, -1
	s_cbranch_vccnz .LBB166_864
; %bb.859:
	v_cmp_lt_i16_e32 vcc_lo, 27, v2
	s_cbranch_vccz .LBB166_861
; %bb.860:
	v_mov_b32_e32 v3, s19
	s_mov_b32 s5, 0
	global_store_b32 v[0:1], v3, off
.LBB166_861:
	s_and_not1_b32 vcc_lo, exec_lo, s5
	s_cbranch_vccnz .LBB166_863
; %bb.862:
	v_mov_b32_e32 v3, s19
	global_store_b16 v[0:1], v3, off
.LBB166_863:
	s_mov_b32 s5, 0
.LBB166_864:
	s_delay_alu instid0(SALU_CYCLE_1)
	s_and_not1_b32 vcc_lo, exec_lo, s5
	s_cbranch_vccnz .LBB166_879
; %bb.865:
	v_cvt_f32_u32_e32 v3, s19
	v_mov_b32_e32 v5, 0x80
	s_delay_alu instid0(VALU_DEP_2)
	v_cmp_lt_u32_e32 vcc_lo, 0x437fffff, v3
	v_readfirstlane_b32 s5, v3
	s_cbranch_vccnz .LBB166_878
; %bb.866:
	s_delay_alu instid0(VALU_DEP_1)
	s_cmp_gt_u32 s5, 0x3bffffff
	s_cbranch_scc0 .LBB166_873
; %bb.867:
	s_bfe_u32 s6, s5, 0x10014
	s_delay_alu instid0(SALU_CYCLE_1) | instskip(SKIP_2) | instid1(SALU_CYCLE_1)
	s_add_i32 s5, s5, s6
	s_mov_b32 s6, 0
	s_add_i32 s5, s5, 0x487ffff
	s_lshr_b32 s7, s5, 20
	s_mov_b32 s5, -1
	s_branch .LBB166_874
.LBB166_868:
	s_mov_b32 s4, 0
	s_mov_b32 s0, -1
	s_branch .LBB166_684
.LBB166_869:
	s_cbranch_execnz .LBB166_871
; %bb.870:
	s_or_b32 s3, s3, exec_lo
	s_cbranch_execz .LBB166_836
	s_branch .LBB166_837
.LBB166_871:
	s_trap 2
	s_sendmsg_rtn_b32 s0, sendmsg(MSG_RTN_GET_DOORBELL)
	s_mov_b32 ttmp2, m0
	s_waitcnt lgkmcnt(0)
	s_and_b32 s0, s0, 0x3ff
	s_delay_alu instid0(SALU_CYCLE_1) | instskip(NEXT) | instid1(SALU_CYCLE_1)
	s_bitset1_b32 s0, 10
	s_mov_b32 m0, s0
	s_sendmsg sendmsg(MSG_INTERRUPT)
	s_mov_b32 m0, ttmp2
.LBB166_872:                            ; =>This Inner Loop Header: Depth=1
	s_sethalt 5
	s_branch .LBB166_872
.LBB166_873:
	s_mov_b32 s6, -1
	s_mov_b32 s5, 0
                                        ; implicit-def: $sgpr7
.LBB166_874:
	v_mov_b32_e32 v4, s7
	s_and_not1_b32 vcc_lo, exec_lo, s6
                                        ; implicit-def: $sgpr6
	s_cbranch_vccnz .LBB166_876
; %bb.875:
	v_add_f32_e32 v3, 0x46000000, v3
	s_mov_b32 s6, 0
	s_delay_alu instid0(VALU_DEP_1) | instskip(NEXT) | instid1(VALU_DEP_1)
	v_and_b32_e32 v4, 0xff, v3
	v_cmp_ne_u32_e64 s5, 0, v4
.LBB166_876:
	v_mov_b32_e32 v5, s6
	s_delay_alu instid0(VALU_DEP_2)
	s_and_not1_b32 vcc_lo, exec_lo, s5
	s_cbranch_vccnz .LBB166_878
; %bb.877:
	v_mov_b32_e32 v5, v4
.LBB166_878:
	global_store_b8 v[0:1], v5, off
.LBB166_879:
	s_mov_b32 s5, 0
.LBB166_880:
	s_delay_alu instid0(SALU_CYCLE_1)
	s_and_b32 vcc_lo, exec_lo, s5
	s_cbranch_vccz .LBB166_926
; %bb.881:
	v_cmp_lt_i16_e32 vcc_lo, 22, v2
	s_mov_b32 s4, -1
	s_cbranch_vccz .LBB166_919
; %bb.882:
	v_cmp_gt_i16_e32 vcc_lo, 24, v2
	s_cbranch_vccnz .LBB166_906
; %bb.883:
	v_cmp_lt_i16_e32 vcc_lo, 24, v2
	s_cbranch_vccz .LBB166_893
; %bb.884:
	v_cvt_f32_u32_e32 v3, s19
	v_mov_b32_e32 v5, 0x80
	s_delay_alu instid0(VALU_DEP_2)
	v_cmp_lt_u32_e32 vcc_lo, 0x477fffff, v3
	v_readfirstlane_b32 s4, v3
	s_cbranch_vccnz .LBB166_892
; %bb.885:
	s_delay_alu instid0(VALU_DEP_1)
	s_cmp_gt_u32 s4, 0x37ffffff
	s_cbranch_scc0 .LBB166_887
; %bb.886:
	s_bfe_u32 s5, s4, 0x10015
	s_delay_alu instid0(SALU_CYCLE_1) | instskip(SKIP_2) | instid1(SALU_CYCLE_1)
	s_add_i32 s4, s4, s5
	s_mov_b32 s5, 0
	s_add_i32 s4, s4, 0x88fffff
	s_lshr_b32 s6, s4, 21
	s_mov_b32 s4, -1
	s_branch .LBB166_888
.LBB166_887:
	s_mov_b32 s5, -1
	s_mov_b32 s4, 0
                                        ; implicit-def: $sgpr6
.LBB166_888:
	v_mov_b32_e32 v4, s6
	s_and_not1_b32 vcc_lo, exec_lo, s5
                                        ; implicit-def: $sgpr5
	s_cbranch_vccnz .LBB166_890
; %bb.889:
	v_add_f32_e32 v3, 0x42800000, v3
	s_mov_b32 s5, 0
	s_delay_alu instid0(VALU_DEP_1) | instskip(NEXT) | instid1(VALU_DEP_1)
	v_and_b32_e32 v4, 0xff, v3
	v_cmp_ne_u32_e64 s4, 0, v4
.LBB166_890:
	v_mov_b32_e32 v5, s5
	s_delay_alu instid0(VALU_DEP_2)
	s_and_not1_b32 vcc_lo, exec_lo, s4
	s_cbranch_vccnz .LBB166_892
; %bb.891:
	v_mov_b32_e32 v5, v4
.LBB166_892:
	s_mov_b32 s4, 0
	global_store_b8 v[0:1], v5, off
.LBB166_893:
	s_and_b32 vcc_lo, exec_lo, s4
	s_cbranch_vccz .LBB166_905
; %bb.894:
	v_cvt_f32_u32_e32 v3, s19
	s_delay_alu instid0(VALU_DEP_1)
	v_cmp_gt_u32_e32 vcc_lo, 0x43f00000, v3
	v_readfirstlane_b32 s4, v3
	s_cbranch_vccz .LBB166_897
; %bb.895:
	s_delay_alu instid0(VALU_DEP_1)
	s_cmp_gt_u32 s4, 0x3c7fffff
	s_cbranch_scc0 .LBB166_898
; %bb.896:
	s_bfe_u32 s5, s4, 0x10014
	s_delay_alu instid0(SALU_CYCLE_1) | instskip(NEXT) | instid1(SALU_CYCLE_1)
	s_add_i32 s5, s4, s5
	s_add_i32 s5, s5, 0x407ffff
	s_delay_alu instid0(SALU_CYCLE_1)
	s_and_b32 s6, s5, 0xff00000
	s_lshr_b32 s5, s5, 20
	s_cmp_lg_u32 s6, 0x7f00000
	s_cselect_b32 s6, s5, 0x7e
	s_mov_b32 s5, 0
	s_branch .LBB166_899
.LBB166_897:
	s_mov_b32 s5, -1
                                        ; implicit-def: $vgpr4
	s_branch .LBB166_902
.LBB166_898:
	s_mov_b32 s5, -1
                                        ; implicit-def: $sgpr6
.LBB166_899:
	v_mov_b32_e32 v4, s6
	s_and_not1_b32 vcc_lo, exec_lo, s5
	s_cbranch_vccnz .LBB166_901
; %bb.900:
	v_add_f32_e32 v4, 0x46800000, v3
.LBB166_901:
	s_mov_b32 s5, 0
.LBB166_902:
	s_delay_alu instid0(SALU_CYCLE_1)
	s_and_not1_b32 vcc_lo, exec_lo, s5
	s_cbranch_vccnz .LBB166_904
; %bb.903:
	s_cmp_gt_u32 s4, 0x7f800000
	s_movk_i32 s4, 0x7f
	s_delay_alu instid0(SALU_CYCLE_1) | instskip(NEXT) | instid1(SALU_CYCLE_1)
	s_cselect_b32 s4, s4, 0x7e
	v_mov_b32_e32 v4, s4
.LBB166_904:
	global_store_b8 v[0:1], v4, off
.LBB166_905:
	s_mov_b32 s4, 0
.LBB166_906:
	s_delay_alu instid0(SALU_CYCLE_1)
	s_and_not1_b32 vcc_lo, exec_lo, s4
	s_cbranch_vccnz .LBB166_918
; %bb.907:
	v_cvt_f32_u32_e32 v3, s19
	s_delay_alu instid0(VALU_DEP_1)
	v_cmp_gt_u32_e32 vcc_lo, 0x47800000, v3
	v_readfirstlane_b32 s4, v3
	s_cbranch_vccz .LBB166_910
; %bb.908:
	s_delay_alu instid0(VALU_DEP_1)
	s_cmp_gt_u32 s4, 0x387fffff
	s_cbranch_scc0 .LBB166_911
; %bb.909:
	s_bfe_u32 s5, s4, 0x10015
	s_delay_alu instid0(SALU_CYCLE_1) | instskip(NEXT) | instid1(SALU_CYCLE_1)
	s_add_i32 s5, s4, s5
	s_add_i32 s5, s5, 0x80fffff
	s_delay_alu instid0(SALU_CYCLE_1)
	s_lshr_b32 s6, s5, 21
	s_mov_b32 s5, 0
	s_branch .LBB166_912
.LBB166_910:
	s_mov_b32 s5, -1
                                        ; implicit-def: $vgpr4
	s_branch .LBB166_915
.LBB166_911:
	s_mov_b32 s5, -1
                                        ; implicit-def: $sgpr6
.LBB166_912:
	v_mov_b32_e32 v4, s6
	s_and_not1_b32 vcc_lo, exec_lo, s5
	s_cbranch_vccnz .LBB166_914
; %bb.913:
	v_add_f32_e32 v4, 0x43000000, v3
.LBB166_914:
	s_mov_b32 s5, 0
.LBB166_915:
	s_delay_alu instid0(SALU_CYCLE_1)
	s_and_not1_b32 vcc_lo, exec_lo, s5
	s_cbranch_vccnz .LBB166_917
; %bb.916:
	s_cmp_gt_u32 s4, 0x7f800000
	s_movk_i32 s4, 0x7f
	s_delay_alu instid0(SALU_CYCLE_1) | instskip(NEXT) | instid1(SALU_CYCLE_1)
	s_cselect_b32 s4, s4, 0x7c
	v_mov_b32_e32 v4, s4
.LBB166_917:
	global_store_b8 v[0:1], v4, off
.LBB166_918:
	s_mov_b32 s4, 0
.LBB166_919:
	s_delay_alu instid0(SALU_CYCLE_1)
	s_and_not1_b32 vcc_lo, exec_lo, s4
	s_mov_b32 s4, 0
	s_cbranch_vccnz .LBB166_926
; %bb.920:
	v_cmp_lt_i16_e32 vcc_lo, 14, v2
	s_mov_b32 s4, -1
	s_cbranch_vccz .LBB166_924
; %bb.921:
	v_cmp_eq_u16_e32 vcc_lo, 15, v2
	s_mov_b32 s0, -1
	s_cbranch_vccz .LBB166_923
; %bb.922:
	v_cvt_f32_u32_e32 v3, s19
	s_mov_b32 s0, 0
	s_delay_alu instid0(VALU_DEP_1) | instskip(NEXT) | instid1(VALU_DEP_1)
	v_bfe_u32 v4, v3, 16, 1
	v_add_nc_u32_e32 v3, v3, v4
	s_delay_alu instid0(VALU_DEP_1)
	v_add_nc_u32_e32 v3, 0x7fff, v3
	global_store_d16_hi_b16 v[0:1], v3, off
.LBB166_923:
	s_mov_b32 s4, 0
.LBB166_924:
	s_delay_alu instid0(SALU_CYCLE_1)
	s_and_b32 vcc_lo, exec_lo, s4
	s_mov_b32 s4, 0
	s_cbranch_vccz .LBB166_926
; %bb.925:
	v_cmp_ne_u16_e64 s0, 11, v2
	s_mov_b32 s4, -1
.LBB166_926:
	s_delay_alu instid0(VALU_DEP_1)
	s_and_b32 vcc_lo, exec_lo, s0
	s_cbranch_vccnz .LBB166_928
.LBB166_927:
	s_mov_b32 s0, 0
	s_branch .LBB166_684
.LBB166_928:
	s_cbranch_execnz .LBB166_930
; %bb.929:
	s_mov_b32 s4, 0
	s_or_b32 s3, s3, exec_lo
	s_branch .LBB166_927
.LBB166_930:
	s_trap 2
	s_sendmsg_rtn_b32 s0, sendmsg(MSG_RTN_GET_DOORBELL)
	s_mov_b32 ttmp2, m0
	s_waitcnt lgkmcnt(0)
	s_and_b32 s0, s0, 0x3ff
	s_delay_alu instid0(SALU_CYCLE_1) | instskip(NEXT) | instid1(SALU_CYCLE_1)
	s_bitset1_b32 s0, 10
	s_mov_b32 m0, s0
	s_sendmsg sendmsg(MSG_INTERRUPT)
	s_mov_b32 m0, ttmp2
.LBB166_931:                            ; =>This Inner Loop Header: Depth=1
	s_sethalt 5
	s_branch .LBB166_931
	.section	.rodata,"a",@progbits
	.p2align	6, 0x0
	.amdhsa_kernel _ZN2at6native32elementwise_kernel_manual_unrollILi128ELi4EZNS0_15gpu_kernel_implINS0_11FillFunctorIjEEEEvRNS_18TensorIteratorBaseERKT_EUlibE_EEviT1_
		.amdhsa_group_segment_fixed_size 0
		.amdhsa_private_segment_fixed_size 0
		.amdhsa_kernarg_size 32
		.amdhsa_user_sgpr_count 15
		.amdhsa_user_sgpr_dispatch_ptr 0
		.amdhsa_user_sgpr_queue_ptr 0
		.amdhsa_user_sgpr_kernarg_segment_ptr 1
		.amdhsa_user_sgpr_dispatch_id 0
		.amdhsa_user_sgpr_private_segment_size 0
		.amdhsa_wavefront_size32 1
		.amdhsa_uses_dynamic_stack 0
		.amdhsa_enable_private_segment 0
		.amdhsa_system_sgpr_workgroup_id_x 1
		.amdhsa_system_sgpr_workgroup_id_y 0
		.amdhsa_system_sgpr_workgroup_id_z 0
		.amdhsa_system_sgpr_workgroup_info 0
		.amdhsa_system_vgpr_workitem_id 0
		.amdhsa_next_free_vgpr 25
		.amdhsa_next_free_sgpr 30
		.amdhsa_reserve_vcc 1
		.amdhsa_float_round_mode_32 0
		.amdhsa_float_round_mode_16_64 0
		.amdhsa_float_denorm_mode_32 3
		.amdhsa_float_denorm_mode_16_64 3
		.amdhsa_dx10_clamp 1
		.amdhsa_ieee_mode 1
		.amdhsa_fp16_overflow 0
		.amdhsa_workgroup_processor_mode 1
		.amdhsa_memory_ordered 1
		.amdhsa_forward_progress 0
		.amdhsa_shared_vgpr_count 0
		.amdhsa_exception_fp_ieee_invalid_op 0
		.amdhsa_exception_fp_denorm_src 0
		.amdhsa_exception_fp_ieee_div_zero 0
		.amdhsa_exception_fp_ieee_overflow 0
		.amdhsa_exception_fp_ieee_underflow 0
		.amdhsa_exception_fp_ieee_inexact 0
		.amdhsa_exception_int_div_zero 0
	.end_amdhsa_kernel
	.section	.text._ZN2at6native32elementwise_kernel_manual_unrollILi128ELi4EZNS0_15gpu_kernel_implINS0_11FillFunctorIjEEEEvRNS_18TensorIteratorBaseERKT_EUlibE_EEviT1_,"axG",@progbits,_ZN2at6native32elementwise_kernel_manual_unrollILi128ELi4EZNS0_15gpu_kernel_implINS0_11FillFunctorIjEEEEvRNS_18TensorIteratorBaseERKT_EUlibE_EEviT1_,comdat
.Lfunc_end166:
	.size	_ZN2at6native32elementwise_kernel_manual_unrollILi128ELi4EZNS0_15gpu_kernel_implINS0_11FillFunctorIjEEEEvRNS_18TensorIteratorBaseERKT_EUlibE_EEviT1_, .Lfunc_end166-_ZN2at6native32elementwise_kernel_manual_unrollILi128ELi4EZNS0_15gpu_kernel_implINS0_11FillFunctorIjEEEEvRNS_18TensorIteratorBaseERKT_EUlibE_EEviT1_
                                        ; -- End function
	.section	.AMDGPU.csdata,"",@progbits
; Kernel info:
; codeLenInByte = 13052
; NumSgprs: 32
; NumVgprs: 25
; ScratchSize: 0
; MemoryBound: 0
; FloatMode: 240
; IeeeMode: 1
; LDSByteSize: 0 bytes/workgroup (compile time only)
; SGPRBlocks: 3
; VGPRBlocks: 3
; NumSGPRsForWavesPerEU: 32
; NumVGPRsForWavesPerEU: 25
; Occupancy: 16
; WaveLimiterHint : 0
; COMPUTE_PGM_RSRC2:SCRATCH_EN: 0
; COMPUTE_PGM_RSRC2:USER_SGPR: 15
; COMPUTE_PGM_RSRC2:TRAP_HANDLER: 0
; COMPUTE_PGM_RSRC2:TGID_X_EN: 1
; COMPUTE_PGM_RSRC2:TGID_Y_EN: 0
; COMPUTE_PGM_RSRC2:TGID_Z_EN: 0
; COMPUTE_PGM_RSRC2:TIDIG_COMP_CNT: 0
	.section	.text._ZN2at6native32elementwise_kernel_manual_unrollILi128ELi4EZNS0_15gpu_kernel_implINS0_11FillFunctorIjEEEEvRNS_18TensorIteratorBaseERKT_EUlibE0_EEviT1_,"axG",@progbits,_ZN2at6native32elementwise_kernel_manual_unrollILi128ELi4EZNS0_15gpu_kernel_implINS0_11FillFunctorIjEEEEvRNS_18TensorIteratorBaseERKT_EUlibE0_EEviT1_,comdat
	.protected	_ZN2at6native32elementwise_kernel_manual_unrollILi128ELi4EZNS0_15gpu_kernel_implINS0_11FillFunctorIjEEEEvRNS_18TensorIteratorBaseERKT_EUlibE0_EEviT1_ ; -- Begin function _ZN2at6native32elementwise_kernel_manual_unrollILi128ELi4EZNS0_15gpu_kernel_implINS0_11FillFunctorIjEEEEvRNS_18TensorIteratorBaseERKT_EUlibE0_EEviT1_
	.globl	_ZN2at6native32elementwise_kernel_manual_unrollILi128ELi4EZNS0_15gpu_kernel_implINS0_11FillFunctorIjEEEEvRNS_18TensorIteratorBaseERKT_EUlibE0_EEviT1_
	.p2align	8
	.type	_ZN2at6native32elementwise_kernel_manual_unrollILi128ELi4EZNS0_15gpu_kernel_implINS0_11FillFunctorIjEEEEvRNS_18TensorIteratorBaseERKT_EUlibE0_EEviT1_,@function
_ZN2at6native32elementwise_kernel_manual_unrollILi128ELi4EZNS0_15gpu_kernel_implINS0_11FillFunctorIjEEEEvRNS_18TensorIteratorBaseERKT_EUlibE0_EEviT1_: ; @_ZN2at6native32elementwise_kernel_manual_unrollILi128ELi4EZNS0_15gpu_kernel_implINS0_11FillFunctorIjEEEEvRNS_18TensorIteratorBaseERKT_EUlibE0_EEviT1_
; %bb.0:
	s_clause 0x1
	s_load_b32 s11, s[0:1], 0x8
	s_load_b32 s40, s[0:1], 0x0
	v_lshl_or_b32 v9, s15, 9, v0
	s_or_b32 s0, s0, 8
	s_mov_b32 s28, -1
	s_mov_b32 s34, 0
	s_mov_b32 s6, 0
	v_or_b32_e32 v4, 0x180, v9
	s_mov_b32 s2, exec_lo
	s_waitcnt lgkmcnt(0)
	s_add_i32 s33, s11, -1
	s_delay_alu instid0(SALU_CYCLE_1)
	s_cmp_gt_u32 s33, 1
	s_cselect_b32 s35, -1, 0
	v_cmpx_le_i32_e64 s40, v4
	s_xor_b32 s36, exec_lo, s2
	s_cbranch_execz .LBB167_159
; %bb.1:
	s_clause 0x1
	s_load_b128 s[12:15], s[0:1], 0x108
	s_load_b64 s[22:23], s[0:1], 0xc4
	s_cmp_lg_u32 s11, 0
	s_clause 0x1
	s_load_b128 s[16:19], s[0:1], 0x4
	s_load_b64 s[24:25], s[0:1], 0x14
	s_cselect_b32 s42, -1, 0
	s_add_u32 s26, s0, 0xc4
	s_addc_u32 s27, s1, 0
	s_min_u32 s41, s33, 15
	s_cmp_gt_u32 s11, 1
	s_mov_b32 s45, 0
	s_cselect_b32 s39, -1, 0
	s_mov_b32 s43, 0
	s_mov_b32 s44, exec_lo
	s_waitcnt lgkmcnt(0)
	v_cvt_f32_u32_e32 v4, s14
	v_cvt_f64_u32_e32 v[0:1], s14
	s_cmp_lg_u32 s14, 0
	s_mov_b32 s20, s14
	s_cselect_b32 s21, -1, 0
	v_lshrrev_b32_e32 v2, 23, v4
	v_and_b32_e32 v5, 0x3fffff, v4
	v_and_b32_e32 v3, 0x400000, v4
	v_bfe_u32 v6, v4, 20, 1
	v_add_f32_e32 v14, 0x42800000, v4
	v_bfe_u32 v7, v4, 21, 1
	v_or_b32_e32 v5, v2, v5
	v_cmp_ne_u32_e32 vcc_lo, 0, v3
	v_add_nc_u32_e32 v3, v4, v6
	v_cmp_eq_u32_e64 s10, 0xff, v2
	v_dual_add_f32 v21, 0x46000000, v4 :: v_dual_add_nc_u32 v6, v4, v7
	v_cmp_ne_u32_e64 s3, 0, v5
	s_delay_alu instid0(VALU_DEP_4) | instskip(SKIP_1) | instid1(VALU_DEP_4)
	v_add_nc_u32_e32 v5, 0x487ffff, v3
	v_add_nc_u32_e32 v3, 0x407ffff, v3
	v_readfirstlane_b32 s4, v21
	v_readfirstlane_b32 s5, v14
	s_and_b32 s3, vcc_lo, s3
	v_lshrrev_b32_e32 v22, 20, v5
	v_cndmask_b32_e64 v8, 0, 1, s3
	v_bfe_u32 v5, v4, 16, 1
	v_add_f32_e32 v18, 0x46800000, v4
	s_and_b32 s4, s4, 0xff
	v_add_nc_u32_e32 v7, 0x88fffff, v6
	v_add_nc_u32_e32 v23, v2, v8
	v_and_b32_e32 v2, 0xff00000, v3
	v_lshrrev_b32_e32 v3, 20, v3
	v_cvt_f16_f32_e32 v8, v4
	s_cmp_lg_u32 s4, 0
	v_cmp_gt_u32_e64 s9, 0x43800000, v4
	v_cmp_ne_u32_e32 vcc_lo, 0x7f00000, v2
	v_add_nc_u32_e32 v2, 0x80fffff, v6
	s_cselect_b32 s38, -1, 0
	s_and_b32 s3, s5, 0xff
	v_cmp_lt_u32_e64 s8, 0x3bffffff, v4
	v_cndmask_b32_e32 v17, 0x7e, v3, vcc_lo
	v_add_nc_u32_e32 v3, v4, v5
	v_mov_b32_e32 v5, 0x7f
	v_lshrrev_b32_e32 v13, 21, v2
	v_cmp_lt_u32_e32 vcc_lo, 0x7f800000, v4
	v_cmp_lt_u32_e64 s2, 0x477fffff, v4
	v_add_nc_u32_e32 v2, 0x7fff, v3
	v_cmp_gt_u32_e64 s6, 0x47800000, v4
	v_cmp_lt_u32_e64 s7, 0x37ffffff, v4
	v_cndmask_b32_e32 v16, 0x7c, v5, vcc_lo
	v_lshrrev_b32_e32 v20, 21, v7
	s_cmp_lg_u32 s3, 0
	v_cmp_lt_u32_e64 s4, 0x43efffff, v4
	v_cmp_gt_u32_e64 s5, 0x3c800000, v4
	v_cmp_gt_u32_e64 s3, 0x38800000, v4
	v_cndmask_b32_e32 v19, 0x7e, v5, vcc_lo
	v_add_f32_e32 v15, 0x43000000, v4
	v_lshrrev_b32_e32 v12, 16, v2
	v_cndmask_b32_e64 v11, 0, 1, s21
	v_and_b32_e32 v10, 0xffff, v8
	s_mov_b32 s21, s45
	s_cselect_b32 s37, -1, 0
	v_cmpx_gt_i32_e64 s40, v9
	s_cbranch_execz .LBB167_110
; %bb.2:
	s_and_not1_b32 vcc_lo, exec_lo, s35
	s_cbranch_vccnz .LBB167_7
; %bb.3:
	v_mov_b32_e32 v2, 0
	s_and_not1_b32 vcc_lo, exec_lo, s42
	s_cbranch_vccnz .LBB167_12
; %bb.4:
	s_add_i32 s46, s41, 1
	s_cmp_eq_u32 s33, 2
	s_cbranch_scc1 .LBB167_8
; %bb.5:
	v_dual_mov_b32 v2, 0 :: v_dual_mov_b32 v3, v9
	s_and_b32 s43, s46, 28
	s_mov_b32 s47, 0
	s_mov_b64 s[28:29], s[0:1]
	s_mov_b64 s[30:31], s[26:27]
.LBB167_6:                              ; =>This Inner Loop Header: Depth=1
	s_clause 0x1
	s_load_b256 s[48:55], s[28:29], 0x4
	s_load_b128 s[56:59], s[28:29], 0x24
	s_load_b128 s[60:63], s[30:31], 0x0
	s_add_u32 s28, s28, 48
	s_addc_u32 s29, s29, 0
	s_add_i32 s47, s47, 4
	s_add_u32 s30, s30, 16
	s_addc_u32 s31, s31, 0
	s_cmp_lg_u32 s43, s47
	s_waitcnt lgkmcnt(0)
	v_mul_hi_u32 v5, s49, v3
	s_delay_alu instid0(VALU_DEP_1) | instskip(NEXT) | instid1(VALU_DEP_1)
	v_add_nc_u32_e32 v5, v3, v5
	v_lshrrev_b32_e32 v5, s50, v5
	s_delay_alu instid0(VALU_DEP_1) | instskip(SKIP_1) | instid1(VALU_DEP_2)
	v_mul_hi_u32 v6, s52, v5
	v_mul_lo_u32 v25, v5, s48
	v_add_nc_u32_e32 v6, v5, v6
	s_delay_alu instid0(VALU_DEP_2) | instskip(NEXT) | instid1(VALU_DEP_2)
	v_sub_nc_u32_e32 v25, v3, v25
	v_lshrrev_b32_e32 v6, s53, v6
	s_delay_alu instid0(VALU_DEP_2) | instskip(NEXT) | instid1(VALU_DEP_2)
	v_mul_lo_u32 v25, v25, s60
	v_mul_hi_u32 v7, s55, v6
	v_mul_lo_u32 v26, v6, s51
	s_delay_alu instid0(VALU_DEP_2) | instskip(NEXT) | instid1(VALU_DEP_2)
	v_add_nc_u32_e32 v7, v6, v7
	v_sub_nc_u32_e32 v5, v5, v26
	s_delay_alu instid0(VALU_DEP_2) | instskip(NEXT) | instid1(VALU_DEP_2)
	v_lshrrev_b32_e32 v7, s56, v7
	v_mul_lo_u32 v5, v5, s61
	s_delay_alu instid0(VALU_DEP_2) | instskip(NEXT) | instid1(VALU_DEP_2)
	v_mul_hi_u32 v24, s58, v7
	v_add3_u32 v2, v25, v2, v5
	s_delay_alu instid0(VALU_DEP_2) | instskip(NEXT) | instid1(VALU_DEP_1)
	v_add_nc_u32_e32 v24, v7, v24
	v_lshrrev_b32_e32 v3, s59, v24
	v_mul_lo_u32 v24, v7, s54
	s_delay_alu instid0(VALU_DEP_2) | instskip(NEXT) | instid1(VALU_DEP_2)
	v_mul_lo_u32 v27, v3, s57
	v_sub_nc_u32_e32 v6, v6, v24
	s_delay_alu instid0(VALU_DEP_2) | instskip(NEXT) | instid1(VALU_DEP_2)
	v_sub_nc_u32_e32 v7, v7, v27
	v_mul_lo_u32 v6, v6, s62
	s_delay_alu instid0(VALU_DEP_2) | instskip(NEXT) | instid1(VALU_DEP_1)
	v_mul_lo_u32 v7, v7, s63
	v_add3_u32 v2, v6, v2, v7
	s_cbranch_scc1 .LBB167_6
	s_branch .LBB167_9
.LBB167_7:
                                        ; implicit-def: $vgpr2
	s_and_not1_b32 vcc_lo, exec_lo, s28
	s_cbranch_vccz .LBB167_13
	s_branch .LBB167_15
.LBB167_8:
	v_mov_b32_e32 v3, v9
.LBB167_9:
	s_and_b32 s46, s46, 3
	s_delay_alu instid0(SALU_CYCLE_1)
	s_cmp_eq_u32 s46, 0
	s_cbranch_scc1 .LBB167_12
; %bb.10:
	s_lshl_b32 s28, s43, 2
	s_mul_i32 s30, s43, 12
	s_add_u32 s28, s28, s0
	s_addc_u32 s29, s1, 0
	s_add_u32 s28, s28, 0xc4
	s_addc_u32 s29, s29, 0
	;; [unrolled: 2-line block ×3, first 2 shown]
	.p2align	6
.LBB167_11:                             ; =>This Inner Loop Header: Depth=1
	s_clause 0x1
	s_load_b64 s[48:49], s[30:31], 0x4
	s_load_b32 s43, s[30:31], 0xc
	s_load_b32 s47, s[28:29], 0x0
	s_add_u32 s30, s30, 12
	s_addc_u32 s31, s31, 0
	s_add_u32 s28, s28, 4
	s_addc_u32 s29, s29, 0
	s_add_i32 s46, s46, -1
	s_delay_alu instid0(SALU_CYCLE_1) | instskip(SKIP_2) | instid1(VALU_DEP_1)
	s_cmp_lg_u32 s46, 0
	s_waitcnt lgkmcnt(0)
	v_mul_hi_u32 v5, s49, v3
	v_add_nc_u32_e32 v5, v3, v5
	s_delay_alu instid0(VALU_DEP_1) | instskip(NEXT) | instid1(VALU_DEP_1)
	v_lshrrev_b32_e32 v7, s43, v5
	v_mul_lo_u32 v5, v7, s48
	s_delay_alu instid0(VALU_DEP_1) | instskip(NEXT) | instid1(VALU_DEP_1)
	v_sub_nc_u32_e32 v3, v3, v5
	v_mad_u64_u32 v[5:6], null, v3, s47, v[2:3]
	s_delay_alu instid0(VALU_DEP_1)
	v_dual_mov_b32 v3, v7 :: v_dual_mov_b32 v2, v5
	s_cbranch_scc1 .LBB167_11
.LBB167_12:
	s_cbranch_execnz .LBB167_15
.LBB167_13:
	v_mul_hi_u32 v2, s17, v9
	s_and_not1_b32 vcc_lo, exec_lo, s39
	s_delay_alu instid0(VALU_DEP_1) | instskip(NEXT) | instid1(VALU_DEP_1)
	v_add_nc_u32_e32 v2, v9, v2
	v_lshrrev_b32_e32 v3, s18, v2
	s_delay_alu instid0(VALU_DEP_1) | instskip(NEXT) | instid1(VALU_DEP_1)
	v_mul_lo_u32 v2, v3, s16
	v_sub_nc_u32_e32 v2, v9, v2
	s_delay_alu instid0(VALU_DEP_1)
	v_mul_lo_u32 v2, v2, s22
	s_cbranch_vccnz .LBB167_15
; %bb.14:
	v_mul_hi_u32 v5, s24, v3
	s_delay_alu instid0(VALU_DEP_1) | instskip(NEXT) | instid1(VALU_DEP_1)
	v_add_nc_u32_e32 v5, v3, v5
	v_lshrrev_b32_e32 v5, s25, v5
	s_delay_alu instid0(VALU_DEP_1) | instskip(NEXT) | instid1(VALU_DEP_1)
	v_mul_lo_u32 v5, v5, s19
	v_sub_nc_u32_e32 v3, v3, v5
	s_delay_alu instid0(VALU_DEP_1) | instskip(NEXT) | instid1(VALU_DEP_1)
	v_mad_u64_u32 v[5:6], null, v3, s23, v[2:3]
	v_mov_b32_e32 v2, v5
.LBB167_15:
	v_and_b32_e64 v24, 0xff, s15
	s_delay_alu instid0(VALU_DEP_2) | instskip(NEXT) | instid1(VALU_DEP_1)
	v_add_co_u32 v6, s29, s12, v2
	v_add_co_ci_u32_e64 v7, null, s13, 0, s29
	s_delay_alu instid0(VALU_DEP_3)
	v_cmp_gt_i16_e32 vcc_lo, 11, v24
	s_mov_b32 s28, 0
	s_mov_b32 s30, -1
	s_mov_b32 s29, 0
	s_cbranch_vccnz .LBB167_69
; %bb.16:
	v_cmp_lt_i16_e32 vcc_lo, 25, v24
	s_cbranch_vccz .LBB167_44
; %bb.17:
	v_cmp_lt_i16_e32 vcc_lo, 28, v24
	s_cbranch_vccz .LBB167_30
	;; [unrolled: 3-line block ×4, first 2 shown]
; %bb.20:
	v_cmp_eq_u16_e32 vcc_lo, 46, v24
	s_mov_b32 s30, 0
	s_mov_b32 s28, -1
	s_cbranch_vccz .LBB167_22
; %bb.21:
	s_mov_b32 s29, -1
	s_mov_b32 s28, 0
	global_store_b32 v[6:7], v12, off
.LBB167_22:
	s_and_b32 vcc_lo, exec_lo, s30
	s_cbranch_vccz .LBB167_25
; %bb.23:
	v_cmp_eq_u16_e32 vcc_lo, 44, v24
	s_mov_b32 s28, -1
	s_cbranch_vccz .LBB167_25
; %bb.24:
	v_cndmask_b32_e64 v2, v23, 0xff, s10
	s_mov_b32 s29, -1
	s_mov_b32 s28, 0
	global_store_b8 v[6:7], v2, off
.LBB167_25:
	s_mov_b32 s30, 0
.LBB167_26:
	s_delay_alu instid0(SALU_CYCLE_1)
	s_and_b32 vcc_lo, exec_lo, s30
	s_cbranch_vccz .LBB167_29
; %bb.27:
	v_cmp_eq_u16_e32 vcc_lo, 29, v24
	s_mov_b32 s28, -1
	s_cbranch_vccz .LBB167_29
; %bb.28:
	v_dual_mov_b32 v2, s20 :: v_dual_mov_b32 v3, s21
	s_mov_b32 s29, -1
	s_mov_b32 s28, 0
	global_store_b64 v[6:7], v[2:3], off
.LBB167_29:
	s_mov_b32 s30, 0
.LBB167_30:
	s_delay_alu instid0(SALU_CYCLE_1)
	s_and_b32 vcc_lo, exec_lo, s30
	s_cbranch_vccz .LBB167_43
; %bb.31:
	v_cmp_gt_i16_e32 vcc_lo, 27, v24
	s_mov_b32 s29, -1
	s_cbranch_vccnz .LBB167_37
; %bb.32:
	v_cmp_lt_i16_e32 vcc_lo, 27, v24
	s_cbranch_vccz .LBB167_34
; %bb.33:
	v_mov_b32_e32 v2, s14
	s_mov_b32 s29, 0
	global_store_b32 v[6:7], v2, off
.LBB167_34:
	s_and_not1_b32 vcc_lo, exec_lo, s29
	s_cbranch_vccnz .LBB167_36
; %bb.35:
	v_mov_b32_e32 v2, s14
	global_store_b16 v[6:7], v2, off
.LBB167_36:
	s_mov_b32 s29, 0
.LBB167_37:
	s_delay_alu instid0(SALU_CYCLE_1)
	s_and_not1_b32 vcc_lo, exec_lo, s29
	s_cbranch_vccnz .LBB167_42
; %bb.38:
	v_mov_b32_e32 v2, 0x80
	s_and_not1_b32 vcc_lo, exec_lo, s9
	s_cbranch_vccnz .LBB167_41
; %bb.39:
	v_mov_b32_e32 v2, 0
	s_or_b32 s29, s8, s38
	s_delay_alu instid0(SALU_CYCLE_1)
	s_and_not1_b32 vcc_lo, exec_lo, s29
	s_cbranch_vccnz .LBB167_41
; %bb.40:
	v_cndmask_b32_e64 v2, v21, v22, s8
.LBB167_41:
	global_store_b8 v[6:7], v2, off
.LBB167_42:
	s_mov_b32 s29, -1
.LBB167_43:
	s_mov_b32 s30, 0
.LBB167_44:
	s_delay_alu instid0(SALU_CYCLE_1)
	s_and_b32 vcc_lo, exec_lo, s30
	s_cbranch_vccz .LBB167_66
; %bb.45:
	v_cmp_lt_i16_e32 vcc_lo, 22, v24
	s_mov_b32 s30, -1
	s_cbranch_vccz .LBB167_58
; %bb.46:
	v_cmp_gt_i16_e32 vcc_lo, 24, v24
	s_mov_b32 s29, -1
	s_cbranch_vccnz .LBB167_55
; %bb.47:
	v_cmp_lt_i16_e32 vcc_lo, 24, v24
	s_cbranch_vccz .LBB167_52
; %bb.48:
	v_mov_b32_e32 v2, 0x80
	s_and_not1_b32 vcc_lo, exec_lo, s6
	s_cbranch_vccnz .LBB167_51
; %bb.49:
	v_mov_b32_e32 v2, 0
	s_or_b32 s29, s7, s37
	s_delay_alu instid0(SALU_CYCLE_1)
	s_and_not1_b32 vcc_lo, exec_lo, s29
	s_cbranch_vccnz .LBB167_51
; %bb.50:
	v_cndmask_b32_e64 v2, v14, v20, s7
.LBB167_51:
	s_mov_b32 s29, 0
	global_store_b8 v[6:7], v2, off
.LBB167_52:
	s_and_b32 vcc_lo, exec_lo, s29
	s_cbranch_vccz .LBB167_54
; %bb.53:
	v_cndmask_b32_e64 v2, v17, v18, s5
	s_delay_alu instid0(VALU_DEP_1)
	v_cndmask_b32_e64 v2, v2, v19, s4
	global_store_b8 v[6:7], v2, off
.LBB167_54:
	s_mov_b32 s29, 0
.LBB167_55:
	s_delay_alu instid0(SALU_CYCLE_1)
	s_and_not1_b32 vcc_lo, exec_lo, s29
	s_cbranch_vccnz .LBB167_57
; %bb.56:
	v_cndmask_b32_e64 v2, v13, v15, s3
	s_delay_alu instid0(VALU_DEP_1)
	v_cndmask_b32_e64 v2, v2, v16, s2
	global_store_b8 v[6:7], v2, off
.LBB167_57:
	s_mov_b32 s30, 0
	s_mov_b32 s29, -1
.LBB167_58:
	s_and_not1_b32 vcc_lo, exec_lo, s30
	s_cbranch_vccnz .LBB167_66
; %bb.59:
	v_cmp_lt_i16_e32 vcc_lo, 14, v24
	s_mov_b32 s30, -1
	s_cbranch_vccz .LBB167_63
; %bb.60:
	v_cmp_eq_u16_e32 vcc_lo, 15, v24
	s_mov_b32 s28, -1
	s_cbranch_vccz .LBB167_62
; %bb.61:
	s_mov_b32 s29, -1
	s_mov_b32 s28, 0
	global_store_b16 v[6:7], v12, off
.LBB167_62:
	s_mov_b32 s30, 0
.LBB167_63:
	s_delay_alu instid0(SALU_CYCLE_1)
	s_and_b32 vcc_lo, exec_lo, s30
	s_cbranch_vccz .LBB167_66
; %bb.64:
	v_cmp_eq_u16_e32 vcc_lo, 11, v24
	s_mov_b32 s28, -1
	s_cbranch_vccz .LBB167_66
; %bb.65:
	s_mov_b32 s29, -1
	s_mov_b32 s28, 0
	global_store_b8 v[6:7], v11, off
.LBB167_66:
.LBB167_67:
	s_and_not1_b32 vcc_lo, exec_lo, s29
	s_cbranch_vccnz .LBB167_108
.LBB167_68:
	v_add_nc_u32_e32 v9, 0x80, v9
	s_mov_b32 s29, -1
	s_branch .LBB167_109
.LBB167_69:
	s_and_b32 vcc_lo, exec_lo, s30
	s_cbranch_vccz .LBB167_67
; %bb.70:
	v_cmp_gt_i16_e32 vcc_lo, 5, v24
	s_mov_b32 s29, -1
	s_cbranch_vccnz .LBB167_91
; %bb.71:
	v_cmp_gt_i16_e32 vcc_lo, 8, v24
	s_cbranch_vccnz .LBB167_81
; %bb.72:
	v_cmp_gt_i16_e32 vcc_lo, 9, v24
	s_cbranch_vccnz .LBB167_78
; %bb.73:
	v_cmp_lt_i16_e32 vcc_lo, 9, v24
	s_cbranch_vccz .LBB167_75
; %bb.74:
	v_mov_b32_e32 v2, 0
	s_mov_b32 s29, 0
	s_delay_alu instid0(VALU_DEP_1)
	v_mov_b32_e32 v3, v2
	global_store_b128 v[6:7], v[0:3], off
.LBB167_75:
	s_and_not1_b32 vcc_lo, exec_lo, s29
	s_cbranch_vccnz .LBB167_77
; %bb.76:
	v_mov_b32_e32 v5, 0
	global_store_b64 v[6:7], v[4:5], off
.LBB167_77:
	s_mov_b32 s29, 0
.LBB167_78:
	s_delay_alu instid0(SALU_CYCLE_1)
	s_and_not1_b32 vcc_lo, exec_lo, s29
	s_cbranch_vccnz .LBB167_80
; %bb.79:
	global_store_b32 v[6:7], v10, off
.LBB167_80:
	s_mov_b32 s29, 0
.LBB167_81:
	s_delay_alu instid0(SALU_CYCLE_1)
	s_and_not1_b32 vcc_lo, exec_lo, s29
	s_cbranch_vccnz .LBB167_90
; %bb.82:
	v_cmp_gt_i16_e32 vcc_lo, 6, v24
	s_mov_b32 s29, -1
	s_cbranch_vccnz .LBB167_88
; %bb.83:
	v_cmp_lt_i16_e32 vcc_lo, 6, v24
	s_cbranch_vccz .LBB167_85
; %bb.84:
	s_mov_b32 s29, 0
	global_store_b64 v[6:7], v[0:1], off
.LBB167_85:
	s_and_not1_b32 vcc_lo, exec_lo, s29
	s_cbranch_vccnz .LBB167_87
; %bb.86:
	global_store_b32 v[6:7], v4, off
.LBB167_87:
	s_mov_b32 s29, 0
.LBB167_88:
	s_delay_alu instid0(SALU_CYCLE_1)
	s_and_not1_b32 vcc_lo, exec_lo, s29
	s_cbranch_vccnz .LBB167_90
; %bb.89:
	global_store_b16 v[6:7], v8, off
.LBB167_90:
	s_mov_b32 s29, 0
.LBB167_91:
	s_delay_alu instid0(SALU_CYCLE_1)
	s_and_not1_b32 vcc_lo, exec_lo, s29
	s_cbranch_vccnz .LBB167_107
; %bb.92:
	v_cmp_gt_i16_e32 vcc_lo, 2, v24
	s_mov_b32 s29, -1
	s_cbranch_vccnz .LBB167_102
; %bb.93:
	v_cmp_gt_i16_e32 vcc_lo, 3, v24
	s_cbranch_vccnz .LBB167_99
; %bb.94:
	v_cmp_lt_i16_e32 vcc_lo, 3, v24
	s_cbranch_vccz .LBB167_96
; %bb.95:
	v_dual_mov_b32 v2, s20 :: v_dual_mov_b32 v3, s21
	s_mov_b32 s29, 0
	global_store_b64 v[6:7], v[2:3], off
.LBB167_96:
	s_and_not1_b32 vcc_lo, exec_lo, s29
	s_cbranch_vccnz .LBB167_98
; %bb.97:
	v_mov_b32_e32 v2, s14
	global_store_b32 v[6:7], v2, off
.LBB167_98:
	s_mov_b32 s29, 0
.LBB167_99:
	s_delay_alu instid0(SALU_CYCLE_1)
	s_and_not1_b32 vcc_lo, exec_lo, s29
	s_cbranch_vccnz .LBB167_101
; %bb.100:
	v_mov_b32_e32 v2, s14
	global_store_b16 v[6:7], v2, off
.LBB167_101:
	s_mov_b32 s29, 0
.LBB167_102:
	s_delay_alu instid0(SALU_CYCLE_1)
	s_and_not1_b32 vcc_lo, exec_lo, s29
	s_cbranch_vccnz .LBB167_107
; %bb.103:
	v_cmp_lt_i16_e32 vcc_lo, 0, v24
	s_mov_b32 s29, -1
	s_cbranch_vccz .LBB167_105
; %bb.104:
	v_mov_b32_e32 v2, s14
	s_mov_b32 s29, 0
	global_store_b8 v[6:7], v2, off
.LBB167_105:
	s_and_not1_b32 vcc_lo, exec_lo, s29
	s_cbranch_vccnz .LBB167_107
; %bb.106:
	v_mov_b32_e32 v2, s14
	global_store_b8 v[6:7], v2, off
.LBB167_107:
	s_branch .LBB167_68
.LBB167_108:
	s_mov_b32 s29, 0
                                        ; implicit-def: $vgpr9
.LBB167_109:
	s_and_b32 s43, s28, exec_lo
	s_or_not1_b32 s28, s29, exec_lo
.LBB167_110:
	s_or_b32 exec_lo, exec_lo, s44
	s_mov_b32 s29, 0
                                        ; implicit-def: $vgpr24
                                        ; implicit-def: $vgpr6_vgpr7
	s_and_saveexec_b32 s44, s28
	s_cbranch_execz .LBB167_117
; %bb.111:
	s_mov_b32 s30, -1
	s_mov_b32 s45, s43
	s_mov_b32 s46, exec_lo
	v_cmpx_gt_i32_e64 s40, v9
	s_cbranch_execz .LBB167_364
; %bb.112:
	s_and_not1_b32 vcc_lo, exec_lo, s35
	s_cbranch_vccnz .LBB167_219
; %bb.113:
	v_mov_b32_e32 v2, 0
	s_and_not1_b32 vcc_lo, exec_lo, s42
	s_cbranch_vccnz .LBB167_226
; %bb.114:
	s_add_i32 s47, s41, 1
	s_cmp_eq_u32 s33, 2
	s_mov_b32 s45, 0
	s_cbranch_scc1 .LBB167_222
; %bb.115:
	v_dual_mov_b32 v2, 0 :: v_dual_mov_b32 v3, v9
	s_and_b32 s45, s47, 28
	s_mov_b32 s48, 0
	s_mov_b64 s[28:29], s[0:1]
	s_mov_b64 s[30:31], s[26:27]
.LBB167_116:                            ; =>This Inner Loop Header: Depth=1
	s_clause 0x1
	s_load_b256 s[52:59], s[28:29], 0x4
	s_load_b128 s[60:63], s[28:29], 0x24
	s_load_b128 s[64:67], s[30:31], 0x0
	s_add_u32 s28, s28, 48
	s_addc_u32 s29, s29, 0
	s_add_i32 s48, s48, 4
	s_add_u32 s30, s30, 16
	s_addc_u32 s31, s31, 0
	s_cmp_eq_u32 s45, s48
	s_waitcnt lgkmcnt(0)
	v_mul_hi_u32 v5, s53, v3
	s_delay_alu instid0(VALU_DEP_1) | instskip(NEXT) | instid1(VALU_DEP_1)
	v_add_nc_u32_e32 v5, v3, v5
	v_lshrrev_b32_e32 v5, s54, v5
	s_delay_alu instid0(VALU_DEP_1) | instskip(SKIP_1) | instid1(VALU_DEP_2)
	v_mul_hi_u32 v6, s56, v5
	v_mul_lo_u32 v25, v5, s52
	v_add_nc_u32_e32 v6, v5, v6
	s_delay_alu instid0(VALU_DEP_2) | instskip(NEXT) | instid1(VALU_DEP_2)
	v_sub_nc_u32_e32 v25, v3, v25
	v_lshrrev_b32_e32 v6, s57, v6
	s_delay_alu instid0(VALU_DEP_2) | instskip(NEXT) | instid1(VALU_DEP_2)
	v_mul_lo_u32 v25, v25, s64
	v_mul_hi_u32 v7, s59, v6
	v_mul_lo_u32 v26, v6, s55
	s_delay_alu instid0(VALU_DEP_2) | instskip(NEXT) | instid1(VALU_DEP_2)
	v_add_nc_u32_e32 v7, v6, v7
	v_sub_nc_u32_e32 v5, v5, v26
	s_delay_alu instid0(VALU_DEP_2) | instskip(NEXT) | instid1(VALU_DEP_2)
	v_lshrrev_b32_e32 v7, s60, v7
	v_mul_lo_u32 v5, v5, s65
	s_delay_alu instid0(VALU_DEP_2) | instskip(NEXT) | instid1(VALU_DEP_2)
	v_mul_hi_u32 v24, s62, v7
	v_add3_u32 v2, v25, v2, v5
	s_delay_alu instid0(VALU_DEP_2) | instskip(NEXT) | instid1(VALU_DEP_1)
	v_add_nc_u32_e32 v24, v7, v24
	v_lshrrev_b32_e32 v3, s63, v24
	v_mul_lo_u32 v24, v7, s58
	s_delay_alu instid0(VALU_DEP_2) | instskip(NEXT) | instid1(VALU_DEP_2)
	v_mul_lo_u32 v27, v3, s61
	v_sub_nc_u32_e32 v6, v6, v24
	s_delay_alu instid0(VALU_DEP_2) | instskip(NEXT) | instid1(VALU_DEP_2)
	v_sub_nc_u32_e32 v7, v7, v27
	v_mul_lo_u32 v6, v6, s66
	s_delay_alu instid0(VALU_DEP_2) | instskip(NEXT) | instid1(VALU_DEP_1)
	v_mul_lo_u32 v7, v7, s67
	v_add3_u32 v2, v6, v2, v7
	s_cbranch_scc0 .LBB167_116
	s_branch .LBB167_223
.LBB167_117:
	s_or_b32 exec_lo, exec_lo, s44
	s_mov_b32 s2, 0
	s_and_saveexec_b32 s3, s43
	s_cbranch_execnz .LBB167_682
.LBB167_118:
	s_or_b32 exec_lo, exec_lo, s3
	s_and_saveexec_b32 s3, s45
	s_delay_alu instid0(SALU_CYCLE_1)
	s_xor_b32 s3, exec_lo, s3
	s_cbranch_execz .LBB167_120
.LBB167_119:
	global_store_b8 v[6:7], v11, off
.LBB167_120:
	s_or_b32 exec_lo, exec_lo, s3
	s_and_saveexec_b32 s3, s29
	s_delay_alu instid0(SALU_CYCLE_1)
	s_xor_b32 s3, exec_lo, s3
	s_cbranch_execz .LBB167_158
; %bb.121:
	v_cmp_gt_i16_e32 vcc_lo, 5, v24
	s_mov_b32 s4, -1
	s_cbranch_vccnz .LBB167_142
; %bb.122:
	v_cmp_gt_i16_e32 vcc_lo, 8, v24
	s_cbranch_vccnz .LBB167_132
; %bb.123:
	v_cmp_gt_i16_e32 vcc_lo, 9, v24
	s_cbranch_vccnz .LBB167_129
; %bb.124:
	v_cmp_lt_i16_e32 vcc_lo, 9, v24
	s_cbranch_vccz .LBB167_126
; %bb.125:
	v_mov_b32_e32 v2, 0
	s_mov_b32 s4, 0
	s_delay_alu instid0(VALU_DEP_1)
	v_mov_b32_e32 v3, v2
	global_store_b128 v[6:7], v[0:3], off
.LBB167_126:
	s_and_not1_b32 vcc_lo, exec_lo, s4
	s_cbranch_vccnz .LBB167_128
; %bb.127:
	v_mov_b32_e32 v5, 0
	global_store_b64 v[6:7], v[4:5], off
.LBB167_128:
	s_mov_b32 s4, 0
.LBB167_129:
	s_delay_alu instid0(SALU_CYCLE_1)
	s_and_not1_b32 vcc_lo, exec_lo, s4
	s_cbranch_vccnz .LBB167_131
; %bb.130:
	global_store_b32 v[6:7], v10, off
.LBB167_131:
	s_mov_b32 s4, 0
.LBB167_132:
	s_delay_alu instid0(SALU_CYCLE_1)
	s_and_not1_b32 vcc_lo, exec_lo, s4
	s_cbranch_vccnz .LBB167_141
; %bb.133:
	v_cmp_gt_i16_e32 vcc_lo, 6, v24
	s_mov_b32 s4, -1
	s_cbranch_vccnz .LBB167_139
; %bb.134:
	v_cmp_lt_i16_e32 vcc_lo, 6, v24
	s_cbranch_vccz .LBB167_136
; %bb.135:
	s_mov_b32 s4, 0
	global_store_b64 v[6:7], v[0:1], off
.LBB167_136:
	s_and_not1_b32 vcc_lo, exec_lo, s4
	s_cbranch_vccnz .LBB167_138
; %bb.137:
	global_store_b32 v[6:7], v4, off
.LBB167_138:
	s_mov_b32 s4, 0
.LBB167_139:
	s_delay_alu instid0(SALU_CYCLE_1)
	s_and_not1_b32 vcc_lo, exec_lo, s4
	s_cbranch_vccnz .LBB167_141
; %bb.140:
	global_store_b16 v[6:7], v8, off
.LBB167_141:
	s_mov_b32 s4, 0
.LBB167_142:
	s_delay_alu instid0(SALU_CYCLE_1)
	s_and_not1_b32 vcc_lo, exec_lo, s4
	s_cbranch_vccnz .LBB167_158
; %bb.143:
	v_cmp_gt_i16_e32 vcc_lo, 2, v24
	s_mov_b32 s4, -1
	s_cbranch_vccnz .LBB167_153
; %bb.144:
	v_cmp_gt_i16_e32 vcc_lo, 3, v24
	s_cbranch_vccnz .LBB167_150
; %bb.145:
	v_cmp_lt_i16_e32 vcc_lo, 3, v24
	s_cbranch_vccz .LBB167_147
; %bb.146:
	v_dual_mov_b32 v0, s20 :: v_dual_mov_b32 v1, s21
	s_mov_b32 s4, 0
	global_store_b64 v[6:7], v[0:1], off
.LBB167_147:
	s_and_not1_b32 vcc_lo, exec_lo, s4
	s_cbranch_vccnz .LBB167_149
; %bb.148:
	v_mov_b32_e32 v0, s14
	global_store_b32 v[6:7], v0, off
.LBB167_149:
	s_mov_b32 s4, 0
.LBB167_150:
	s_delay_alu instid0(SALU_CYCLE_1)
	s_and_not1_b32 vcc_lo, exec_lo, s4
	s_cbranch_vccnz .LBB167_152
; %bb.151:
	v_mov_b32_e32 v0, s14
	global_store_b16 v[6:7], v0, off
.LBB167_152:
	s_mov_b32 s4, 0
.LBB167_153:
	s_delay_alu instid0(SALU_CYCLE_1)
	s_and_not1_b32 vcc_lo, exec_lo, s4
	s_cbranch_vccnz .LBB167_158
; %bb.154:
	v_cmp_lt_i16_e32 vcc_lo, 0, v24
	s_mov_b32 s4, -1
	s_cbranch_vccz .LBB167_156
; %bb.155:
	v_mov_b32_e32 v0, s14
	s_mov_b32 s4, 0
	global_store_b8 v[6:7], v0, off
.LBB167_156:
	s_and_not1_b32 vcc_lo, exec_lo, s4
	s_cbranch_vccnz .LBB167_158
; %bb.157:
	v_mov_b32_e32 v0, s14
	global_store_b8 v[6:7], v0, off
.LBB167_158:
	s_or_b32 exec_lo, exec_lo, s3
	s_delay_alu instid0(SALU_CYCLE_1)
	s_and_b32 s6, s2, exec_lo
                                        ; implicit-def: $vgpr4
                                        ; implicit-def: $vgpr9
.LBB167_159:
	s_or_saveexec_b32 s7, s36
	s_mov_b32 s8, 0
                                        ; implicit-def: $sgpr3
                                        ; implicit-def: $vgpr0_vgpr1
                                        ; implicit-def: $sgpr2
	s_xor_b32 exec_lo, exec_lo, s7
	s_cbranch_execz .LBB167_912
; %bb.160:
	v_cndmask_b32_e64 v0, 0, 1, s35
	s_and_not1_b32 vcc_lo, exec_lo, s35
	s_cbranch_vccnz .LBB167_166
; %bb.161:
	v_mov_b32_e32 v3, 0
	s_cmp_eq_u32 s11, 0
	s_cbranch_scc1 .LBB167_170
; %bb.162:
	s_min_u32 s9, s33, 15
	v_mov_b32_e32 v3, 0
	s_add_i32 s9, s9, 1
	s_cmp_eq_u32 s33, 2
	s_mov_b32 s10, 0
	s_cbranch_scc1 .LBB167_167
; %bb.163:
	v_mov_b32_e32 v3, 0
	v_mov_b32_e32 v1, v9
	s_add_u32 s2, s0, 0xc4
	s_addc_u32 s3, s1, 0
	s_and_b32 s10, s9, 28
	s_mov_b32 s12, 0
	s_mov_b64 s[4:5], s[0:1]
.LBB167_164:                            ; =>This Inner Loop Header: Depth=1
	s_clause 0x1
	s_load_b256 s[16:23], s[4:5], 0x4
	s_load_b128 s[24:27], s[4:5], 0x24
	s_load_b128 s[28:31], s[2:3], 0x0
	s_add_u32 s4, s4, 48
	s_addc_u32 s5, s5, 0
	s_add_i32 s12, s12, 4
	s_add_u32 s2, s2, 16
	s_addc_u32 s3, s3, 0
	s_cmp_lg_u32 s10, s12
	s_waitcnt lgkmcnt(0)
	v_mul_hi_u32 v2, s17, v1
	s_delay_alu instid0(VALU_DEP_1) | instskip(NEXT) | instid1(VALU_DEP_1)
	v_add_nc_u32_e32 v2, v1, v2
	v_lshrrev_b32_e32 v2, s18, v2
	s_delay_alu instid0(VALU_DEP_1) | instskip(SKIP_1) | instid1(VALU_DEP_2)
	v_mul_hi_u32 v5, s20, v2
	v_mul_lo_u32 v8, v2, s16
	v_add_nc_u32_e32 v5, v2, v5
	s_delay_alu instid0(VALU_DEP_2) | instskip(NEXT) | instid1(VALU_DEP_2)
	v_sub_nc_u32_e32 v8, v1, v8
	v_lshrrev_b32_e32 v5, s21, v5
	s_delay_alu instid0(VALU_DEP_2) | instskip(NEXT) | instid1(VALU_DEP_2)
	v_mul_lo_u32 v8, v8, s28
	v_mul_hi_u32 v6, s23, v5
	v_mul_lo_u32 v10, v5, s19
	s_delay_alu instid0(VALU_DEP_2) | instskip(NEXT) | instid1(VALU_DEP_2)
	v_add_nc_u32_e32 v6, v5, v6
	v_sub_nc_u32_e32 v2, v2, v10
	s_delay_alu instid0(VALU_DEP_2) | instskip(NEXT) | instid1(VALU_DEP_2)
	v_lshrrev_b32_e32 v6, s24, v6
	v_mul_lo_u32 v2, v2, s29
	s_delay_alu instid0(VALU_DEP_2) | instskip(NEXT) | instid1(VALU_DEP_2)
	v_mul_hi_u32 v7, s26, v6
	v_add3_u32 v2, v8, v3, v2
	s_delay_alu instid0(VALU_DEP_2) | instskip(NEXT) | instid1(VALU_DEP_1)
	v_add_nc_u32_e32 v7, v6, v7
	v_lshrrev_b32_e32 v1, s27, v7
	v_mul_lo_u32 v7, v6, s22
	s_delay_alu instid0(VALU_DEP_2) | instskip(NEXT) | instid1(VALU_DEP_2)
	v_mul_lo_u32 v11, v1, s25
	v_sub_nc_u32_e32 v5, v5, v7
	s_delay_alu instid0(VALU_DEP_2) | instskip(NEXT) | instid1(VALU_DEP_2)
	v_sub_nc_u32_e32 v6, v6, v11
	v_mul_lo_u32 v5, v5, s30
	s_delay_alu instid0(VALU_DEP_2) | instskip(NEXT) | instid1(VALU_DEP_1)
	v_mul_lo_u32 v6, v6, s31
	v_add3_u32 v3, v5, v2, v6
	s_cbranch_scc1 .LBB167_164
; %bb.165:
	s_and_b32 s9, s9, 3
	s_delay_alu instid0(SALU_CYCLE_1)
	s_cmp_eq_u32 s9, 0
	s_cbranch_scc0 .LBB167_168
	s_branch .LBB167_170
.LBB167_166:
	s_mov_b32 s8, -1
                                        ; implicit-def: $vgpr3
	s_branch .LBB167_170
.LBB167_167:
	v_mov_b32_e32 v1, v9
	s_and_b32 s9, s9, 3
	s_delay_alu instid0(SALU_CYCLE_1)
	s_cmp_eq_u32 s9, 0
	s_cbranch_scc1 .LBB167_170
.LBB167_168:
	s_lshl_b32 s2, s10, 2
	s_mul_i32 s4, s10, 12
	s_add_u32 s2, s2, s0
	s_addc_u32 s3, 0, s1
	s_add_u32 s2, s2, 0xc4
	s_addc_u32 s3, s3, 0
	s_add_u32 s4, s0, s4
	s_addc_u32 s5, 0, s1
	.p2align	6
.LBB167_169:                            ; =>This Inner Loop Header: Depth=1
	s_clause 0x1
	s_load_b64 s[12:13], s[4:5], 0x4
	s_load_b32 s10, s[4:5], 0xc
	s_add_u32 s4, s4, 12
	s_addc_u32 s5, s5, 0
	s_waitcnt lgkmcnt(0)
	v_mul_hi_u32 v2, s13, v1
	s_load_b32 s13, s[2:3], 0x0
	s_add_u32 s2, s2, 4
	s_addc_u32 s3, s3, 0
	s_add_i32 s9, s9, -1
	s_delay_alu instid0(SALU_CYCLE_1) | instskip(NEXT) | instid1(VALU_DEP_1)
	s_cmp_lg_u32 s9, 0
	v_add_nc_u32_e32 v2, v1, v2
	s_delay_alu instid0(VALU_DEP_1) | instskip(NEXT) | instid1(VALU_DEP_1)
	v_lshrrev_b32_e32 v2, s10, v2
	v_mul_lo_u32 v5, v2, s12
	s_delay_alu instid0(VALU_DEP_1) | instskip(SKIP_1) | instid1(VALU_DEP_1)
	v_sub_nc_u32_e32 v1, v1, v5
	s_waitcnt lgkmcnt(0)
	v_mad_u64_u32 v[5:6], null, v1, s13, v[3:4]
	v_mov_b32_e32 v1, v2
	s_delay_alu instid0(VALU_DEP_2)
	v_mov_b32_e32 v3, v5
	s_cbranch_scc1 .LBB167_169
.LBB167_170:
	s_and_not1_b32 vcc_lo, exec_lo, s8
	s_cbranch_vccnz .LBB167_173
; %bb.171:
	s_clause 0x1
	s_load_b128 s[12:15], s[0:1], 0x4
	s_load_b32 s2, s[0:1], 0xc4
	s_cmp_lt_u32 s11, 2
	s_waitcnt lgkmcnt(0)
	v_mul_hi_u32 v1, s13, v9
	s_delay_alu instid0(VALU_DEP_1) | instskip(NEXT) | instid1(VALU_DEP_1)
	v_add_nc_u32_e32 v1, v9, v1
	v_lshrrev_b32_e32 v1, s14, v1
	s_delay_alu instid0(VALU_DEP_1) | instskip(NEXT) | instid1(VALU_DEP_1)
	v_mul_lo_u32 v2, v1, s12
	v_sub_nc_u32_e32 v2, v9, v2
	s_delay_alu instid0(VALU_DEP_1)
	v_mul_lo_u32 v3, v2, s2
	s_cbranch_scc1 .LBB167_173
; %bb.172:
	s_clause 0x1
	s_load_b128 s[12:15], s[0:1], 0x10
	s_load_b32 s2, s[0:1], 0xc8
	s_waitcnt lgkmcnt(0)
	v_mul_hi_u32 v2, s13, v1
	s_delay_alu instid0(VALU_DEP_1) | instskip(NEXT) | instid1(VALU_DEP_1)
	v_add_nc_u32_e32 v2, v1, v2
	v_lshrrev_b32_e32 v2, s14, v2
	s_delay_alu instid0(VALU_DEP_1) | instskip(NEXT) | instid1(VALU_DEP_1)
	v_mul_lo_u32 v2, v2, s12
	v_sub_nc_u32_e32 v5, v1, v2
	s_delay_alu instid0(VALU_DEP_1) | instskip(NEXT) | instid1(VALU_DEP_1)
	v_mad_u64_u32 v[1:2], null, v5, s2, v[3:4]
	v_mov_b32_e32 v3, v1
.LBB167_173:
	v_cmp_ne_u32_e32 vcc_lo, 1, v0
	v_add_nc_u32_e32 v1, 0x80, v9
	s_cbranch_vccnz .LBB167_179
; %bb.174:
	v_mov_b32_e32 v2, 0
	s_cmp_eq_u32 s11, 0
	s_mov_b32 s8, 0
	s_cbranch_scc1 .LBB167_183
; %bb.175:
	s_min_u32 s9, s33, 15
	v_mov_b32_e32 v2, 0
	s_add_i32 s9, s9, 1
	s_cmp_eq_u32 s33, 2
	s_mov_b32 s10, 0
	s_cbranch_scc1 .LBB167_180
; %bb.176:
	v_dual_mov_b32 v2, 0 :: v_dual_mov_b32 v5, v1
	s_add_u32 s2, s0, 0xc4
	s_addc_u32 s3, s1, 0
	s_and_b32 s10, s9, 28
	s_mov_b32 s12, 0
	s_mov_b64 s[4:5], s[0:1]
.LBB167_177:                            ; =>This Inner Loop Header: Depth=1
	s_clause 0x1
	s_load_b256 s[16:23], s[4:5], 0x4
	s_load_b128 s[24:27], s[4:5], 0x24
	s_load_b128 s[28:31], s[2:3], 0x0
	s_add_u32 s4, s4, 48
	s_addc_u32 s5, s5, 0
	s_add_i32 s12, s12, 4
	s_add_u32 s2, s2, 16
	s_addc_u32 s3, s3, 0
	s_cmp_lg_u32 s10, s12
	s_waitcnt lgkmcnt(0)
	v_mul_hi_u32 v6, s17, v5
	s_delay_alu instid0(VALU_DEP_1) | instskip(NEXT) | instid1(VALU_DEP_1)
	v_add_nc_u32_e32 v6, v5, v6
	v_lshrrev_b32_e32 v6, s18, v6
	s_delay_alu instid0(VALU_DEP_1) | instskip(SKIP_1) | instid1(VALU_DEP_2)
	v_mul_hi_u32 v7, s20, v6
	v_mul_lo_u32 v11, v6, s16
	v_add_nc_u32_e32 v7, v6, v7
	s_delay_alu instid0(VALU_DEP_2) | instskip(NEXT) | instid1(VALU_DEP_2)
	v_sub_nc_u32_e32 v11, v5, v11
	v_lshrrev_b32_e32 v7, s21, v7
	s_delay_alu instid0(VALU_DEP_2) | instskip(NEXT) | instid1(VALU_DEP_2)
	v_mul_lo_u32 v11, v11, s28
	v_mul_hi_u32 v8, s23, v7
	v_mul_lo_u32 v12, v7, s19
	s_delay_alu instid0(VALU_DEP_2) | instskip(NEXT) | instid1(VALU_DEP_2)
	v_add_nc_u32_e32 v8, v7, v8
	v_sub_nc_u32_e32 v6, v6, v12
	s_delay_alu instid0(VALU_DEP_2) | instskip(NEXT) | instid1(VALU_DEP_2)
	v_lshrrev_b32_e32 v8, s24, v8
	v_mul_lo_u32 v6, v6, s29
	s_delay_alu instid0(VALU_DEP_2) | instskip(NEXT) | instid1(VALU_DEP_2)
	v_mul_hi_u32 v10, s26, v8
	v_add3_u32 v2, v11, v2, v6
	s_delay_alu instid0(VALU_DEP_2) | instskip(NEXT) | instid1(VALU_DEP_1)
	v_add_nc_u32_e32 v10, v8, v10
	v_lshrrev_b32_e32 v5, s27, v10
	v_mul_lo_u32 v10, v8, s22
	s_delay_alu instid0(VALU_DEP_2) | instskip(NEXT) | instid1(VALU_DEP_2)
	v_mul_lo_u32 v13, v5, s25
	v_sub_nc_u32_e32 v7, v7, v10
	s_delay_alu instid0(VALU_DEP_2) | instskip(NEXT) | instid1(VALU_DEP_2)
	v_sub_nc_u32_e32 v8, v8, v13
	v_mul_lo_u32 v7, v7, s30
	s_delay_alu instid0(VALU_DEP_2) | instskip(NEXT) | instid1(VALU_DEP_1)
	v_mul_lo_u32 v8, v8, s31
	v_add3_u32 v2, v7, v2, v8
	s_cbranch_scc1 .LBB167_177
; %bb.178:
	s_and_b32 s9, s9, 3
	s_delay_alu instid0(SALU_CYCLE_1)
	s_cmp_eq_u32 s9, 0
	s_cbranch_scc0 .LBB167_181
	s_branch .LBB167_183
.LBB167_179:
	s_mov_b32 s8, -1
                                        ; implicit-def: $vgpr2
	s_branch .LBB167_183
.LBB167_180:
	v_mov_b32_e32 v5, v1
	s_and_b32 s9, s9, 3
	s_delay_alu instid0(SALU_CYCLE_1)
	s_cmp_eq_u32 s9, 0
	s_cbranch_scc1 .LBB167_183
.LBB167_181:
	s_lshl_b32 s2, s10, 2
	s_mul_i32 s4, s10, 12
	s_add_u32 s2, s2, s0
	s_addc_u32 s3, 0, s1
	s_add_u32 s2, s2, 0xc4
	s_addc_u32 s3, s3, 0
	;; [unrolled: 2-line block ×3, first 2 shown]
	.p2align	6
.LBB167_182:                            ; =>This Inner Loop Header: Depth=1
	s_clause 0x1
	s_load_b64 s[12:13], s[4:5], 0x4
	s_load_b32 s10, s[4:5], 0xc
	s_add_u32 s4, s4, 12
	s_addc_u32 s5, s5, 0
	s_waitcnt lgkmcnt(0)
	v_mul_hi_u32 v6, s13, v5
	s_load_b32 s13, s[2:3], 0x0
	s_add_u32 s2, s2, 4
	s_addc_u32 s3, s3, 0
	s_add_i32 s9, s9, -1
	s_delay_alu instid0(SALU_CYCLE_1) | instskip(NEXT) | instid1(VALU_DEP_1)
	s_cmp_lg_u32 s9, 0
	v_add_nc_u32_e32 v6, v5, v6
	s_delay_alu instid0(VALU_DEP_1) | instskip(NEXT) | instid1(VALU_DEP_1)
	v_lshrrev_b32_e32 v8, s10, v6
	v_mul_lo_u32 v6, v8, s12
	s_delay_alu instid0(VALU_DEP_1) | instskip(SKIP_1) | instid1(VALU_DEP_1)
	v_sub_nc_u32_e32 v5, v5, v6
	s_waitcnt lgkmcnt(0)
	v_mad_u64_u32 v[6:7], null, v5, s13, v[2:3]
	s_delay_alu instid0(VALU_DEP_1)
	v_dual_mov_b32 v5, v8 :: v_dual_mov_b32 v2, v6
	s_cbranch_scc1 .LBB167_182
.LBB167_183:
	s_and_not1_b32 vcc_lo, exec_lo, s8
	s_cbranch_vccnz .LBB167_186
; %bb.184:
	s_clause 0x1
	s_load_b128 s[12:15], s[0:1], 0x4
	s_load_b32 s2, s[0:1], 0xc4
	s_cmp_lt_u32 s11, 2
	s_waitcnt lgkmcnt(0)
	v_mul_hi_u32 v2, s13, v1
	s_delay_alu instid0(VALU_DEP_1) | instskip(NEXT) | instid1(VALU_DEP_1)
	v_add_nc_u32_e32 v2, v1, v2
	v_lshrrev_b32_e32 v5, s14, v2
	s_delay_alu instid0(VALU_DEP_1) | instskip(NEXT) | instid1(VALU_DEP_1)
	v_mul_lo_u32 v2, v5, s12
	v_sub_nc_u32_e32 v1, v1, v2
	s_delay_alu instid0(VALU_DEP_1)
	v_mul_lo_u32 v2, v1, s2
	s_cbranch_scc1 .LBB167_186
; %bb.185:
	s_clause 0x1
	s_load_b128 s[12:15], s[0:1], 0x10
	s_load_b32 s2, s[0:1], 0xc8
	s_waitcnt lgkmcnt(0)
	v_mul_hi_u32 v1, s13, v5
	s_delay_alu instid0(VALU_DEP_1) | instskip(NEXT) | instid1(VALU_DEP_1)
	v_add_nc_u32_e32 v1, v5, v1
	v_lshrrev_b32_e32 v1, s14, v1
	s_delay_alu instid0(VALU_DEP_1) | instskip(NEXT) | instid1(VALU_DEP_1)
	v_mul_lo_u32 v1, v1, s12
	v_sub_nc_u32_e32 v1, v5, v1
	s_delay_alu instid0(VALU_DEP_1) | instskip(NEXT) | instid1(VALU_DEP_1)
	v_mad_u64_u32 v[5:6], null, v1, s2, v[2:3]
	v_mov_b32_e32 v2, v5
.LBB167_186:
	v_cmp_ne_u32_e32 vcc_lo, 1, v0
	v_add_nc_u32_e32 v5, 0x100, v9
	s_cbranch_vccnz .LBB167_192
; %bb.187:
	v_mov_b32_e32 v1, 0
	s_cmp_eq_u32 s11, 0
	s_mov_b32 s8, 0
	s_cbranch_scc1 .LBB167_196
; %bb.188:
	s_min_u32 s9, s33, 15
	v_mov_b32_e32 v1, 0
	s_add_i32 s9, s9, 1
	s_cmp_eq_u32 s33, 2
	s_mov_b32 s10, 0
	s_cbranch_scc1 .LBB167_193
; %bb.189:
	v_dual_mov_b32 v1, 0 :: v_dual_mov_b32 v6, v5
	s_add_u32 s2, s0, 0xc4
	s_addc_u32 s3, s1, 0
	s_and_b32 s10, s9, 28
	s_mov_b32 s12, 0
	s_mov_b64 s[4:5], s[0:1]
.LBB167_190:                            ; =>This Inner Loop Header: Depth=1
	s_clause 0x1
	s_load_b256 s[16:23], s[4:5], 0x4
	s_load_b128 s[24:27], s[4:5], 0x24
	s_load_b128 s[28:31], s[2:3], 0x0
	s_add_u32 s4, s4, 48
	s_addc_u32 s5, s5, 0
	s_add_i32 s12, s12, 4
	s_add_u32 s2, s2, 16
	s_addc_u32 s3, s3, 0
	s_cmp_lg_u32 s10, s12
	s_waitcnt lgkmcnt(0)
	v_mul_hi_u32 v7, s17, v6
	s_delay_alu instid0(VALU_DEP_1) | instskip(NEXT) | instid1(VALU_DEP_1)
	v_add_nc_u32_e32 v7, v6, v7
	v_lshrrev_b32_e32 v7, s18, v7
	s_delay_alu instid0(VALU_DEP_1) | instskip(SKIP_1) | instid1(VALU_DEP_2)
	v_mul_hi_u32 v8, s20, v7
	v_mul_lo_u32 v11, v7, s16
	v_add_nc_u32_e32 v8, v7, v8
	s_delay_alu instid0(VALU_DEP_2) | instskip(NEXT) | instid1(VALU_DEP_2)
	v_sub_nc_u32_e32 v11, v6, v11
	v_lshrrev_b32_e32 v8, s21, v8
	s_delay_alu instid0(VALU_DEP_2) | instskip(NEXT) | instid1(VALU_DEP_2)
	v_mul_lo_u32 v11, v11, s28
	v_mul_hi_u32 v9, s23, v8
	v_mul_lo_u32 v12, v8, s19
	s_delay_alu instid0(VALU_DEP_2) | instskip(NEXT) | instid1(VALU_DEP_2)
	v_add_nc_u32_e32 v9, v8, v9
	v_sub_nc_u32_e32 v7, v7, v12
	s_delay_alu instid0(VALU_DEP_2) | instskip(NEXT) | instid1(VALU_DEP_2)
	v_lshrrev_b32_e32 v9, s24, v9
	v_mul_lo_u32 v7, v7, s29
	s_delay_alu instid0(VALU_DEP_2) | instskip(NEXT) | instid1(VALU_DEP_2)
	v_mul_hi_u32 v10, s26, v9
	v_add3_u32 v1, v11, v1, v7
	s_delay_alu instid0(VALU_DEP_2) | instskip(NEXT) | instid1(VALU_DEP_1)
	v_add_nc_u32_e32 v10, v9, v10
	v_lshrrev_b32_e32 v6, s27, v10
	v_mul_lo_u32 v10, v9, s22
	s_delay_alu instid0(VALU_DEP_2) | instskip(NEXT) | instid1(VALU_DEP_2)
	v_mul_lo_u32 v13, v6, s25
	v_sub_nc_u32_e32 v8, v8, v10
	s_delay_alu instid0(VALU_DEP_2) | instskip(NEXT) | instid1(VALU_DEP_2)
	v_sub_nc_u32_e32 v9, v9, v13
	v_mul_lo_u32 v8, v8, s30
	s_delay_alu instid0(VALU_DEP_2) | instskip(NEXT) | instid1(VALU_DEP_1)
	v_mul_lo_u32 v9, v9, s31
	v_add3_u32 v1, v8, v1, v9
	s_cbranch_scc1 .LBB167_190
; %bb.191:
	s_and_b32 s9, s9, 3
	s_delay_alu instid0(SALU_CYCLE_1)
	s_cmp_eq_u32 s9, 0
	s_cbranch_scc0 .LBB167_194
	s_branch .LBB167_196
.LBB167_192:
	s_mov_b32 s8, -1
                                        ; implicit-def: $vgpr1
	s_branch .LBB167_196
.LBB167_193:
	v_mov_b32_e32 v6, v5
	s_and_b32 s9, s9, 3
	s_delay_alu instid0(SALU_CYCLE_1)
	s_cmp_eq_u32 s9, 0
	s_cbranch_scc1 .LBB167_196
.LBB167_194:
	s_lshl_b32 s2, s10, 2
	s_mul_i32 s4, s10, 12
	s_add_u32 s2, s2, s0
	s_addc_u32 s3, 0, s1
	s_add_u32 s2, s2, 0xc4
	s_addc_u32 s3, s3, 0
	;; [unrolled: 2-line block ×3, first 2 shown]
	.p2align	6
.LBB167_195:                            ; =>This Inner Loop Header: Depth=1
	s_clause 0x1
	s_load_b64 s[12:13], s[4:5], 0x4
	s_load_b32 s10, s[4:5], 0xc
	s_add_u32 s4, s4, 12
	s_addc_u32 s5, s5, 0
	s_waitcnt lgkmcnt(0)
	v_mul_hi_u32 v7, s13, v6
	s_load_b32 s13, s[2:3], 0x0
	s_add_u32 s2, s2, 4
	s_addc_u32 s3, s3, 0
	s_add_i32 s9, s9, -1
	s_delay_alu instid0(SALU_CYCLE_1) | instskip(NEXT) | instid1(VALU_DEP_1)
	s_cmp_lg_u32 s9, 0
	v_add_nc_u32_e32 v7, v6, v7
	s_delay_alu instid0(VALU_DEP_1) | instskip(NEXT) | instid1(VALU_DEP_1)
	v_lshrrev_b32_e32 v9, s10, v7
	v_mul_lo_u32 v7, v9, s12
	s_delay_alu instid0(VALU_DEP_1) | instskip(SKIP_1) | instid1(VALU_DEP_1)
	v_sub_nc_u32_e32 v6, v6, v7
	s_waitcnt lgkmcnt(0)
	v_mad_u64_u32 v[7:8], null, v6, s13, v[1:2]
	s_delay_alu instid0(VALU_DEP_1)
	v_dual_mov_b32 v6, v9 :: v_dual_mov_b32 v1, v7
	s_cbranch_scc1 .LBB167_195
.LBB167_196:
	s_and_not1_b32 vcc_lo, exec_lo, s8
	s_cbranch_vccnz .LBB167_199
; %bb.197:
	s_clause 0x1
	s_load_b128 s[12:15], s[0:1], 0x4
	s_load_b32 s2, s[0:1], 0xc4
	s_cmp_lt_u32 s11, 2
	s_waitcnt lgkmcnt(0)
	v_mul_hi_u32 v1, s13, v5
	s_delay_alu instid0(VALU_DEP_1) | instskip(NEXT) | instid1(VALU_DEP_1)
	v_add_nc_u32_e32 v1, v5, v1
	v_lshrrev_b32_e32 v6, s14, v1
	s_delay_alu instid0(VALU_DEP_1) | instskip(NEXT) | instid1(VALU_DEP_1)
	v_mul_lo_u32 v1, v6, s12
	v_sub_nc_u32_e32 v1, v5, v1
	s_delay_alu instid0(VALU_DEP_1)
	v_mul_lo_u32 v1, v1, s2
	s_cbranch_scc1 .LBB167_199
; %bb.198:
	s_clause 0x1
	s_load_b128 s[12:15], s[0:1], 0x10
	s_load_b32 s2, s[0:1], 0xc8
	s_waitcnt lgkmcnt(0)
	v_mul_hi_u32 v5, s13, v6
	s_delay_alu instid0(VALU_DEP_1) | instskip(NEXT) | instid1(VALU_DEP_1)
	v_add_nc_u32_e32 v5, v6, v5
	v_lshrrev_b32_e32 v5, s14, v5
	s_delay_alu instid0(VALU_DEP_1) | instskip(NEXT) | instid1(VALU_DEP_1)
	v_mul_lo_u32 v5, v5, s12
	v_sub_nc_u32_e32 v7, v6, v5
	s_delay_alu instid0(VALU_DEP_1) | instskip(NEXT) | instid1(VALU_DEP_1)
	v_mad_u64_u32 v[5:6], null, v7, s2, v[1:2]
	v_mov_b32_e32 v1, v5
.LBB167_199:
	v_cmp_ne_u32_e32 vcc_lo, 1, v0
	s_cbranch_vccnz .LBB167_205
; %bb.200:
	v_mov_b32_e32 v0, 0
	s_cmp_eq_u32 s11, 0
	s_mov_b32 s8, 0
	s_cbranch_scc1 .LBB167_209
; %bb.201:
	s_min_u32 s9, s33, 15
	v_mov_b32_e32 v0, 0
	s_add_i32 s9, s9, 1
	s_cmp_eq_u32 s33, 2
	s_mov_b32 s10, 0
	s_cbranch_scc1 .LBB167_206
; %bb.202:
	v_dual_mov_b32 v0, 0 :: v_dual_mov_b32 v5, v4
	s_add_u32 s2, s0, 0xc4
	s_addc_u32 s3, s1, 0
	s_and_b32 s10, s9, 28
	s_mov_b32 s12, 0
	s_mov_b64 s[4:5], s[0:1]
.LBB167_203:                            ; =>This Inner Loop Header: Depth=1
	s_clause 0x1
	s_load_b256 s[16:23], s[4:5], 0x4
	s_load_b128 s[24:27], s[4:5], 0x24
	s_load_b128 s[28:31], s[2:3], 0x0
	s_add_u32 s4, s4, 48
	s_addc_u32 s5, s5, 0
	s_add_i32 s12, s12, 4
	s_add_u32 s2, s2, 16
	s_addc_u32 s3, s3, 0
	s_cmp_lg_u32 s10, s12
	s_waitcnt lgkmcnt(0)
	v_mul_hi_u32 v6, s17, v5
	s_delay_alu instid0(VALU_DEP_1) | instskip(NEXT) | instid1(VALU_DEP_1)
	v_add_nc_u32_e32 v6, v5, v6
	v_lshrrev_b32_e32 v6, s18, v6
	s_delay_alu instid0(VALU_DEP_1) | instskip(SKIP_1) | instid1(VALU_DEP_2)
	v_mul_hi_u32 v7, s20, v6
	v_mul_lo_u32 v10, v6, s16
	v_add_nc_u32_e32 v7, v6, v7
	s_delay_alu instid0(VALU_DEP_2) | instskip(NEXT) | instid1(VALU_DEP_2)
	v_sub_nc_u32_e32 v10, v5, v10
	v_lshrrev_b32_e32 v7, s21, v7
	s_delay_alu instid0(VALU_DEP_2) | instskip(NEXT) | instid1(VALU_DEP_2)
	v_mul_lo_u32 v10, v10, s28
	v_mul_hi_u32 v8, s23, v7
	v_mul_lo_u32 v11, v7, s19
	s_delay_alu instid0(VALU_DEP_2) | instskip(NEXT) | instid1(VALU_DEP_2)
	v_add_nc_u32_e32 v8, v7, v8
	v_sub_nc_u32_e32 v6, v6, v11
	s_delay_alu instid0(VALU_DEP_2) | instskip(NEXT) | instid1(VALU_DEP_2)
	v_lshrrev_b32_e32 v8, s24, v8
	v_mul_lo_u32 v6, v6, s29
	s_delay_alu instid0(VALU_DEP_2) | instskip(NEXT) | instid1(VALU_DEP_2)
	v_mul_hi_u32 v9, s26, v8
	v_add3_u32 v0, v10, v0, v6
	s_delay_alu instid0(VALU_DEP_2) | instskip(NEXT) | instid1(VALU_DEP_1)
	v_add_nc_u32_e32 v9, v8, v9
	v_lshrrev_b32_e32 v5, s27, v9
	v_mul_lo_u32 v9, v8, s22
	s_delay_alu instid0(VALU_DEP_2) | instskip(NEXT) | instid1(VALU_DEP_2)
	v_mul_lo_u32 v12, v5, s25
	v_sub_nc_u32_e32 v7, v7, v9
	s_delay_alu instid0(VALU_DEP_2) | instskip(NEXT) | instid1(VALU_DEP_2)
	v_sub_nc_u32_e32 v8, v8, v12
	v_mul_lo_u32 v7, v7, s30
	s_delay_alu instid0(VALU_DEP_2) | instskip(NEXT) | instid1(VALU_DEP_1)
	v_mul_lo_u32 v8, v8, s31
	v_add3_u32 v0, v7, v0, v8
	s_cbranch_scc1 .LBB167_203
; %bb.204:
	s_and_b32 s9, s9, 3
	s_delay_alu instid0(SALU_CYCLE_1)
	s_cmp_eq_u32 s9, 0
	s_cbranch_scc0 .LBB167_207
	s_branch .LBB167_209
.LBB167_205:
	s_mov_b32 s8, -1
                                        ; implicit-def: $vgpr0
	s_branch .LBB167_209
.LBB167_206:
	v_mov_b32_e32 v5, v4
	s_and_b32 s9, s9, 3
	s_delay_alu instid0(SALU_CYCLE_1)
	s_cmp_eq_u32 s9, 0
	s_cbranch_scc1 .LBB167_209
.LBB167_207:
	s_lshl_b32 s2, s10, 2
	s_mul_i32 s4, s10, 12
	s_add_u32 s2, s2, s0
	s_addc_u32 s3, 0, s1
	s_add_u32 s2, s2, 0xc4
	s_addc_u32 s3, s3, 0
	;; [unrolled: 2-line block ×3, first 2 shown]
	.p2align	6
.LBB167_208:                            ; =>This Inner Loop Header: Depth=1
	s_clause 0x1
	s_load_b64 s[12:13], s[4:5], 0x4
	s_load_b32 s10, s[4:5], 0xc
	s_add_u32 s4, s4, 12
	s_addc_u32 s5, s5, 0
	s_waitcnt lgkmcnt(0)
	v_mul_hi_u32 v6, s13, v5
	s_load_b32 s13, s[2:3], 0x0
	s_add_u32 s2, s2, 4
	s_addc_u32 s3, s3, 0
	s_add_i32 s9, s9, -1
	s_delay_alu instid0(SALU_CYCLE_1) | instskip(NEXT) | instid1(VALU_DEP_1)
	s_cmp_lg_u32 s9, 0
	v_add_nc_u32_e32 v6, v5, v6
	s_delay_alu instid0(VALU_DEP_1) | instskip(NEXT) | instid1(VALU_DEP_1)
	v_lshrrev_b32_e32 v8, s10, v6
	v_mul_lo_u32 v6, v8, s12
	s_delay_alu instid0(VALU_DEP_1) | instskip(SKIP_1) | instid1(VALU_DEP_1)
	v_sub_nc_u32_e32 v5, v5, v6
	s_waitcnt lgkmcnt(0)
	v_mad_u64_u32 v[6:7], null, v5, s13, v[0:1]
	s_delay_alu instid0(VALU_DEP_1)
	v_dual_mov_b32 v5, v8 :: v_dual_mov_b32 v0, v6
	s_cbranch_scc1 .LBB167_208
.LBB167_209:
	s_and_not1_b32 vcc_lo, exec_lo, s8
	s_cbranch_vccnz .LBB167_212
; %bb.210:
	s_clause 0x1
	s_load_b128 s[12:15], s[0:1], 0x4
	s_load_b32 s2, s[0:1], 0xc4
	s_cmp_lt_u32 s11, 2
	s_waitcnt lgkmcnt(0)
	v_mul_hi_u32 v0, s13, v4
	s_delay_alu instid0(VALU_DEP_1) | instskip(NEXT) | instid1(VALU_DEP_1)
	v_add_nc_u32_e32 v0, v4, v0
	v_lshrrev_b32_e32 v5, s14, v0
	s_delay_alu instid0(VALU_DEP_1) | instskip(NEXT) | instid1(VALU_DEP_1)
	v_mul_lo_u32 v0, v5, s12
	v_sub_nc_u32_e32 v0, v4, v0
	s_delay_alu instid0(VALU_DEP_1)
	v_mul_lo_u32 v0, v0, s2
	s_cbranch_scc1 .LBB167_212
; %bb.211:
	s_clause 0x1
	s_load_b128 s[8:11], s[0:1], 0x10
	s_load_b32 s2, s[0:1], 0xc8
	s_waitcnt lgkmcnt(0)
	v_mul_hi_u32 v4, s9, v5
	s_delay_alu instid0(VALU_DEP_1) | instskip(NEXT) | instid1(VALU_DEP_1)
	v_add_nc_u32_e32 v4, v5, v4
	v_lshrrev_b32_e32 v4, s10, v4
	s_delay_alu instid0(VALU_DEP_1) | instskip(NEXT) | instid1(VALU_DEP_1)
	v_mul_lo_u32 v4, v4, s8
	v_sub_nc_u32_e32 v6, v5, v4
	s_delay_alu instid0(VALU_DEP_1) | instskip(NEXT) | instid1(VALU_DEP_1)
	v_mad_u64_u32 v[4:5], null, v6, s2, v[0:1]
	v_mov_b32_e32 v0, v4
.LBB167_212:
	s_load_b128 s[0:3], s[0:1], 0x108
	s_mov_b32 s8, 0
	s_waitcnt lgkmcnt(0)
	s_and_b32 s3, s3, 0xff
	v_add_co_u32 v3, s5, s0, v3
	v_cmp_lt_i16_e64 s4, s3, 11
	v_add_co_ci_u32_e64 v4, null, s1, 0, s5
	s_mov_b32 s5, -1
	s_delay_alu instid0(VALU_DEP_2)
	s_and_b32 vcc_lo, exec_lo, s4
	s_mov_b32 s4, s6
	s_cbranch_vccnz .LBB167_473
; %bb.213:
	v_cmp_gt_i16_e64 s4, s3, 25
	s_mov_b32 s9, -1
	s_mov_b32 s5, 0
	s_delay_alu instid0(VALU_DEP_1)
	s_and_b32 vcc_lo, exec_lo, s4
	s_mov_b32 s4, 0
	s_cbranch_vccz .LBB167_308
; %bb.214:
	v_cmp_gt_i16_e64 s4, s3, 28
	s_delay_alu instid0(VALU_DEP_1)
	s_and_b32 vcc_lo, exec_lo, s4
	s_cbranch_vccz .LBB167_220
; %bb.215:
	v_cmp_gt_i16_e64 s4, s3, 43
	s_delay_alu instid0(VALU_DEP_1)
	s_and_b32 vcc_lo, exec_lo, s4
	;; [unrolled: 5-line block ×3, first 2 shown]
	s_cbranch_vccz .LBB167_278
; %bb.217:
	v_cmp_eq_u16_e64 s8, s3, 46
	s_mov_b32 s4, -1
	s_mov_b32 s9, 0
	s_delay_alu instid0(VALU_DEP_1)
	s_and_b32 vcc_lo, exec_lo, s8
	s_mov_b32 s8, 0
	s_cbranch_vccz .LBB167_279
; %bb.218:
	v_cvt_f32_u32_e32 v5, s2
	s_mov_b32 s4, 0
	s_mov_b32 s8, -1
	s_delay_alu instid0(VALU_DEP_1) | instskip(NEXT) | instid1(VALU_DEP_1)
	v_bfe_u32 v6, v5, 16, 1
	v_add_nc_u32_e32 v5, v5, v6
	s_delay_alu instid0(VALU_DEP_1) | instskip(NEXT) | instid1(VALU_DEP_1)
	v_add_nc_u32_e32 v5, 0x7fff, v5
	v_lshrrev_b32_e32 v5, 16, v5
	global_store_b32 v[3:4], v5, off
	s_branch .LBB167_279
.LBB167_219:
                                        ; implicit-def: $vgpr2
	s_branch .LBB167_227
.LBB167_220:
	s_mov_b32 s4, 0
	s_branch .LBB167_288
.LBB167_221:
	s_mov_b32 s4, 0
	s_and_b32 vcc_lo, exec_lo, s9
	s_cbranch_vccnz .LBB167_285
	s_branch .LBB167_287
.LBB167_222:
	v_mov_b32_e32 v3, v9
.LBB167_223:
	s_and_b32 s47, s47, 3
	s_delay_alu instid0(SALU_CYCLE_1)
	s_cmp_eq_u32 s47, 0
	s_cbranch_scc1 .LBB167_226
; %bb.224:
	s_lshl_b32 s28, s45, 2
	s_mul_i32 s30, s45, 12
	s_add_u32 s28, s28, s0
	s_addc_u32 s29, s1, 0
	s_add_u32 s28, s28, 0xc4
	s_addc_u32 s29, s29, 0
	;; [unrolled: 2-line block ×3, first 2 shown]
	.p2align	6
.LBB167_225:                            ; =>This Inner Loop Header: Depth=1
	s_clause 0x1
	s_load_b64 s[48:49], s[30:31], 0x4
	s_load_b32 s45, s[30:31], 0xc
	s_add_u32 s30, s30, 12
	s_addc_u32 s31, s31, 0
	s_waitcnt lgkmcnt(0)
	v_mul_hi_u32 v5, s49, v3
	s_load_b32 s49, s[28:29], 0x0
	s_add_u32 s28, s28, 4
	s_addc_u32 s29, s29, 0
	s_add_i32 s47, s47, -1
	s_delay_alu instid0(SALU_CYCLE_1) | instskip(NEXT) | instid1(VALU_DEP_1)
	s_cmp_lg_u32 s47, 0
	v_add_nc_u32_e32 v5, v3, v5
	s_delay_alu instid0(VALU_DEP_1) | instskip(NEXT) | instid1(VALU_DEP_1)
	v_lshrrev_b32_e32 v7, s45, v5
	v_mul_lo_u32 v5, v7, s48
	s_delay_alu instid0(VALU_DEP_1) | instskip(SKIP_1) | instid1(VALU_DEP_1)
	v_sub_nc_u32_e32 v3, v3, v5
	s_waitcnt lgkmcnt(0)
	v_mad_u64_u32 v[5:6], null, v3, s49, v[2:3]
	s_delay_alu instid0(VALU_DEP_1)
	v_dual_mov_b32 v3, v7 :: v_dual_mov_b32 v2, v5
	s_cbranch_scc1 .LBB167_225
.LBB167_226:
	s_cbranch_execnz .LBB167_229
.LBB167_227:
	v_mul_hi_u32 v2, s17, v9
	s_and_not1_b32 vcc_lo, exec_lo, s39
	s_delay_alu instid0(VALU_DEP_1) | instskip(NEXT) | instid1(VALU_DEP_1)
	v_add_nc_u32_e32 v2, v9, v2
	v_lshrrev_b32_e32 v3, s18, v2
	s_delay_alu instid0(VALU_DEP_1) | instskip(NEXT) | instid1(VALU_DEP_1)
	v_mul_lo_u32 v2, v3, s16
	v_sub_nc_u32_e32 v2, v9, v2
	s_delay_alu instid0(VALU_DEP_1)
	v_mul_lo_u32 v2, v2, s22
	s_cbranch_vccnz .LBB167_229
; %bb.228:
	v_mul_hi_u32 v5, s24, v3
	s_delay_alu instid0(VALU_DEP_1) | instskip(NEXT) | instid1(VALU_DEP_1)
	v_add_nc_u32_e32 v5, v3, v5
	v_lshrrev_b32_e32 v5, s25, v5
	s_delay_alu instid0(VALU_DEP_1) | instskip(NEXT) | instid1(VALU_DEP_1)
	v_mul_lo_u32 v5, v5, s19
	v_sub_nc_u32_e32 v3, v3, v5
	s_delay_alu instid0(VALU_DEP_1) | instskip(NEXT) | instid1(VALU_DEP_1)
	v_mad_u64_u32 v[5:6], null, v3, s23, v[2:3]
	v_mov_b32_e32 v2, v5
.LBB167_229:
	v_and_b32_e64 v24, 0xff, s15
	s_delay_alu instid0(VALU_DEP_2) | instskip(NEXT) | instid1(VALU_DEP_1)
	v_add_co_u32 v6, s28, s12, v2
	v_add_co_ci_u32_e64 v7, null, s13, 0, s28
	s_delay_alu instid0(VALU_DEP_3)
	v_cmp_gt_i16_e32 vcc_lo, 11, v24
	s_mov_b32 s29, 0
	s_mov_b32 s30, -1
	s_mov_b32 s28, s43
	s_cbranch_vccnz .LBB167_236
; %bb.230:
	v_cmp_lt_i16_e32 vcc_lo, 25, v24
	s_cbranch_vccz .LBB167_276
; %bb.231:
	v_cmp_lt_i16_e32 vcc_lo, 28, v24
	s_cbranch_vccz .LBB167_277
	;; [unrolled: 3-line block ×4, first 2 shown]
; %bb.234:
	v_cmp_eq_u16_e32 vcc_lo, 46, v24
	s_mov_b32 s30, 0
	s_mov_b32 s28, -1
	s_cbranch_vccz .LBB167_316
; %bb.235:
	s_mov_b32 s29, -1
	s_mov_b32 s28, 0
	global_store_b32 v[6:7], v12, off
	s_branch .LBB167_316
.LBB167_236:
	s_and_b32 vcc_lo, exec_lo, s30
	s_cbranch_vccz .LBB167_361
; %bb.237:
	v_cmp_gt_i16_e32 vcc_lo, 5, v24
	s_mov_b32 s29, -1
	s_cbranch_vccnz .LBB167_258
; %bb.238:
	v_cmp_gt_i16_e32 vcc_lo, 8, v24
	s_cbranch_vccnz .LBB167_248
; %bb.239:
	v_cmp_gt_i16_e32 vcc_lo, 9, v24
	s_cbranch_vccnz .LBB167_245
; %bb.240:
	v_cmp_lt_i16_e32 vcc_lo, 9, v24
	s_cbranch_vccz .LBB167_242
; %bb.241:
	v_mov_b32_e32 v2, 0
	s_mov_b32 s29, 0
	s_delay_alu instid0(VALU_DEP_1)
	v_mov_b32_e32 v3, v2
	global_store_b128 v[6:7], v[0:3], off
.LBB167_242:
	s_and_not1_b32 vcc_lo, exec_lo, s29
	s_cbranch_vccnz .LBB167_244
; %bb.243:
	v_mov_b32_e32 v5, 0
	global_store_b64 v[6:7], v[4:5], off
.LBB167_244:
	s_mov_b32 s29, 0
.LBB167_245:
	s_delay_alu instid0(SALU_CYCLE_1)
	s_and_not1_b32 vcc_lo, exec_lo, s29
	s_cbranch_vccnz .LBB167_247
; %bb.246:
	global_store_b32 v[6:7], v10, off
.LBB167_247:
	s_mov_b32 s29, 0
.LBB167_248:
	s_delay_alu instid0(SALU_CYCLE_1)
	s_and_not1_b32 vcc_lo, exec_lo, s29
	s_cbranch_vccnz .LBB167_257
; %bb.249:
	v_cmp_gt_i16_e32 vcc_lo, 6, v24
	s_mov_b32 s29, -1
	s_cbranch_vccnz .LBB167_255
; %bb.250:
	v_cmp_lt_i16_e32 vcc_lo, 6, v24
	s_cbranch_vccz .LBB167_252
; %bb.251:
	s_mov_b32 s29, 0
	global_store_b64 v[6:7], v[0:1], off
.LBB167_252:
	s_and_not1_b32 vcc_lo, exec_lo, s29
	s_cbranch_vccnz .LBB167_254
; %bb.253:
	global_store_b32 v[6:7], v4, off
.LBB167_254:
	s_mov_b32 s29, 0
.LBB167_255:
	s_delay_alu instid0(SALU_CYCLE_1)
	s_and_not1_b32 vcc_lo, exec_lo, s29
	s_cbranch_vccnz .LBB167_257
; %bb.256:
	global_store_b16 v[6:7], v8, off
.LBB167_257:
	s_mov_b32 s29, 0
.LBB167_258:
	s_delay_alu instid0(SALU_CYCLE_1)
	s_and_not1_b32 vcc_lo, exec_lo, s29
	s_cbranch_vccnz .LBB167_274
; %bb.259:
	v_cmp_gt_i16_e32 vcc_lo, 2, v24
	s_mov_b32 s29, -1
	s_cbranch_vccnz .LBB167_269
; %bb.260:
	v_cmp_gt_i16_e32 vcc_lo, 3, v24
	s_cbranch_vccnz .LBB167_266
; %bb.261:
	v_cmp_lt_i16_e32 vcc_lo, 3, v24
	s_cbranch_vccz .LBB167_263
; %bb.262:
	v_dual_mov_b32 v2, s20 :: v_dual_mov_b32 v3, s21
	s_mov_b32 s29, 0
	global_store_b64 v[6:7], v[2:3], off
.LBB167_263:
	s_and_not1_b32 vcc_lo, exec_lo, s29
	s_cbranch_vccnz .LBB167_265
; %bb.264:
	v_mov_b32_e32 v2, s14
	global_store_b32 v[6:7], v2, off
.LBB167_265:
	s_mov_b32 s29, 0
.LBB167_266:
	s_delay_alu instid0(SALU_CYCLE_1)
	s_and_not1_b32 vcc_lo, exec_lo, s29
	s_cbranch_vccnz .LBB167_268
; %bb.267:
	v_mov_b32_e32 v2, s14
	global_store_b16 v[6:7], v2, off
.LBB167_268:
	s_mov_b32 s29, 0
.LBB167_269:
	s_delay_alu instid0(SALU_CYCLE_1)
	s_and_not1_b32 vcc_lo, exec_lo, s29
	s_cbranch_vccnz .LBB167_274
; %bb.270:
	v_cmp_lt_i16_e32 vcc_lo, 0, v24
	s_mov_b32 s29, -1
	s_cbranch_vccz .LBB167_272
; %bb.271:
	v_mov_b32_e32 v2, s14
	s_mov_b32 s29, 0
	global_store_b8 v[6:7], v2, off
.LBB167_272:
	s_and_not1_b32 vcc_lo, exec_lo, s29
	s_cbranch_vccnz .LBB167_274
; %bb.273:
	v_mov_b32_e32 v2, s14
	global_store_b8 v[6:7], v2, off
.LBB167_274:
	s_branch .LBB167_362
.LBB167_275:
	s_mov_b32 s29, 0
                                        ; implicit-def: $vgpr9
	s_branch .LBB167_363
.LBB167_276:
	s_mov_b32 s28, s43
	s_branch .LBB167_338
.LBB167_277:
	s_mov_b32 s28, s43
	s_branch .LBB167_324
.LBB167_278:
	s_mov_b32 s4, 0
.LBB167_279:
	s_and_b32 vcc_lo, exec_lo, s9
	s_cbranch_vccz .LBB167_284
; %bb.280:
	v_cmp_eq_u16_e64 s4, s3, 44
	s_delay_alu instid0(VALU_DEP_1)
	s_and_b32 vcc_lo, exec_lo, s4
	s_mov_b32 s4, -1
	s_cbranch_vccz .LBB167_284
; %bb.281:
	v_cvt_f32_u32_e32 v5, s2
	s_delay_alu instid0(VALU_DEP_1) | instskip(SKIP_1) | instid1(VALU_DEP_2)
	v_readfirstlane_b32 s8, v5
	v_mov_b32_e32 v5, 0xff
	s_lshr_b32 s4, s8, 23
	s_delay_alu instid0(SALU_CYCLE_1)
	s_cmpk_eq_i32 s4, 0xff
	s_cbranch_scc1 .LBB167_283
; %bb.282:
	s_bitcmp1_b32 s8, 22
	s_cselect_b32 s9, -1, 0
	s_and_b32 s8, s8, 0x3fffff
	s_delay_alu instid0(SALU_CYCLE_1) | instskip(NEXT) | instid1(SALU_CYCLE_1)
	s_or_b32 s8, s4, s8
	s_cmp_lg_u32 s8, 0
	s_cselect_b32 s8, -1, 0
	s_delay_alu instid0(SALU_CYCLE_1) | instskip(NEXT) | instid1(SALU_CYCLE_1)
	s_and_b32 s8, s9, s8
	v_cndmask_b32_e64 v5, 0, 1, s8
	s_delay_alu instid0(VALU_DEP_1)
	v_add_nc_u32_e32 v5, s4, v5
.LBB167_283:
	s_mov_b32 s4, 0
	s_mov_b32 s8, -1
	global_store_b8 v[3:4], v5, off
.LBB167_284:
	s_branch .LBB167_287
.LBB167_285:
	v_cmp_eq_u16_e64 s4, s3, 29
	s_delay_alu instid0(VALU_DEP_1)
	s_and_b32 vcc_lo, exec_lo, s4
	s_mov_b32 s4, -1
	s_cbranch_vccz .LBB167_287
; %bb.286:
	v_dual_mov_b32 v5, s2 :: v_dual_mov_b32 v6, 0
	s_mov_b32 s4, 0
	s_mov_b32 s8, -1
	s_mov_b32 s9, 0
	global_store_b64 v[3:4], v[5:6], off
	s_branch .LBB167_288
.LBB167_287:
	s_mov_b32 s9, 0
.LBB167_288:
	s_delay_alu instid0(SALU_CYCLE_1)
	s_and_b32 vcc_lo, exec_lo, s9
	s_cbranch_vccz .LBB167_307
; %bb.289:
	v_cmp_lt_i16_e64 s8, s3, 27
	s_delay_alu instid0(VALU_DEP_1)
	s_and_b32 vcc_lo, exec_lo, s8
	s_mov_b32 s8, -1
	s_cbranch_vccnz .LBB167_295
; %bb.290:
	v_cmp_gt_i16_e64 s8, s3, 27
	s_delay_alu instid0(VALU_DEP_1)
	s_and_b32 vcc_lo, exec_lo, s8
	s_mov_b32 s8, -1
	s_cbranch_vccz .LBB167_292
; %bb.291:
	v_mov_b32_e32 v5, s2
	s_mov_b32 s8, 0
	global_store_b32 v[3:4], v5, off
.LBB167_292:
	s_and_not1_b32 vcc_lo, exec_lo, s8
	s_cbranch_vccnz .LBB167_294
; %bb.293:
	v_mov_b32_e32 v5, s2
	global_store_b16 v[3:4], v5, off
.LBB167_294:
	s_mov_b32 s8, 0
.LBB167_295:
	s_delay_alu instid0(SALU_CYCLE_1)
	s_and_not1_b32 vcc_lo, exec_lo, s8
	s_cbranch_vccnz .LBB167_306
; %bb.296:
	v_cvt_f32_u32_e32 v5, s2
	v_mov_b32_e32 v7, 0x80
	s_delay_alu instid0(VALU_DEP_2)
	v_cmp_lt_u32_e32 vcc_lo, 0x437fffff, v5
	v_readfirstlane_b32 s8, v5
	s_cbranch_vccnz .LBB167_305
; %bb.297:
	s_delay_alu instid0(VALU_DEP_1)
	s_cmp_gt_u32 s8, 0x3bffffff
	s_cbranch_scc0 .LBB167_300
; %bb.298:
	s_bfe_u32 s9, s8, 0x10014
	s_delay_alu instid0(SALU_CYCLE_1) | instskip(SKIP_2) | instid1(SALU_CYCLE_1)
	s_add_i32 s8, s8, s9
	s_mov_b32 s9, 0
	s_add_i32 s8, s8, 0x487ffff
	s_lshr_b32 s10, s8, 20
	s_mov_b32 s8, -1
	s_branch .LBB167_301
.LBB167_299:
	s_mov_b32 s28, s43
	s_branch .LBB167_320
.LBB167_300:
	s_mov_b32 s9, -1
	s_mov_b32 s8, 0
                                        ; implicit-def: $sgpr10
.LBB167_301:
	v_mov_b32_e32 v6, s10
	s_and_not1_b32 vcc_lo, exec_lo, s9
                                        ; implicit-def: $sgpr9
	s_cbranch_vccnz .LBB167_303
; %bb.302:
	v_add_f32_e32 v5, 0x46000000, v5
	s_mov_b32 s9, 0
	s_delay_alu instid0(VALU_DEP_1) | instskip(NEXT) | instid1(VALU_DEP_1)
	v_and_b32_e32 v6, 0xff, v5
	v_cmp_ne_u32_e64 s8, 0, v6
.LBB167_303:
	v_mov_b32_e32 v7, s9
	s_delay_alu instid0(VALU_DEP_2)
	s_and_not1_b32 vcc_lo, exec_lo, s8
	s_cbranch_vccnz .LBB167_305
; %bb.304:
	v_mov_b32_e32 v7, v6
.LBB167_305:
	global_store_b8 v[3:4], v7, off
.LBB167_306:
	s_mov_b32 s8, -1
.LBB167_307:
	s_mov_b32 s9, 0
.LBB167_308:
	s_delay_alu instid0(SALU_CYCLE_1)
	s_and_b32 vcc_lo, exec_lo, s9
	s_cbranch_vccz .LBB167_469
; %bb.309:
	v_cmp_gt_i16_e64 s5, s3, 22
	s_delay_alu instid0(VALU_DEP_1)
	s_and_b32 vcc_lo, exec_lo, s5
	s_mov_b32 s5, -1
	s_cbranch_vccz .LBB167_462
; %bb.310:
	v_cmp_lt_i16_e64 s5, s3, 24
	s_delay_alu instid0(VALU_DEP_1)
	s_and_b32 vcc_lo, exec_lo, s5
	s_mov_b32 s5, -1
	s_cbranch_vccnz .LBB167_449
; %bb.311:
	v_cmp_gt_i16_e64 s5, s3, 24
	s_delay_alu instid0(VALU_DEP_1)
	s_and_b32 vcc_lo, exec_lo, s5
	s_mov_b32 s5, -1
	s_cbranch_vccz .LBB167_436
; %bb.312:
	v_cvt_f32_u32_e32 v5, s2
	v_mov_b32_e32 v7, 0x80
	s_delay_alu instid0(VALU_DEP_2)
	v_cmp_lt_u32_e32 vcc_lo, 0x477fffff, v5
	v_readfirstlane_b32 s5, v5
	s_cbranch_vccnz .LBB167_435
; %bb.313:
	s_delay_alu instid0(VALU_DEP_1)
	s_cmp_gt_u32 s5, 0x37ffffff
	s_cbranch_scc0 .LBB167_430
; %bb.314:
	s_bfe_u32 s8, s5, 0x10015
	s_delay_alu instid0(SALU_CYCLE_1) | instskip(SKIP_2) | instid1(SALU_CYCLE_1)
	s_add_i32 s5, s5, s8
	s_mov_b32 s8, 0
	s_add_i32 s5, s5, 0x88fffff
	s_lshr_b32 s9, s5, 21
	s_mov_b32 s5, -1
	s_branch .LBB167_431
.LBB167_315:
	s_mov_b32 s28, s43
.LBB167_316:
	s_and_b32 vcc_lo, exec_lo, s30
	s_cbranch_vccz .LBB167_319
; %bb.317:
	v_cmp_eq_u16_e32 vcc_lo, 44, v24
	s_mov_b32 s28, -1
	s_cbranch_vccz .LBB167_319
; %bb.318:
	v_cndmask_b32_e64 v2, v23, 0xff, s10
	s_mov_b32 s29, -1
	s_mov_b32 s28, 0
	global_store_b8 v[6:7], v2, off
.LBB167_319:
	s_mov_b32 s30, 0
.LBB167_320:
	s_delay_alu instid0(SALU_CYCLE_1)
	s_and_b32 vcc_lo, exec_lo, s30
	s_cbranch_vccz .LBB167_323
; %bb.321:
	v_cmp_eq_u16_e32 vcc_lo, 29, v24
	s_mov_b32 s28, -1
	s_cbranch_vccz .LBB167_323
; %bb.322:
	v_dual_mov_b32 v2, s20 :: v_dual_mov_b32 v3, s21
	s_mov_b32 s29, -1
	s_mov_b32 s28, 0
	s_mov_b32 s30, 0
	global_store_b64 v[6:7], v[2:3], off
	s_branch .LBB167_324
.LBB167_323:
	s_mov_b32 s30, 0
.LBB167_324:
	s_delay_alu instid0(SALU_CYCLE_1)
	s_and_b32 vcc_lo, exec_lo, s30
	s_cbranch_vccz .LBB167_337
; %bb.325:
	v_cmp_gt_i16_e32 vcc_lo, 27, v24
	s_mov_b32 s29, -1
	s_cbranch_vccnz .LBB167_331
; %bb.326:
	v_cmp_lt_i16_e32 vcc_lo, 27, v24
	s_cbranch_vccz .LBB167_328
; %bb.327:
	v_mov_b32_e32 v2, s14
	s_mov_b32 s29, 0
	global_store_b32 v[6:7], v2, off
.LBB167_328:
	s_and_not1_b32 vcc_lo, exec_lo, s29
	s_cbranch_vccnz .LBB167_330
; %bb.329:
	v_mov_b32_e32 v2, s14
	global_store_b16 v[6:7], v2, off
.LBB167_330:
	s_mov_b32 s29, 0
.LBB167_331:
	s_delay_alu instid0(SALU_CYCLE_1)
	s_and_not1_b32 vcc_lo, exec_lo, s29
	s_cbranch_vccnz .LBB167_336
; %bb.332:
	v_mov_b32_e32 v2, 0x80
	s_and_not1_b32 vcc_lo, exec_lo, s9
	s_cbranch_vccnz .LBB167_335
; %bb.333:
	v_mov_b32_e32 v2, 0
	s_or_b32 s29, s8, s38
	s_delay_alu instid0(SALU_CYCLE_1)
	s_and_not1_b32 vcc_lo, exec_lo, s29
	s_cbranch_vccnz .LBB167_335
; %bb.334:
	v_cndmask_b32_e64 v2, v21, v22, s8
.LBB167_335:
	global_store_b8 v[6:7], v2, off
.LBB167_336:
	s_mov_b32 s29, -1
.LBB167_337:
	s_mov_b32 s30, 0
.LBB167_338:
	s_delay_alu instid0(SALU_CYCLE_1)
	s_and_b32 vcc_lo, exec_lo, s30
	s_cbranch_vccz .LBB167_360
; %bb.339:
	v_cmp_lt_i16_e32 vcc_lo, 22, v24
	s_mov_b32 s30, -1
	s_cbranch_vccz .LBB167_352
; %bb.340:
	v_cmp_gt_i16_e32 vcc_lo, 24, v24
	s_mov_b32 s29, -1
	s_cbranch_vccnz .LBB167_349
; %bb.341:
	v_cmp_lt_i16_e32 vcc_lo, 24, v24
	s_cbranch_vccz .LBB167_346
; %bb.342:
	v_mov_b32_e32 v2, 0x80
	s_and_not1_b32 vcc_lo, exec_lo, s6
	s_cbranch_vccnz .LBB167_345
; %bb.343:
	v_mov_b32_e32 v2, 0
	s_or_b32 s29, s7, s37
	s_delay_alu instid0(SALU_CYCLE_1)
	s_and_not1_b32 vcc_lo, exec_lo, s29
	s_cbranch_vccnz .LBB167_345
; %bb.344:
	v_cndmask_b32_e64 v2, v14, v20, s7
.LBB167_345:
	s_mov_b32 s29, 0
	global_store_b8 v[6:7], v2, off
.LBB167_346:
	s_and_b32 vcc_lo, exec_lo, s29
	s_cbranch_vccz .LBB167_348
; %bb.347:
	v_cndmask_b32_e64 v2, v17, v18, s5
	s_delay_alu instid0(VALU_DEP_1)
	v_cndmask_b32_e64 v2, v2, v19, s4
	global_store_b8 v[6:7], v2, off
.LBB167_348:
	s_mov_b32 s29, 0
.LBB167_349:
	s_delay_alu instid0(SALU_CYCLE_1)
	s_and_not1_b32 vcc_lo, exec_lo, s29
	s_cbranch_vccnz .LBB167_351
; %bb.350:
	v_cndmask_b32_e64 v2, v13, v15, s3
	s_delay_alu instid0(VALU_DEP_1)
	v_cndmask_b32_e64 v2, v2, v16, s2
	global_store_b8 v[6:7], v2, off
.LBB167_351:
	s_mov_b32 s30, 0
	s_mov_b32 s29, -1
.LBB167_352:
	s_and_not1_b32 vcc_lo, exec_lo, s30
	s_cbranch_vccnz .LBB167_360
; %bb.353:
	v_cmp_lt_i16_e32 vcc_lo, 14, v24
	s_mov_b32 s30, -1
	s_cbranch_vccz .LBB167_357
; %bb.354:
	v_cmp_eq_u16_e32 vcc_lo, 15, v24
	s_mov_b32 s28, -1
	s_cbranch_vccz .LBB167_356
; %bb.355:
	s_mov_b32 s29, -1
	s_mov_b32 s28, 0
	global_store_b16 v[6:7], v12, off
.LBB167_356:
	s_mov_b32 s30, 0
.LBB167_357:
	s_delay_alu instid0(SALU_CYCLE_1)
	s_and_b32 vcc_lo, exec_lo, s30
	s_cbranch_vccz .LBB167_360
; %bb.358:
	v_cmp_eq_u16_e32 vcc_lo, 11, v24
	s_mov_b32 s28, -1
	s_cbranch_vccz .LBB167_360
; %bb.359:
	s_mov_b32 s29, -1
	s_mov_b32 s28, 0
	global_store_b8 v[6:7], v11, off
.LBB167_360:
.LBB167_361:
	s_and_not1_b32 vcc_lo, exec_lo, s29
	s_cbranch_vccnz .LBB167_275
.LBB167_362:
	v_add_nc_u32_e32 v9, 0x80, v9
	s_mov_b32 s29, -1
.LBB167_363:
	s_and_not1_b32 s30, s43, exec_lo
	s_and_b32 s28, s28, exec_lo
	s_delay_alu instid0(SALU_CYCLE_1)
	s_or_b32 s45, s30, s28
	s_or_not1_b32 s30, s29, exec_lo
.LBB167_364:
	s_or_b32 exec_lo, exec_lo, s46
	s_mov_b32 s28, 0
	s_mov_b32 s29, 0
                                        ; implicit-def: $vgpr24
                                        ; implicit-def: $vgpr6_vgpr7
	s_and_saveexec_b32 s46, s30
	s_cbranch_execz .LBB167_681
; %bb.365:
	s_mov_b32 s48, -1
	s_mov_b32 s30, s45
	s_mov_b32 s47, exec_lo
	v_cmpx_gt_i32_e64 s40, v9
	s_cbranch_execz .LBB167_612
; %bb.366:
	s_and_not1_b32 vcc_lo, exec_lo, s35
	s_cbranch_vccnz .LBB167_371
; %bb.367:
	v_mov_b32_e32 v2, 0
	s_and_not1_b32 vcc_lo, exec_lo, s42
	s_cbranch_vccnz .LBB167_376
; %bb.368:
	s_add_i32 s49, s41, 1
	s_cmp_eq_u32 s33, 2
	s_mov_b32 s48, 0
	s_cbranch_scc1 .LBB167_372
; %bb.369:
	v_dual_mov_b32 v2, 0 :: v_dual_mov_b32 v3, v9
	s_and_b32 s48, s49, 28
	s_mov_b32 s50, 0
	s_mov_b64 s[28:29], s[0:1]
	s_mov_b64 s[30:31], s[26:27]
.LBB167_370:                            ; =>This Inner Loop Header: Depth=1
	s_clause 0x1
	s_load_b256 s[52:59], s[28:29], 0x4
	s_load_b128 s[60:63], s[28:29], 0x24
	s_load_b128 s[64:67], s[30:31], 0x0
	s_add_u32 s28, s28, 48
	s_addc_u32 s29, s29, 0
	s_add_i32 s50, s50, 4
	s_add_u32 s30, s30, 16
	s_addc_u32 s31, s31, 0
	s_cmp_eq_u32 s48, s50
	s_waitcnt lgkmcnt(0)
	v_mul_hi_u32 v5, s53, v3
	s_delay_alu instid0(VALU_DEP_1) | instskip(NEXT) | instid1(VALU_DEP_1)
	v_add_nc_u32_e32 v5, v3, v5
	v_lshrrev_b32_e32 v5, s54, v5
	s_delay_alu instid0(VALU_DEP_1) | instskip(SKIP_1) | instid1(VALU_DEP_2)
	v_mul_hi_u32 v6, s56, v5
	v_mul_lo_u32 v25, v5, s52
	v_add_nc_u32_e32 v6, v5, v6
	s_delay_alu instid0(VALU_DEP_2) | instskip(NEXT) | instid1(VALU_DEP_2)
	v_sub_nc_u32_e32 v25, v3, v25
	v_lshrrev_b32_e32 v6, s57, v6
	s_delay_alu instid0(VALU_DEP_2) | instskip(NEXT) | instid1(VALU_DEP_2)
	v_mul_lo_u32 v25, v25, s64
	v_mul_hi_u32 v7, s59, v6
	v_mul_lo_u32 v26, v6, s55
	s_delay_alu instid0(VALU_DEP_2) | instskip(NEXT) | instid1(VALU_DEP_2)
	v_add_nc_u32_e32 v7, v6, v7
	v_sub_nc_u32_e32 v5, v5, v26
	s_delay_alu instid0(VALU_DEP_2) | instskip(NEXT) | instid1(VALU_DEP_2)
	v_lshrrev_b32_e32 v7, s60, v7
	v_mul_lo_u32 v5, v5, s65
	s_delay_alu instid0(VALU_DEP_2) | instskip(NEXT) | instid1(VALU_DEP_2)
	v_mul_hi_u32 v24, s62, v7
	v_add3_u32 v2, v25, v2, v5
	s_delay_alu instid0(VALU_DEP_2) | instskip(NEXT) | instid1(VALU_DEP_1)
	v_add_nc_u32_e32 v24, v7, v24
	v_lshrrev_b32_e32 v3, s63, v24
	v_mul_lo_u32 v24, v7, s58
	s_delay_alu instid0(VALU_DEP_2) | instskip(NEXT) | instid1(VALU_DEP_2)
	v_mul_lo_u32 v27, v3, s61
	v_sub_nc_u32_e32 v6, v6, v24
	s_delay_alu instid0(VALU_DEP_2) | instskip(NEXT) | instid1(VALU_DEP_2)
	v_sub_nc_u32_e32 v7, v7, v27
	v_mul_lo_u32 v6, v6, s66
	s_delay_alu instid0(VALU_DEP_2) | instskip(NEXT) | instid1(VALU_DEP_1)
	v_mul_lo_u32 v7, v7, s67
	v_add3_u32 v2, v6, v2, v7
	s_cbranch_scc0 .LBB167_370
	s_branch .LBB167_373
.LBB167_371:
	s_mov_b32 s28, -1
                                        ; implicit-def: $vgpr2
	s_branch .LBB167_377
.LBB167_372:
	v_mov_b32_e32 v3, v9
.LBB167_373:
	s_and_b32 s49, s49, 3
	s_delay_alu instid0(SALU_CYCLE_1)
	s_cmp_eq_u32 s49, 0
	s_cbranch_scc1 .LBB167_376
; %bb.374:
	s_lshl_b32 s28, s48, 2
	s_mul_i32 s30, s48, 12
	s_add_u32 s28, s28, s0
	s_addc_u32 s29, s1, 0
	s_add_u32 s28, s28, 0xc4
	s_addc_u32 s29, s29, 0
	;; [unrolled: 2-line block ×3, first 2 shown]
	.p2align	6
.LBB167_375:                            ; =>This Inner Loop Header: Depth=1
	s_clause 0x1
	s_load_b64 s[50:51], s[30:31], 0x4
	s_load_b32 s48, s[30:31], 0xc
	s_add_u32 s30, s30, 12
	s_addc_u32 s31, s31, 0
	s_waitcnt lgkmcnt(0)
	v_mul_hi_u32 v5, s51, v3
	s_load_b32 s51, s[28:29], 0x0
	s_add_u32 s28, s28, 4
	s_addc_u32 s29, s29, 0
	s_add_i32 s49, s49, -1
	s_delay_alu instid0(SALU_CYCLE_1) | instskip(NEXT) | instid1(VALU_DEP_1)
	s_cmp_lg_u32 s49, 0
	v_add_nc_u32_e32 v5, v3, v5
	s_delay_alu instid0(VALU_DEP_1) | instskip(NEXT) | instid1(VALU_DEP_1)
	v_lshrrev_b32_e32 v7, s48, v5
	v_mul_lo_u32 v5, v7, s50
	s_delay_alu instid0(VALU_DEP_1) | instskip(SKIP_1) | instid1(VALU_DEP_1)
	v_sub_nc_u32_e32 v3, v3, v5
	s_waitcnt lgkmcnt(0)
	v_mad_u64_u32 v[5:6], null, v3, s51, v[2:3]
	s_delay_alu instid0(VALU_DEP_1)
	v_dual_mov_b32 v3, v7 :: v_dual_mov_b32 v2, v5
	s_cbranch_scc1 .LBB167_375
.LBB167_376:
	s_mov_b32 s28, 0
.LBB167_377:
	s_delay_alu instid0(SALU_CYCLE_1)
	s_and_not1_b32 vcc_lo, exec_lo, s28
	s_cbranch_vccnz .LBB167_380
; %bb.378:
	v_mul_hi_u32 v2, s17, v9
	s_and_not1_b32 vcc_lo, exec_lo, s39
	s_delay_alu instid0(VALU_DEP_1) | instskip(NEXT) | instid1(VALU_DEP_1)
	v_add_nc_u32_e32 v2, v9, v2
	v_lshrrev_b32_e32 v3, s18, v2
	s_delay_alu instid0(VALU_DEP_1) | instskip(NEXT) | instid1(VALU_DEP_1)
	v_mul_lo_u32 v2, v3, s16
	v_sub_nc_u32_e32 v2, v9, v2
	s_delay_alu instid0(VALU_DEP_1)
	v_mul_lo_u32 v2, v2, s22
	s_cbranch_vccnz .LBB167_380
; %bb.379:
	v_mul_hi_u32 v5, s24, v3
	s_delay_alu instid0(VALU_DEP_1) | instskip(NEXT) | instid1(VALU_DEP_1)
	v_add_nc_u32_e32 v5, v3, v5
	v_lshrrev_b32_e32 v5, s25, v5
	s_delay_alu instid0(VALU_DEP_1) | instskip(NEXT) | instid1(VALU_DEP_1)
	v_mul_lo_u32 v5, v5, s19
	v_sub_nc_u32_e32 v3, v3, v5
	s_delay_alu instid0(VALU_DEP_1) | instskip(NEXT) | instid1(VALU_DEP_1)
	v_mad_u64_u32 v[5:6], null, v3, s23, v[2:3]
	v_mov_b32_e32 v2, v5
.LBB167_380:
	v_and_b32_e64 v24, 0xff, s15
	s_delay_alu instid0(VALU_DEP_2) | instskip(NEXT) | instid1(VALU_DEP_1)
	v_add_co_u32 v6, s28, s12, v2
	v_add_co_ci_u32_e64 v7, null, s13, 0, s28
	s_delay_alu instid0(VALU_DEP_3)
	v_cmp_gt_i16_e32 vcc_lo, 11, v24
	s_mov_b32 s29, 0
	s_mov_b32 s30, -1
	s_mov_b32 s28, s45
	s_cbranch_vccnz .LBB167_387
; %bb.381:
	v_cmp_lt_i16_e32 vcc_lo, 25, v24
	s_cbranch_vccz .LBB167_427
; %bb.382:
	v_cmp_lt_i16_e32 vcc_lo, 28, v24
	s_cbranch_vccz .LBB167_428
	;; [unrolled: 3-line block ×4, first 2 shown]
; %bb.385:
	v_cmp_eq_u16_e32 vcc_lo, 46, v24
	s_mov_b32 s30, 0
	s_mov_b32 s28, -1
	s_cbranch_vccz .LBB167_564
; %bb.386:
	s_mov_b32 s29, -1
	s_mov_b32 s28, 0
	global_store_b32 v[6:7], v12, off
	s_branch .LBB167_564
.LBB167_387:
	s_and_b32 vcc_lo, exec_lo, s30
	s_cbranch_vccz .LBB167_609
; %bb.388:
	v_cmp_gt_i16_e32 vcc_lo, 5, v24
	s_mov_b32 s29, -1
	s_cbranch_vccnz .LBB167_409
; %bb.389:
	v_cmp_gt_i16_e32 vcc_lo, 8, v24
	s_cbranch_vccnz .LBB167_399
; %bb.390:
	v_cmp_gt_i16_e32 vcc_lo, 9, v24
	s_cbranch_vccnz .LBB167_396
; %bb.391:
	v_cmp_lt_i16_e32 vcc_lo, 9, v24
	s_cbranch_vccz .LBB167_393
; %bb.392:
	v_mov_b32_e32 v2, 0
	s_mov_b32 s29, 0
	s_delay_alu instid0(VALU_DEP_1)
	v_mov_b32_e32 v3, v2
	global_store_b128 v[6:7], v[0:3], off
.LBB167_393:
	s_and_not1_b32 vcc_lo, exec_lo, s29
	s_cbranch_vccnz .LBB167_395
; %bb.394:
	v_mov_b32_e32 v5, 0
	global_store_b64 v[6:7], v[4:5], off
.LBB167_395:
	s_mov_b32 s29, 0
.LBB167_396:
	s_delay_alu instid0(SALU_CYCLE_1)
	s_and_not1_b32 vcc_lo, exec_lo, s29
	s_cbranch_vccnz .LBB167_398
; %bb.397:
	global_store_b32 v[6:7], v10, off
.LBB167_398:
	s_mov_b32 s29, 0
.LBB167_399:
	s_delay_alu instid0(SALU_CYCLE_1)
	s_and_not1_b32 vcc_lo, exec_lo, s29
	s_cbranch_vccnz .LBB167_408
; %bb.400:
	v_cmp_gt_i16_e32 vcc_lo, 6, v24
	s_mov_b32 s29, -1
	s_cbranch_vccnz .LBB167_406
; %bb.401:
	v_cmp_lt_i16_e32 vcc_lo, 6, v24
	s_cbranch_vccz .LBB167_403
; %bb.402:
	s_mov_b32 s29, 0
	global_store_b64 v[6:7], v[0:1], off
.LBB167_403:
	s_and_not1_b32 vcc_lo, exec_lo, s29
	s_cbranch_vccnz .LBB167_405
; %bb.404:
	global_store_b32 v[6:7], v4, off
.LBB167_405:
	s_mov_b32 s29, 0
.LBB167_406:
	s_delay_alu instid0(SALU_CYCLE_1)
	s_and_not1_b32 vcc_lo, exec_lo, s29
	s_cbranch_vccnz .LBB167_408
; %bb.407:
	global_store_b16 v[6:7], v8, off
.LBB167_408:
	s_mov_b32 s29, 0
.LBB167_409:
	s_delay_alu instid0(SALU_CYCLE_1)
	s_and_not1_b32 vcc_lo, exec_lo, s29
	s_cbranch_vccnz .LBB167_425
; %bb.410:
	v_cmp_gt_i16_e32 vcc_lo, 2, v24
	s_mov_b32 s29, -1
	s_cbranch_vccnz .LBB167_420
; %bb.411:
	v_cmp_gt_i16_e32 vcc_lo, 3, v24
	s_cbranch_vccnz .LBB167_417
; %bb.412:
	v_cmp_lt_i16_e32 vcc_lo, 3, v24
	s_cbranch_vccz .LBB167_414
; %bb.413:
	v_dual_mov_b32 v2, s20 :: v_dual_mov_b32 v3, s21
	s_mov_b32 s29, 0
	global_store_b64 v[6:7], v[2:3], off
.LBB167_414:
	s_and_not1_b32 vcc_lo, exec_lo, s29
	s_cbranch_vccnz .LBB167_416
; %bb.415:
	v_mov_b32_e32 v2, s14
	global_store_b32 v[6:7], v2, off
.LBB167_416:
	s_mov_b32 s29, 0
.LBB167_417:
	s_delay_alu instid0(SALU_CYCLE_1)
	s_and_not1_b32 vcc_lo, exec_lo, s29
	s_cbranch_vccnz .LBB167_419
; %bb.418:
	v_mov_b32_e32 v2, s14
	global_store_b16 v[6:7], v2, off
.LBB167_419:
	s_mov_b32 s29, 0
.LBB167_420:
	s_delay_alu instid0(SALU_CYCLE_1)
	s_and_not1_b32 vcc_lo, exec_lo, s29
	s_cbranch_vccnz .LBB167_425
; %bb.421:
	v_cmp_lt_i16_e32 vcc_lo, 0, v24
	s_mov_b32 s29, -1
	s_cbranch_vccz .LBB167_423
; %bb.422:
	v_mov_b32_e32 v2, s14
	s_mov_b32 s29, 0
	global_store_b8 v[6:7], v2, off
.LBB167_423:
	s_and_not1_b32 vcc_lo, exec_lo, s29
	s_cbranch_vccnz .LBB167_425
; %bb.424:
	v_mov_b32_e32 v2, s14
	global_store_b8 v[6:7], v2, off
.LBB167_425:
	s_branch .LBB167_610
.LBB167_426:
	s_mov_b32 s29, 0
                                        ; implicit-def: $vgpr9
	s_branch .LBB167_611
.LBB167_427:
	s_mov_b32 s28, s45
	s_branch .LBB167_586
.LBB167_428:
	s_mov_b32 s28, s45
	s_branch .LBB167_572
.LBB167_429:
	s_mov_b32 s28, s45
	s_branch .LBB167_568
.LBB167_430:
	s_mov_b32 s8, -1
	s_mov_b32 s5, 0
                                        ; implicit-def: $sgpr9
.LBB167_431:
	v_mov_b32_e32 v6, s9
	s_and_not1_b32 vcc_lo, exec_lo, s8
                                        ; implicit-def: $sgpr8
	s_cbranch_vccnz .LBB167_433
; %bb.432:
	v_add_f32_e32 v5, 0x42800000, v5
	s_mov_b32 s8, 0
	s_delay_alu instid0(VALU_DEP_1) | instskip(NEXT) | instid1(VALU_DEP_1)
	v_and_b32_e32 v6, 0xff, v5
	v_cmp_ne_u32_e64 s5, 0, v6
.LBB167_433:
	v_mov_b32_e32 v7, s8
	s_delay_alu instid0(VALU_DEP_2)
	s_and_not1_b32 vcc_lo, exec_lo, s5
	s_cbranch_vccnz .LBB167_435
; %bb.434:
	v_mov_b32_e32 v7, v6
.LBB167_435:
	s_mov_b32 s5, 0
	global_store_b8 v[3:4], v7, off
.LBB167_436:
	s_and_b32 vcc_lo, exec_lo, s5
	s_cbranch_vccz .LBB167_448
; %bb.437:
	v_cvt_f32_u32_e32 v5, s2
	s_delay_alu instid0(VALU_DEP_1)
	v_cmp_gt_u32_e32 vcc_lo, 0x43f00000, v5
	v_readfirstlane_b32 s5, v5
	s_cbranch_vccz .LBB167_440
; %bb.438:
	s_delay_alu instid0(VALU_DEP_1)
	s_cmp_gt_u32 s5, 0x3c7fffff
	s_cbranch_scc0 .LBB167_441
; %bb.439:
	s_bfe_u32 s8, s5, 0x10014
	s_delay_alu instid0(SALU_CYCLE_1) | instskip(NEXT) | instid1(SALU_CYCLE_1)
	s_add_i32 s8, s5, s8
	s_add_i32 s8, s8, 0x407ffff
	s_delay_alu instid0(SALU_CYCLE_1)
	s_and_b32 s9, s8, 0xff00000
	s_lshr_b32 s8, s8, 20
	s_cmp_lg_u32 s9, 0x7f00000
	s_cselect_b32 s9, s8, 0x7e
	s_mov_b32 s8, 0
	s_branch .LBB167_442
.LBB167_440:
	s_mov_b32 s8, -1
                                        ; implicit-def: $vgpr6
	s_branch .LBB167_445
.LBB167_441:
	s_mov_b32 s8, -1
                                        ; implicit-def: $sgpr9
.LBB167_442:
	v_mov_b32_e32 v6, s9
	s_and_not1_b32 vcc_lo, exec_lo, s8
	s_cbranch_vccnz .LBB167_444
; %bb.443:
	v_add_f32_e32 v6, 0x46800000, v5
.LBB167_444:
	s_mov_b32 s8, 0
.LBB167_445:
	s_delay_alu instid0(SALU_CYCLE_1)
	s_and_not1_b32 vcc_lo, exec_lo, s8
	s_cbranch_vccnz .LBB167_447
; %bb.446:
	s_cmp_gt_u32 s5, 0x7f800000
	s_movk_i32 s5, 0x7f
	s_delay_alu instid0(SALU_CYCLE_1) | instskip(NEXT) | instid1(SALU_CYCLE_1)
	s_cselect_b32 s5, s5, 0x7e
	v_mov_b32_e32 v6, s5
.LBB167_447:
	global_store_b8 v[3:4], v6, off
.LBB167_448:
	s_mov_b32 s5, 0
.LBB167_449:
	s_delay_alu instid0(SALU_CYCLE_1)
	s_and_not1_b32 vcc_lo, exec_lo, s5
	s_cbranch_vccnz .LBB167_461
; %bb.450:
	v_cvt_f32_u32_e32 v5, s2
	s_delay_alu instid0(VALU_DEP_1)
	v_cmp_gt_u32_e32 vcc_lo, 0x47800000, v5
	v_readfirstlane_b32 s5, v5
	s_cbranch_vccz .LBB167_453
; %bb.451:
	s_delay_alu instid0(VALU_DEP_1)
	s_cmp_gt_u32 s5, 0x387fffff
	s_cbranch_scc0 .LBB167_454
; %bb.452:
	s_bfe_u32 s8, s5, 0x10015
	s_delay_alu instid0(SALU_CYCLE_1) | instskip(NEXT) | instid1(SALU_CYCLE_1)
	s_add_i32 s8, s5, s8
	s_add_i32 s8, s8, 0x80fffff
	s_delay_alu instid0(SALU_CYCLE_1)
	s_lshr_b32 s9, s8, 21
	s_mov_b32 s8, 0
	s_branch .LBB167_455
.LBB167_453:
	s_mov_b32 s8, -1
                                        ; implicit-def: $vgpr6
	s_branch .LBB167_458
.LBB167_454:
	s_mov_b32 s8, -1
                                        ; implicit-def: $sgpr9
.LBB167_455:
	v_mov_b32_e32 v6, s9
	s_and_not1_b32 vcc_lo, exec_lo, s8
	s_cbranch_vccnz .LBB167_457
; %bb.456:
	v_add_f32_e32 v6, 0x43000000, v5
.LBB167_457:
	s_mov_b32 s8, 0
.LBB167_458:
	s_delay_alu instid0(SALU_CYCLE_1)
	s_and_not1_b32 vcc_lo, exec_lo, s8
	s_cbranch_vccnz .LBB167_460
; %bb.459:
	s_cmp_gt_u32 s5, 0x7f800000
	s_movk_i32 s5, 0x7f
	s_delay_alu instid0(SALU_CYCLE_1) | instskip(NEXT) | instid1(SALU_CYCLE_1)
	s_cselect_b32 s5, s5, 0x7c
	v_mov_b32_e32 v6, s5
.LBB167_460:
	global_store_b8 v[3:4], v6, off
.LBB167_461:
	s_mov_b32 s5, 0
	s_mov_b32 s8, -1
.LBB167_462:
	s_and_not1_b32 vcc_lo, exec_lo, s5
	s_mov_b32 s5, 0
	s_cbranch_vccnz .LBB167_469
; %bb.463:
	v_cmp_gt_i16_e64 s5, s3, 14
	s_delay_alu instid0(VALU_DEP_1)
	s_and_b32 vcc_lo, exec_lo, s5
	s_mov_b32 s5, -1
	s_cbranch_vccz .LBB167_467
; %bb.464:
	v_cmp_eq_u16_e64 s4, s3, 15
	s_delay_alu instid0(VALU_DEP_1)
	s_and_b32 vcc_lo, exec_lo, s4
	s_mov_b32 s4, -1
	s_cbranch_vccz .LBB167_466
; %bb.465:
	v_cvt_f32_u32_e32 v5, s2
	s_mov_b32 s4, 0
	s_mov_b32 s8, -1
	s_delay_alu instid0(VALU_DEP_1) | instskip(NEXT) | instid1(VALU_DEP_1)
	v_bfe_u32 v6, v5, 16, 1
	v_add_nc_u32_e32 v5, v5, v6
	s_delay_alu instid0(VALU_DEP_1)
	v_add_nc_u32_e32 v5, 0x7fff, v5
	global_store_d16_hi_b16 v[3:4], v5, off
.LBB167_466:
	s_mov_b32 s5, 0
.LBB167_467:
	s_delay_alu instid0(SALU_CYCLE_1)
	s_and_b32 vcc_lo, exec_lo, s5
	s_mov_b32 s5, 0
	s_cbranch_vccz .LBB167_469
; %bb.468:
	v_cmp_ne_u16_e64 s4, s3, 11
	s_mov_b32 s5, -1
.LBB167_469:
	s_delay_alu instid0(VALU_DEP_1)
	s_and_b32 vcc_lo, exec_lo, s4
	s_mov_b32 s4, s6
	s_cbranch_vccnz .LBB167_522
; %bb.470:
	s_and_not1_b32 vcc_lo, exec_lo, s5
	s_cbranch_vccnz .LBB167_472
.LBB167_471:
	s_cmp_lg_u32 s2, 0
	s_mov_b32 s8, -1
	s_cselect_b32 s5, -1, 0
	s_delay_alu instid0(SALU_CYCLE_1)
	v_cndmask_b32_e64 v5, 0, 1, s5
	global_store_b8 v[3:4], v5, off
.LBB167_472:
	s_mov_b32 s5, 0
.LBB167_473:
	s_delay_alu instid0(SALU_CYCLE_1)
	s_and_b32 vcc_lo, exec_lo, s5
	s_cbranch_vccz .LBB167_512
; %bb.474:
	v_cmp_lt_i16_e64 s5, s3, 5
	s_delay_alu instid0(VALU_DEP_1)
	s_and_b32 vcc_lo, exec_lo, s5
	s_mov_b32 s5, -1
	s_cbranch_vccnz .LBB167_495
; %bb.475:
	v_cmp_lt_i16_e64 s5, s3, 8
	s_delay_alu instid0(VALU_DEP_1)
	s_and_b32 vcc_lo, exec_lo, s5
	s_mov_b32 s5, -1
	s_cbranch_vccnz .LBB167_485
; %bb.476:
	v_cmp_lt_i16_e64 s5, s3, 9
	s_delay_alu instid0(VALU_DEP_1)
	s_and_b32 vcc_lo, exec_lo, s5
	s_mov_b32 s5, -1
	s_cbranch_vccnz .LBB167_482
; %bb.477:
	v_cmp_gt_i16_e64 s5, s3, 9
	s_delay_alu instid0(VALU_DEP_1)
	s_and_b32 vcc_lo, exec_lo, s5
	s_mov_b32 s5, -1
	s_cbranch_vccz .LBB167_479
; %bb.478:
	v_cvt_f64_u32_e32 v[5:6], s2
	v_mov_b32_e32 v7, 0
	s_mov_b32 s5, 0
	s_delay_alu instid0(VALU_DEP_1)
	v_mov_b32_e32 v8, v7
	global_store_b128 v[3:4], v[5:8], off
.LBB167_479:
	s_and_not1_b32 vcc_lo, exec_lo, s5
	s_cbranch_vccnz .LBB167_481
; %bb.480:
	v_cvt_f32_u32_e32 v5, s2
	v_mov_b32_e32 v6, 0
	global_store_b64 v[3:4], v[5:6], off
.LBB167_481:
	s_mov_b32 s5, 0
.LBB167_482:
	s_delay_alu instid0(SALU_CYCLE_1)
	s_and_not1_b32 vcc_lo, exec_lo, s5
	s_cbranch_vccnz .LBB167_484
; %bb.483:
	v_cvt_f32_u32_e32 v5, s2
	s_delay_alu instid0(VALU_DEP_1) | instskip(NEXT) | instid1(VALU_DEP_1)
	v_cvt_f16_f32_e32 v5, v5
	v_and_b32_e32 v5, 0xffff, v5
	global_store_b32 v[3:4], v5, off
.LBB167_484:
	s_mov_b32 s5, 0
.LBB167_485:
	s_delay_alu instid0(SALU_CYCLE_1)
	s_and_not1_b32 vcc_lo, exec_lo, s5
	s_cbranch_vccnz .LBB167_494
; %bb.486:
	v_cmp_lt_i16_e64 s5, s3, 6
	s_delay_alu instid0(VALU_DEP_1)
	s_and_b32 vcc_lo, exec_lo, s5
	s_mov_b32 s5, -1
	s_cbranch_vccnz .LBB167_492
; %bb.487:
	v_cmp_gt_i16_e64 s5, s3, 6
	s_delay_alu instid0(VALU_DEP_1)
	s_and_b32 vcc_lo, exec_lo, s5
	s_mov_b32 s5, -1
	s_cbranch_vccz .LBB167_489
; %bb.488:
	v_cvt_f64_u32_e32 v[5:6], s2
	s_mov_b32 s5, 0
	global_store_b64 v[3:4], v[5:6], off
.LBB167_489:
	s_and_not1_b32 vcc_lo, exec_lo, s5
	s_cbranch_vccnz .LBB167_491
; %bb.490:
	v_cvt_f32_u32_e32 v5, s2
	global_store_b32 v[3:4], v5, off
.LBB167_491:
	s_mov_b32 s5, 0
.LBB167_492:
	s_delay_alu instid0(SALU_CYCLE_1)
	s_and_not1_b32 vcc_lo, exec_lo, s5
	s_cbranch_vccnz .LBB167_494
; %bb.493:
	v_cvt_f32_u32_e32 v5, s2
	s_delay_alu instid0(VALU_DEP_1)
	v_cvt_f16_f32_e32 v5, v5
	global_store_b16 v[3:4], v5, off
.LBB167_494:
	s_mov_b32 s5, 0
.LBB167_495:
	s_delay_alu instid0(SALU_CYCLE_1)
	s_and_not1_b32 vcc_lo, exec_lo, s5
	s_cbranch_vccnz .LBB167_511
; %bb.496:
	v_cmp_lt_i16_e64 s5, s3, 2
	s_delay_alu instid0(VALU_DEP_1)
	s_and_b32 vcc_lo, exec_lo, s5
	s_mov_b32 s5, -1
	s_cbranch_vccnz .LBB167_506
; %bb.497:
	v_cmp_lt_i16_e64 s5, s3, 3
	s_delay_alu instid0(VALU_DEP_1)
	s_and_b32 vcc_lo, exec_lo, s5
	s_mov_b32 s5, -1
	s_cbranch_vccnz .LBB167_503
; %bb.498:
	v_cmp_gt_i16_e64 s5, s3, 3
	s_delay_alu instid0(VALU_DEP_1)
	s_and_b32 vcc_lo, exec_lo, s5
	s_mov_b32 s5, -1
	s_cbranch_vccz .LBB167_500
; %bb.499:
	v_dual_mov_b32 v5, s2 :: v_dual_mov_b32 v6, 0
	s_mov_b32 s5, 0
	global_store_b64 v[3:4], v[5:6], off
.LBB167_500:
	s_and_not1_b32 vcc_lo, exec_lo, s5
	s_cbranch_vccnz .LBB167_502
; %bb.501:
	v_mov_b32_e32 v5, s2
	global_store_b32 v[3:4], v5, off
.LBB167_502:
	s_mov_b32 s5, 0
.LBB167_503:
	s_delay_alu instid0(SALU_CYCLE_1)
	s_and_not1_b32 vcc_lo, exec_lo, s5
	s_cbranch_vccnz .LBB167_505
; %bb.504:
	v_mov_b32_e32 v5, s2
	global_store_b16 v[3:4], v5, off
.LBB167_505:
	s_mov_b32 s5, 0
.LBB167_506:
	s_delay_alu instid0(SALU_CYCLE_1)
	s_and_not1_b32 vcc_lo, exec_lo, s5
	s_cbranch_vccnz .LBB167_511
; %bb.507:
	v_cmp_gt_i16_e64 s5, s3, 0
	s_delay_alu instid0(VALU_DEP_1)
	s_and_b32 vcc_lo, exec_lo, s5
	s_mov_b32 s5, -1
	s_cbranch_vccz .LBB167_509
; %bb.508:
	v_mov_b32_e32 v5, s2
	s_mov_b32 s5, 0
	global_store_b8 v[3:4], v5, off
.LBB167_509:
	s_and_not1_b32 vcc_lo, exec_lo, s5
	s_cbranch_vccnz .LBB167_511
; %bb.510:
	v_mov_b32_e32 v5, s2
	global_store_b8 v[3:4], v5, off
.LBB167_511:
	s_mov_b32 s8, -1
.LBB167_512:
	s_delay_alu instid0(SALU_CYCLE_1)
	s_and_not1_b32 vcc_lo, exec_lo, s8
	s_cbranch_vccnz .LBB167_910
; %bb.513:
	v_cmp_lt_i16_e64 s5, s3, 11
	v_add_co_u32 v2, s8, s0, v2
	s_delay_alu instid0(VALU_DEP_1) | instskip(SKIP_1) | instid1(VALU_DEP_3)
	v_add_co_ci_u32_e64 v3, null, s1, 0, s8
	s_mov_b32 s9, 0
	s_and_b32 vcc_lo, exec_lo, s5
	s_mov_b32 s5, -1
	s_cbranch_vccnz .LBB167_729
; %bb.514:
	v_cmp_gt_i16_e64 s5, s3, 25
	s_mov_b32 s10, -1
	s_mov_b32 s8, 0
	s_delay_alu instid0(VALU_DEP_1)
	s_and_b32 vcc_lo, exec_lo, s5
	s_mov_b32 s5, 0
	s_cbranch_vccz .LBB167_556
; %bb.515:
	v_cmp_gt_i16_e64 s5, s3, 28
	s_delay_alu instid0(VALU_DEP_1)
	s_and_b32 vcc_lo, exec_lo, s5
	s_cbranch_vccz .LBB167_520
; %bb.516:
	v_cmp_gt_i16_e64 s5, s3, 43
	s_delay_alu instid0(VALU_DEP_1)
	s_and_b32 vcc_lo, exec_lo, s5
	;; [unrolled: 5-line block ×3, first 2 shown]
	s_cbranch_vccz .LBB167_524
; %bb.518:
	v_cmp_eq_u16_e64 s9, s3, 46
	s_mov_b32 s5, -1
	s_mov_b32 s10, 0
	s_delay_alu instid0(VALU_DEP_1)
	s_and_b32 vcc_lo, exec_lo, s9
	s_mov_b32 s9, 0
	s_cbranch_vccz .LBB167_525
; %bb.519:
	v_cvt_f32_u32_e32 v4, s2
	s_mov_b32 s5, 0
	s_mov_b32 s9, -1
	s_delay_alu instid0(VALU_DEP_1) | instskip(NEXT) | instid1(VALU_DEP_1)
	v_bfe_u32 v5, v4, 16, 1
	v_add_nc_u32_e32 v4, v4, v5
	s_delay_alu instid0(VALU_DEP_1) | instskip(NEXT) | instid1(VALU_DEP_1)
	v_add_nc_u32_e32 v4, 0x7fff, v4
	v_lshrrev_b32_e32 v4, 16, v4
	global_store_b32 v[2:3], v4, off
	s_branch .LBB167_525
.LBB167_520:
	s_mov_b32 s5, 0
	s_branch .LBB167_535
.LBB167_521:
	s_mov_b32 s5, 0
	s_branch .LBB167_531
.LBB167_522:
	s_cbranch_execnz .LBB167_546
; %bb.523:
	s_or_b32 s4, s6, exec_lo
	s_cbranch_execz .LBB167_471
	s_branch .LBB167_472
.LBB167_524:
	s_mov_b32 s5, 0
.LBB167_525:
	s_and_b32 vcc_lo, exec_lo, s10
	s_cbranch_vccz .LBB167_530
; %bb.526:
	v_cmp_eq_u16_e64 s5, s3, 44
	s_delay_alu instid0(VALU_DEP_1)
	s_and_b32 vcc_lo, exec_lo, s5
	s_mov_b32 s5, -1
	s_cbranch_vccz .LBB167_530
; %bb.527:
	v_cvt_f32_u32_e32 v4, s2
	s_delay_alu instid0(VALU_DEP_1) | instskip(SKIP_1) | instid1(VALU_DEP_2)
	v_readfirstlane_b32 s9, v4
	v_mov_b32_e32 v4, 0xff
	s_lshr_b32 s5, s9, 23
	s_delay_alu instid0(SALU_CYCLE_1)
	s_cmpk_eq_i32 s5, 0xff
	s_cbranch_scc1 .LBB167_529
; %bb.528:
	s_bitcmp1_b32 s9, 22
	s_cselect_b32 s10, -1, 0
	s_and_b32 s9, s9, 0x3fffff
	s_delay_alu instid0(SALU_CYCLE_1) | instskip(NEXT) | instid1(SALU_CYCLE_1)
	s_or_b32 s9, s5, s9
	s_cmp_lg_u32 s9, 0
	s_cselect_b32 s9, -1, 0
	s_delay_alu instid0(SALU_CYCLE_1) | instskip(NEXT) | instid1(SALU_CYCLE_1)
	s_and_b32 s9, s10, s9
	v_cndmask_b32_e64 v4, 0, 1, s9
	s_delay_alu instid0(VALU_DEP_1)
	v_add_nc_u32_e32 v4, s5, v4
.LBB167_529:
	s_mov_b32 s5, 0
	s_mov_b32 s9, -1
	global_store_b8 v[2:3], v4, off
.LBB167_530:
	s_mov_b32 s10, 0
.LBB167_531:
	s_delay_alu instid0(SALU_CYCLE_1)
	s_and_b32 vcc_lo, exec_lo, s10
	s_cbranch_vccz .LBB167_534
; %bb.532:
	v_cmp_eq_u16_e64 s5, s3, 29
	s_delay_alu instid0(VALU_DEP_1)
	s_and_b32 vcc_lo, exec_lo, s5
	s_mov_b32 s5, -1
	s_cbranch_vccz .LBB167_534
; %bb.533:
	v_dual_mov_b32 v4, s2 :: v_dual_mov_b32 v5, 0
	s_mov_b32 s5, 0
	s_mov_b32 s9, -1
	s_mov_b32 s10, 0
	global_store_b64 v[2:3], v[4:5], off
	s_branch .LBB167_535
.LBB167_534:
	s_mov_b32 s10, 0
.LBB167_535:
	s_delay_alu instid0(SALU_CYCLE_1)
	s_and_b32 vcc_lo, exec_lo, s10
	s_cbranch_vccz .LBB167_555
; %bb.536:
	v_cmp_lt_i16_e64 s9, s3, 27
	s_delay_alu instid0(VALU_DEP_1)
	s_and_b32 vcc_lo, exec_lo, s9
	s_mov_b32 s9, -1
	s_cbranch_vccnz .LBB167_542
; %bb.537:
	v_cmp_gt_i16_e64 s9, s3, 27
	s_delay_alu instid0(VALU_DEP_1)
	s_and_b32 vcc_lo, exec_lo, s9
	s_mov_b32 s9, -1
	s_cbranch_vccz .LBB167_539
; %bb.538:
	v_mov_b32_e32 v4, s2
	s_mov_b32 s9, 0
	global_store_b32 v[2:3], v4, off
.LBB167_539:
	s_and_not1_b32 vcc_lo, exec_lo, s9
	s_cbranch_vccnz .LBB167_541
; %bb.540:
	v_mov_b32_e32 v4, s2
	global_store_b16 v[2:3], v4, off
.LBB167_541:
	s_mov_b32 s9, 0
.LBB167_542:
	s_delay_alu instid0(SALU_CYCLE_1)
	s_and_not1_b32 vcc_lo, exec_lo, s9
	s_cbranch_vccnz .LBB167_554
; %bb.543:
	v_cvt_f32_u32_e32 v4, s2
	v_mov_b32_e32 v6, 0x80
	s_delay_alu instid0(VALU_DEP_2)
	v_cmp_lt_u32_e32 vcc_lo, 0x437fffff, v4
	v_readfirstlane_b32 s9, v4
	s_cbranch_vccnz .LBB167_553
; %bb.544:
	s_delay_alu instid0(VALU_DEP_1)
	s_cmp_gt_u32 s9, 0x3bffffff
	s_cbranch_scc0 .LBB167_548
; %bb.545:
	s_bfe_u32 s10, s9, 0x10014
	s_delay_alu instid0(SALU_CYCLE_1) | instskip(SKIP_2) | instid1(SALU_CYCLE_1)
	s_add_i32 s9, s9, s10
	s_mov_b32 s10, 0
	s_add_i32 s9, s9, 0x487ffff
	s_lshr_b32 s11, s9, 20
	s_mov_b32 s9, -1
	s_branch .LBB167_549
.LBB167_546:
	s_trap 2
	s_sendmsg_rtn_b32 s0, sendmsg(MSG_RTN_GET_DOORBELL)
	s_mov_b32 ttmp2, m0
	s_waitcnt lgkmcnt(0)
	s_and_b32 s0, s0, 0x3ff
	s_delay_alu instid0(SALU_CYCLE_1) | instskip(NEXT) | instid1(SALU_CYCLE_1)
	s_bitset1_b32 s0, 10
	s_mov_b32 m0, s0
	s_sendmsg sendmsg(MSG_INTERRUPT)
	s_mov_b32 m0, ttmp2
.LBB167_547:                            ; =>This Inner Loop Header: Depth=1
	s_sethalt 5
	s_branch .LBB167_547
.LBB167_548:
	s_mov_b32 s10, -1
	s_mov_b32 s9, 0
                                        ; implicit-def: $sgpr11
.LBB167_549:
	v_mov_b32_e32 v5, s11
	s_and_not1_b32 vcc_lo, exec_lo, s10
                                        ; implicit-def: $sgpr10
	s_cbranch_vccnz .LBB167_551
; %bb.550:
	v_add_f32_e32 v4, 0x46000000, v4
	s_mov_b32 s10, 0
	s_delay_alu instid0(VALU_DEP_1) | instskip(NEXT) | instid1(VALU_DEP_1)
	v_and_b32_e32 v5, 0xff, v4
	v_cmp_ne_u32_e64 s9, 0, v5
.LBB167_551:
	v_mov_b32_e32 v6, s10
	s_delay_alu instid0(VALU_DEP_2)
	s_and_not1_b32 vcc_lo, exec_lo, s9
	s_cbranch_vccnz .LBB167_553
; %bb.552:
	v_mov_b32_e32 v6, v5
.LBB167_553:
	global_store_b8 v[2:3], v6, off
.LBB167_554:
	s_mov_b32 s9, -1
.LBB167_555:
	s_mov_b32 s10, 0
.LBB167_556:
	s_delay_alu instid0(SALU_CYCLE_1)
	s_and_b32 vcc_lo, exec_lo, s10
	s_cbranch_vccz .LBB167_725
; %bb.557:
	v_cmp_gt_i16_e64 s8, s3, 22
	s_delay_alu instid0(VALU_DEP_1)
	s_and_b32 vcc_lo, exec_lo, s8
	s_mov_b32 s8, -1
	s_cbranch_vccz .LBB167_718
; %bb.558:
	v_cmp_lt_i16_e64 s8, s3, 24
	s_delay_alu instid0(VALU_DEP_1)
	s_and_b32 vcc_lo, exec_lo, s8
	s_mov_b32 s8, -1
	s_cbranch_vccnz .LBB167_705
; %bb.559:
	v_cmp_gt_i16_e64 s8, s3, 24
	s_delay_alu instid0(VALU_DEP_1)
	s_and_b32 vcc_lo, exec_lo, s8
	s_mov_b32 s8, -1
	s_cbranch_vccz .LBB167_692
; %bb.560:
	v_cvt_f32_u32_e32 v4, s2
	v_mov_b32_e32 v6, 0x80
	s_delay_alu instid0(VALU_DEP_2)
	v_cmp_lt_u32_e32 vcc_lo, 0x477fffff, v4
	v_readfirstlane_b32 s8, v4
	s_cbranch_vccnz .LBB167_691
; %bb.561:
	s_delay_alu instid0(VALU_DEP_1)
	s_cmp_gt_u32 s8, 0x37ffffff
	s_cbranch_scc0 .LBB167_686
; %bb.562:
	s_bfe_u32 s9, s8, 0x10015
	s_delay_alu instid0(SALU_CYCLE_1) | instskip(SKIP_2) | instid1(SALU_CYCLE_1)
	s_add_i32 s8, s8, s9
	s_mov_b32 s9, 0
	s_add_i32 s8, s8, 0x88fffff
	s_lshr_b32 s10, s8, 21
	s_mov_b32 s8, -1
	s_branch .LBB167_687
.LBB167_563:
	s_mov_b32 s28, s45
.LBB167_564:
	s_and_b32 vcc_lo, exec_lo, s30
	s_cbranch_vccz .LBB167_567
; %bb.565:
	v_cmp_eq_u16_e32 vcc_lo, 44, v24
	s_mov_b32 s28, -1
	s_cbranch_vccz .LBB167_567
; %bb.566:
	v_cndmask_b32_e64 v2, v23, 0xff, s10
	s_mov_b32 s29, -1
	s_mov_b32 s28, 0
	global_store_b8 v[6:7], v2, off
.LBB167_567:
	s_mov_b32 s30, 0
.LBB167_568:
	s_delay_alu instid0(SALU_CYCLE_1)
	s_and_b32 vcc_lo, exec_lo, s30
	s_cbranch_vccz .LBB167_571
; %bb.569:
	v_cmp_eq_u16_e32 vcc_lo, 29, v24
	s_mov_b32 s28, -1
	s_cbranch_vccz .LBB167_571
; %bb.570:
	v_dual_mov_b32 v2, s20 :: v_dual_mov_b32 v3, s21
	s_mov_b32 s29, -1
	s_mov_b32 s28, 0
	s_mov_b32 s30, 0
	global_store_b64 v[6:7], v[2:3], off
	s_branch .LBB167_572
.LBB167_571:
	s_mov_b32 s30, 0
.LBB167_572:
	s_delay_alu instid0(SALU_CYCLE_1)
	s_and_b32 vcc_lo, exec_lo, s30
	s_cbranch_vccz .LBB167_585
; %bb.573:
	v_cmp_gt_i16_e32 vcc_lo, 27, v24
	s_mov_b32 s29, -1
	s_cbranch_vccnz .LBB167_579
; %bb.574:
	v_cmp_lt_i16_e32 vcc_lo, 27, v24
	s_cbranch_vccz .LBB167_576
; %bb.575:
	v_mov_b32_e32 v2, s14
	s_mov_b32 s29, 0
	global_store_b32 v[6:7], v2, off
.LBB167_576:
	s_and_not1_b32 vcc_lo, exec_lo, s29
	s_cbranch_vccnz .LBB167_578
; %bb.577:
	v_mov_b32_e32 v2, s14
	global_store_b16 v[6:7], v2, off
.LBB167_578:
	s_mov_b32 s29, 0
.LBB167_579:
	s_delay_alu instid0(SALU_CYCLE_1)
	s_and_not1_b32 vcc_lo, exec_lo, s29
	s_cbranch_vccnz .LBB167_584
; %bb.580:
	v_mov_b32_e32 v2, 0x80
	s_and_not1_b32 vcc_lo, exec_lo, s9
	s_cbranch_vccnz .LBB167_583
; %bb.581:
	v_mov_b32_e32 v2, 0
	s_or_b32 s29, s8, s38
	s_delay_alu instid0(SALU_CYCLE_1)
	s_and_not1_b32 vcc_lo, exec_lo, s29
	s_cbranch_vccnz .LBB167_583
; %bb.582:
	v_cndmask_b32_e64 v2, v21, v22, s8
.LBB167_583:
	global_store_b8 v[6:7], v2, off
.LBB167_584:
	s_mov_b32 s29, -1
.LBB167_585:
	s_mov_b32 s30, 0
.LBB167_586:
	s_delay_alu instid0(SALU_CYCLE_1)
	s_and_b32 vcc_lo, exec_lo, s30
	s_cbranch_vccz .LBB167_608
; %bb.587:
	v_cmp_lt_i16_e32 vcc_lo, 22, v24
	s_mov_b32 s30, -1
	s_cbranch_vccz .LBB167_600
; %bb.588:
	v_cmp_gt_i16_e32 vcc_lo, 24, v24
	s_mov_b32 s29, -1
	s_cbranch_vccnz .LBB167_597
; %bb.589:
	v_cmp_lt_i16_e32 vcc_lo, 24, v24
	s_cbranch_vccz .LBB167_594
; %bb.590:
	v_mov_b32_e32 v2, 0x80
	s_and_not1_b32 vcc_lo, exec_lo, s6
	s_cbranch_vccnz .LBB167_593
; %bb.591:
	v_mov_b32_e32 v2, 0
	s_or_b32 s29, s7, s37
	s_delay_alu instid0(SALU_CYCLE_1)
	s_and_not1_b32 vcc_lo, exec_lo, s29
	s_cbranch_vccnz .LBB167_593
; %bb.592:
	v_cndmask_b32_e64 v2, v14, v20, s7
.LBB167_593:
	s_mov_b32 s29, 0
	global_store_b8 v[6:7], v2, off
.LBB167_594:
	s_and_b32 vcc_lo, exec_lo, s29
	s_cbranch_vccz .LBB167_596
; %bb.595:
	v_cndmask_b32_e64 v2, v17, v18, s5
	s_delay_alu instid0(VALU_DEP_1)
	v_cndmask_b32_e64 v2, v2, v19, s4
	global_store_b8 v[6:7], v2, off
.LBB167_596:
	s_mov_b32 s29, 0
.LBB167_597:
	s_delay_alu instid0(SALU_CYCLE_1)
	s_and_not1_b32 vcc_lo, exec_lo, s29
	s_cbranch_vccnz .LBB167_599
; %bb.598:
	v_cndmask_b32_e64 v2, v13, v15, s3
	s_delay_alu instid0(VALU_DEP_1)
	v_cndmask_b32_e64 v2, v2, v16, s2
	global_store_b8 v[6:7], v2, off
.LBB167_599:
	s_mov_b32 s30, 0
	s_mov_b32 s29, -1
.LBB167_600:
	s_and_not1_b32 vcc_lo, exec_lo, s30
	s_cbranch_vccnz .LBB167_608
; %bb.601:
	v_cmp_lt_i16_e32 vcc_lo, 14, v24
	s_mov_b32 s30, -1
	s_cbranch_vccz .LBB167_605
; %bb.602:
	v_cmp_eq_u16_e32 vcc_lo, 15, v24
	s_mov_b32 s28, -1
	s_cbranch_vccz .LBB167_604
; %bb.603:
	s_mov_b32 s29, -1
	s_mov_b32 s28, 0
	global_store_b16 v[6:7], v12, off
.LBB167_604:
	s_mov_b32 s30, 0
.LBB167_605:
	s_delay_alu instid0(SALU_CYCLE_1)
	s_and_b32 vcc_lo, exec_lo, s30
	s_cbranch_vccz .LBB167_608
; %bb.606:
	v_cmp_eq_u16_e32 vcc_lo, 11, v24
	s_mov_b32 s28, -1
	s_cbranch_vccz .LBB167_608
; %bb.607:
	s_mov_b32 s29, -1
	s_mov_b32 s28, 0
	global_store_b8 v[6:7], v11, off
.LBB167_608:
.LBB167_609:
	s_and_not1_b32 vcc_lo, exec_lo, s29
	s_cbranch_vccnz .LBB167_426
.LBB167_610:
	v_add_nc_u32_e32 v9, 0x80, v9
	s_mov_b32 s29, -1
.LBB167_611:
	s_and_not1_b32 s30, s45, exec_lo
	s_and_b32 s28, s28, exec_lo
	s_or_not1_b32 s48, s29, exec_lo
	s_or_b32 s30, s30, s28
.LBB167_612:
	s_or_b32 exec_lo, exec_lo, s47
	s_mov_b32 s28, 0
	s_mov_b32 s29, 0
                                        ; implicit-def: $vgpr24
                                        ; implicit-def: $vgpr6_vgpr7
	s_and_saveexec_b32 s31, s48
	s_cbranch_execz .LBB167_680
; %bb.613:
	v_cmp_gt_i32_e32 vcc_lo, s40, v9
	s_mov_b32 s47, s30
                                        ; implicit-def: $vgpr24
                                        ; implicit-def: $vgpr6_vgpr7
	s_and_saveexec_b32 s40, vcc_lo
	s_cbranch_execz .LBB167_679
; %bb.614:
	s_and_not1_b32 vcc_lo, exec_lo, s35
	s_cbranch_vccnz .LBB167_619
; %bb.615:
	v_mov_b32_e32 v2, 0
	s_and_not1_b32 vcc_lo, exec_lo, s42
	s_cbranch_vccnz .LBB167_624
; %bb.616:
	s_add_i32 s42, s41, 1
	s_cmp_eq_u32 s33, 2
	s_mov_b32 s41, 0
	s_cbranch_scc1 .LBB167_620
; %bb.617:
	v_dual_mov_b32 v2, 0 :: v_dual_mov_b32 v3, v9
	s_and_b32 s41, s42, 28
	s_mov_b32 s47, 0
	s_mov_b64 s[28:29], s[0:1]
.LBB167_618:                            ; =>This Inner Loop Header: Depth=1
	s_clause 0x1
	s_load_b256 s[48:55], s[28:29], 0x4
	s_load_b128 s[56:59], s[28:29], 0x24
	s_load_b128 s[60:63], s[26:27], 0x0
	s_add_u32 s28, s28, 48
	s_addc_u32 s29, s29, 0
	s_add_i32 s47, s47, 4
	s_add_u32 s26, s26, 16
	s_addc_u32 s27, s27, 0
	s_cmp_eq_u32 s41, s47
	s_waitcnt lgkmcnt(0)
	v_mul_hi_u32 v5, s49, v3
	s_delay_alu instid0(VALU_DEP_1) | instskip(NEXT) | instid1(VALU_DEP_1)
	v_add_nc_u32_e32 v5, v3, v5
	v_lshrrev_b32_e32 v5, s50, v5
	s_delay_alu instid0(VALU_DEP_1) | instskip(SKIP_1) | instid1(VALU_DEP_2)
	v_mul_hi_u32 v6, s52, v5
	v_mul_lo_u32 v25, v5, s48
	v_add_nc_u32_e32 v6, v5, v6
	s_delay_alu instid0(VALU_DEP_2) | instskip(NEXT) | instid1(VALU_DEP_2)
	v_sub_nc_u32_e32 v25, v3, v25
	v_lshrrev_b32_e32 v6, s53, v6
	s_delay_alu instid0(VALU_DEP_2) | instskip(NEXT) | instid1(VALU_DEP_2)
	v_mul_lo_u32 v25, v25, s60
	v_mul_hi_u32 v7, s55, v6
	v_mul_lo_u32 v26, v6, s51
	s_delay_alu instid0(VALU_DEP_2) | instskip(NEXT) | instid1(VALU_DEP_2)
	v_add_nc_u32_e32 v7, v6, v7
	v_sub_nc_u32_e32 v5, v5, v26
	s_delay_alu instid0(VALU_DEP_2) | instskip(NEXT) | instid1(VALU_DEP_2)
	v_lshrrev_b32_e32 v7, s56, v7
	v_mul_lo_u32 v5, v5, s61
	s_delay_alu instid0(VALU_DEP_2) | instskip(NEXT) | instid1(VALU_DEP_2)
	v_mul_hi_u32 v24, s58, v7
	v_add3_u32 v2, v25, v2, v5
	s_delay_alu instid0(VALU_DEP_2) | instskip(NEXT) | instid1(VALU_DEP_1)
	v_add_nc_u32_e32 v24, v7, v24
	v_lshrrev_b32_e32 v3, s59, v24
	v_mul_lo_u32 v24, v7, s54
	s_delay_alu instid0(VALU_DEP_2) | instskip(NEXT) | instid1(VALU_DEP_2)
	v_mul_lo_u32 v27, v3, s57
	v_sub_nc_u32_e32 v6, v6, v24
	s_delay_alu instid0(VALU_DEP_2) | instskip(NEXT) | instid1(VALU_DEP_2)
	v_sub_nc_u32_e32 v7, v7, v27
	v_mul_lo_u32 v6, v6, s62
	s_delay_alu instid0(VALU_DEP_2) | instskip(NEXT) | instid1(VALU_DEP_1)
	v_mul_lo_u32 v7, v7, s63
	v_add3_u32 v2, v6, v2, v7
	s_cbranch_scc0 .LBB167_618
	s_branch .LBB167_621
.LBB167_619:
	s_mov_b32 s26, -1
                                        ; implicit-def: $vgpr2
	s_branch .LBB167_625
.LBB167_620:
	v_mov_b32_e32 v3, v9
.LBB167_621:
	s_and_b32 s42, s42, 3
	s_delay_alu instid0(SALU_CYCLE_1)
	s_cmp_eq_u32 s42, 0
	s_cbranch_scc1 .LBB167_624
; %bb.622:
	s_lshl_b32 s26, s41, 2
	s_mul_i32 s28, s41, 12
	s_add_u32 s26, s26, s0
	s_addc_u32 s27, s1, 0
	s_add_u32 s26, s26, 0xc4
	s_addc_u32 s27, s27, 0
	;; [unrolled: 2-line block ×3, first 2 shown]
.LBB167_623:                            ; =>This Inner Loop Header: Depth=1
	s_clause 0x1
	s_load_b64 s[48:49], s[28:29], 0x4
	s_load_b32 s41, s[28:29], 0xc
	s_load_b32 s47, s[26:27], 0x0
	s_add_u32 s28, s28, 12
	s_addc_u32 s29, s29, 0
	s_add_u32 s26, s26, 4
	s_addc_u32 s27, s27, 0
	s_add_i32 s42, s42, -1
	s_delay_alu instid0(SALU_CYCLE_1) | instskip(SKIP_2) | instid1(VALU_DEP_1)
	s_cmp_lg_u32 s42, 0
	s_waitcnt lgkmcnt(0)
	v_mul_hi_u32 v5, s49, v3
	v_add_nc_u32_e32 v5, v3, v5
	s_delay_alu instid0(VALU_DEP_1) | instskip(NEXT) | instid1(VALU_DEP_1)
	v_lshrrev_b32_e32 v7, s41, v5
	v_mul_lo_u32 v5, v7, s48
	s_delay_alu instid0(VALU_DEP_1) | instskip(NEXT) | instid1(VALU_DEP_1)
	v_sub_nc_u32_e32 v3, v3, v5
	v_mad_u64_u32 v[5:6], null, v3, s47, v[2:3]
	s_delay_alu instid0(VALU_DEP_1)
	v_dual_mov_b32 v3, v7 :: v_dual_mov_b32 v2, v5
	s_cbranch_scc1 .LBB167_623
.LBB167_624:
	s_mov_b32 s26, 0
.LBB167_625:
	s_delay_alu instid0(SALU_CYCLE_1)
	s_and_not1_b32 vcc_lo, exec_lo, s26
	s_cbranch_vccnz .LBB167_628
; %bb.626:
	v_mul_hi_u32 v2, s17, v9
	s_and_not1_b32 vcc_lo, exec_lo, s39
	s_delay_alu instid0(VALU_DEP_1) | instskip(NEXT) | instid1(VALU_DEP_1)
	v_add_nc_u32_e32 v2, v9, v2
	v_lshrrev_b32_e32 v3, s18, v2
	s_delay_alu instid0(VALU_DEP_1) | instskip(NEXT) | instid1(VALU_DEP_1)
	v_mul_lo_u32 v2, v3, s16
	v_sub_nc_u32_e32 v2, v9, v2
	s_delay_alu instid0(VALU_DEP_1)
	v_mul_lo_u32 v2, v2, s22
	s_cbranch_vccnz .LBB167_628
; %bb.627:
	v_mul_hi_u32 v5, s24, v3
	s_delay_alu instid0(VALU_DEP_1) | instskip(NEXT) | instid1(VALU_DEP_1)
	v_add_nc_u32_e32 v5, v3, v5
	v_lshrrev_b32_e32 v5, s25, v5
	s_delay_alu instid0(VALU_DEP_1) | instskip(NEXT) | instid1(VALU_DEP_1)
	v_mul_lo_u32 v5, v5, s19
	v_sub_nc_u32_e32 v3, v3, v5
	s_delay_alu instid0(VALU_DEP_1) | instskip(NEXT) | instid1(VALU_DEP_1)
	v_mad_u64_u32 v[5:6], null, v3, s23, v[2:3]
	v_mov_b32_e32 v2, v5
.LBB167_628:
	v_and_b32_e64 v24, 0xff, s15
	s_delay_alu instid0(VALU_DEP_2) | instskip(NEXT) | instid1(VALU_DEP_1)
	v_add_co_u32 v6, s12, s12, v2
	v_add_co_ci_u32_e64 v7, null, s13, 0, s12
	s_delay_alu instid0(VALU_DEP_3)
	v_cmp_gt_i16_e32 vcc_lo, 11, v24
	s_mov_b32 s15, 0
	s_mov_b32 s13, -1
	s_mov_b32 s12, s30
	s_cbranch_vccnz .LBB167_678
; %bb.629:
	v_cmp_lt_i16_e32 vcc_lo, 25, v24
	s_mov_b32 s12, s30
	s_cbranch_vccz .LBB167_657
; %bb.630:
	v_cmp_lt_i16_e32 vcc_lo, 28, v24
	s_mov_b32 s12, s30
	s_cbranch_vccz .LBB167_644
	;; [unrolled: 4-line block ×4, first 2 shown]
; %bb.633:
	v_cmp_eq_u16_e32 vcc_lo, 46, v24
	s_mov_b32 s12, -1
	s_cbranch_vccz .LBB167_635
; %bb.634:
	s_mov_b32 s12, 0
	global_store_b32 v[6:7], v12, off
.LBB167_635:
	s_mov_b32 s13, 0
.LBB167_636:
	s_delay_alu instid0(SALU_CYCLE_1)
	s_and_b32 vcc_lo, exec_lo, s13
	s_cbranch_vccz .LBB167_639
; %bb.637:
	v_cmp_eq_u16_e32 vcc_lo, 44, v24
	s_mov_b32 s12, -1
	s_cbranch_vccz .LBB167_639
; %bb.638:
	v_cndmask_b32_e64 v2, v23, 0xff, s10
	s_mov_b32 s12, 0
	global_store_b8 v[6:7], v2, off
.LBB167_639:
	s_mov_b32 s13, 0
.LBB167_640:
	s_delay_alu instid0(SALU_CYCLE_1)
	s_and_b32 vcc_lo, exec_lo, s13
	s_cbranch_vccz .LBB167_643
; %bb.641:
	v_cmp_eq_u16_e32 vcc_lo, 29, v24
	s_mov_b32 s12, -1
	s_cbranch_vccz .LBB167_643
; %bb.642:
	v_dual_mov_b32 v2, s20 :: v_dual_mov_b32 v3, s21
	s_mov_b32 s12, 0
	global_store_b64 v[6:7], v[2:3], off
.LBB167_643:
	s_mov_b32 s13, 0
.LBB167_644:
	s_delay_alu instid0(SALU_CYCLE_1)
	s_and_b32 vcc_lo, exec_lo, s13
	s_cbranch_vccz .LBB167_656
; %bb.645:
	v_cmp_gt_i16_e32 vcc_lo, 27, v24
	s_mov_b32 s10, -1
	s_cbranch_vccnz .LBB167_651
; %bb.646:
	v_cmp_lt_i16_e32 vcc_lo, 27, v24
	s_cbranch_vccz .LBB167_648
; %bb.647:
	v_mov_b32_e32 v2, s14
	s_mov_b32 s10, 0
	global_store_b32 v[6:7], v2, off
.LBB167_648:
	s_and_not1_b32 vcc_lo, exec_lo, s10
	s_cbranch_vccnz .LBB167_650
; %bb.649:
	v_mov_b32_e32 v2, s14
	global_store_b16 v[6:7], v2, off
.LBB167_650:
	s_mov_b32 s10, 0
.LBB167_651:
	s_delay_alu instid0(SALU_CYCLE_1)
	s_and_not1_b32 vcc_lo, exec_lo, s10
	s_cbranch_vccnz .LBB167_656
; %bb.652:
	v_mov_b32_e32 v2, 0x80
	s_and_not1_b32 vcc_lo, exec_lo, s9
	s_cbranch_vccnz .LBB167_655
; %bb.653:
	v_mov_b32_e32 v2, 0
	s_or_b32 s9, s8, s38
	s_delay_alu instid0(SALU_CYCLE_1)
	s_and_not1_b32 vcc_lo, exec_lo, s9
	s_cbranch_vccnz .LBB167_655
; %bb.654:
	v_cndmask_b32_e64 v2, v21, v22, s8
.LBB167_655:
	global_store_b8 v[6:7], v2, off
.LBB167_656:
	s_mov_b32 s13, 0
.LBB167_657:
	s_delay_alu instid0(SALU_CYCLE_1)
	s_and_b32 vcc_lo, exec_lo, s13
	s_mov_b32 s13, 0
	s_cbranch_vccz .LBB167_678
; %bb.658:
	v_cmp_lt_i16_e32 vcc_lo, 22, v24
	s_mov_b32 s8, -1
	s_cbranch_vccz .LBB167_671
; %bb.659:
	v_cmp_gt_i16_e32 vcc_lo, 24, v24
	s_cbranch_vccnz .LBB167_668
; %bb.660:
	v_cmp_lt_i16_e32 vcc_lo, 24, v24
	s_cbranch_vccz .LBB167_665
; %bb.661:
	v_mov_b32_e32 v2, 0x80
	s_and_not1_b32 vcc_lo, exec_lo, s6
	s_cbranch_vccnz .LBB167_664
; %bb.662:
	v_mov_b32_e32 v2, 0
	s_or_b32 s6, s7, s37
	s_delay_alu instid0(SALU_CYCLE_1)
	s_and_not1_b32 vcc_lo, exec_lo, s6
	s_cbranch_vccnz .LBB167_664
; %bb.663:
	v_cndmask_b32_e64 v2, v14, v20, s7
.LBB167_664:
	s_mov_b32 s8, 0
	global_store_b8 v[6:7], v2, off
.LBB167_665:
	s_and_b32 vcc_lo, exec_lo, s8
	s_cbranch_vccz .LBB167_667
; %bb.666:
	v_cndmask_b32_e64 v2, v17, v18, s5
	s_delay_alu instid0(VALU_DEP_1)
	v_cndmask_b32_e64 v2, v2, v19, s4
	global_store_b8 v[6:7], v2, off
.LBB167_667:
	s_mov_b32 s8, 0
.LBB167_668:
	s_delay_alu instid0(SALU_CYCLE_1)
	s_and_not1_b32 vcc_lo, exec_lo, s8
	s_cbranch_vccnz .LBB167_670
; %bb.669:
	v_cndmask_b32_e64 v2, v13, v15, s3
	s_delay_alu instid0(VALU_DEP_1)
	v_cndmask_b32_e64 v2, v2, v16, s2
	global_store_b8 v[6:7], v2, off
.LBB167_670:
	s_mov_b32 s8, 0
.LBB167_671:
	s_delay_alu instid0(SALU_CYCLE_1)
	s_and_not1_b32 vcc_lo, exec_lo, s8
	s_cbranch_vccnz .LBB167_678
; %bb.672:
	v_cmp_lt_i16_e32 vcc_lo, 14, v24
	s_mov_b32 s2, -1
	s_cbranch_vccz .LBB167_676
; %bb.673:
	v_cmp_eq_u16_e32 vcc_lo, 15, v24
	s_mov_b32 s12, -1
	s_cbranch_vccz .LBB167_675
; %bb.674:
	s_mov_b32 s12, 0
	global_store_b16 v[6:7], v12, off
.LBB167_675:
	s_mov_b32 s2, 0
.LBB167_676:
	s_delay_alu instid0(SALU_CYCLE_1)
	s_and_b32 vcc_lo, exec_lo, s2
	s_cbranch_vccz .LBB167_678
; %bb.677:
	v_cmp_ne_u16_e32 vcc_lo, 11, v24
	s_and_not1_b32 s2, s12, exec_lo
	s_mov_b32 s15, -1
	s_and_b32 s3, vcc_lo, exec_lo
	s_delay_alu instid0(SALU_CYCLE_1)
	s_or_b32 s12, s2, s3
.LBB167_678:
	s_and_not1_b32 s2, s30, exec_lo
	s_and_b32 s3, s12, exec_lo
	s_and_b32 s29, s13, exec_lo
	;; [unrolled: 1-line block ×3, first 2 shown]
	s_or_b32 s47, s2, s3
.LBB167_679:
	s_or_b32 exec_lo, exec_lo, s40
	s_delay_alu instid0(SALU_CYCLE_1)
	s_and_not1_b32 s2, s30, exec_lo
	s_and_b32 s3, s47, exec_lo
	s_and_b32 s29, s29, exec_lo
	;; [unrolled: 1-line block ×3, first 2 shown]
	s_or_b32 s30, s2, s3
.LBB167_680:
	s_or_b32 exec_lo, exec_lo, s31
	s_delay_alu instid0(SALU_CYCLE_1)
	s_and_not1_b32 s2, s45, exec_lo
	s_and_b32 s3, s30, exec_lo
	s_and_b32 s29, s29, exec_lo
	;; [unrolled: 1-line block ×3, first 2 shown]
	s_or_b32 s45, s2, s3
.LBB167_681:
	s_or_b32 exec_lo, exec_lo, s46
	s_delay_alu instid0(SALU_CYCLE_1)
	s_and_not1_b32 s2, s43, exec_lo
	s_and_b32 s3, s45, exec_lo
	s_and_b32 s29, s29, exec_lo
	;; [unrolled: 1-line block ×3, first 2 shown]
	s_or_b32 s43, s2, s3
	s_or_b32 exec_lo, exec_lo, s44
	s_mov_b32 s2, 0
	s_and_saveexec_b32 s3, s43
	s_cbranch_execz .LBB167_118
.LBB167_682:
	s_cbranch_execnz .LBB167_684
; %bb.683:
	s_mov_b32 s2, exec_lo
	s_and_not1_b32 s45, s45, exec_lo
	s_or_b32 exec_lo, exec_lo, s3
	s_and_saveexec_b32 s3, s45
	s_delay_alu instid0(SALU_CYCLE_1)
	s_xor_b32 s3, exec_lo, s3
	s_cbranch_execnz .LBB167_119
	s_branch .LBB167_120
.LBB167_684:
	s_trap 2
	s_sendmsg_rtn_b32 s0, sendmsg(MSG_RTN_GET_DOORBELL)
	s_mov_b32 ttmp2, m0
	s_waitcnt lgkmcnt(0)
	s_and_b32 s0, s0, 0x3ff
	s_delay_alu instid0(SALU_CYCLE_1) | instskip(NEXT) | instid1(SALU_CYCLE_1)
	s_bitset1_b32 s0, 10
	s_mov_b32 m0, s0
	s_sendmsg sendmsg(MSG_INTERRUPT)
	s_mov_b32 m0, ttmp2
.LBB167_685:                            ; =>This Inner Loop Header: Depth=1
	s_sethalt 5
	s_branch .LBB167_685
.LBB167_686:
	s_mov_b32 s9, -1
	s_mov_b32 s8, 0
                                        ; implicit-def: $sgpr10
.LBB167_687:
	v_mov_b32_e32 v5, s10
	s_and_not1_b32 vcc_lo, exec_lo, s9
                                        ; implicit-def: $sgpr9
	s_cbranch_vccnz .LBB167_689
; %bb.688:
	v_add_f32_e32 v4, 0x42800000, v4
	s_mov_b32 s9, 0
	s_delay_alu instid0(VALU_DEP_1) | instskip(NEXT) | instid1(VALU_DEP_1)
	v_and_b32_e32 v5, 0xff, v4
	v_cmp_ne_u32_e64 s8, 0, v5
.LBB167_689:
	v_mov_b32_e32 v6, s9
	s_delay_alu instid0(VALU_DEP_2)
	s_and_not1_b32 vcc_lo, exec_lo, s8
	s_cbranch_vccnz .LBB167_691
; %bb.690:
	v_mov_b32_e32 v6, v5
.LBB167_691:
	s_mov_b32 s8, 0
	global_store_b8 v[2:3], v6, off
.LBB167_692:
	s_and_b32 vcc_lo, exec_lo, s8
	s_cbranch_vccz .LBB167_704
; %bb.693:
	v_cvt_f32_u32_e32 v4, s2
	s_delay_alu instid0(VALU_DEP_1)
	v_cmp_gt_u32_e32 vcc_lo, 0x43f00000, v4
	v_readfirstlane_b32 s8, v4
	s_cbranch_vccz .LBB167_696
; %bb.694:
	s_delay_alu instid0(VALU_DEP_1)
	s_cmp_gt_u32 s8, 0x3c7fffff
	s_cbranch_scc0 .LBB167_697
; %bb.695:
	s_bfe_u32 s9, s8, 0x10014
	s_delay_alu instid0(SALU_CYCLE_1) | instskip(NEXT) | instid1(SALU_CYCLE_1)
	s_add_i32 s9, s8, s9
	s_add_i32 s9, s9, 0x407ffff
	s_delay_alu instid0(SALU_CYCLE_1)
	s_and_b32 s10, s9, 0xff00000
	s_lshr_b32 s9, s9, 20
	s_cmp_lg_u32 s10, 0x7f00000
	s_cselect_b32 s10, s9, 0x7e
	s_mov_b32 s9, 0
	s_branch .LBB167_698
.LBB167_696:
	s_mov_b32 s9, -1
                                        ; implicit-def: $vgpr5
	s_branch .LBB167_701
.LBB167_697:
	s_mov_b32 s9, -1
                                        ; implicit-def: $sgpr10
.LBB167_698:
	v_mov_b32_e32 v5, s10
	s_and_not1_b32 vcc_lo, exec_lo, s9
	s_cbranch_vccnz .LBB167_700
; %bb.699:
	v_add_f32_e32 v5, 0x46800000, v4
.LBB167_700:
	s_mov_b32 s9, 0
.LBB167_701:
	s_delay_alu instid0(SALU_CYCLE_1)
	s_and_not1_b32 vcc_lo, exec_lo, s9
	s_cbranch_vccnz .LBB167_703
; %bb.702:
	s_cmp_gt_u32 s8, 0x7f800000
	s_movk_i32 s8, 0x7f
	s_delay_alu instid0(SALU_CYCLE_1) | instskip(NEXT) | instid1(SALU_CYCLE_1)
	s_cselect_b32 s8, s8, 0x7e
	v_mov_b32_e32 v5, s8
.LBB167_703:
	global_store_b8 v[2:3], v5, off
.LBB167_704:
	s_mov_b32 s8, 0
.LBB167_705:
	s_delay_alu instid0(SALU_CYCLE_1)
	s_and_not1_b32 vcc_lo, exec_lo, s8
	s_cbranch_vccnz .LBB167_717
; %bb.706:
	v_cvt_f32_u32_e32 v4, s2
	s_delay_alu instid0(VALU_DEP_1)
	v_cmp_gt_u32_e32 vcc_lo, 0x47800000, v4
	v_readfirstlane_b32 s8, v4
	s_cbranch_vccz .LBB167_709
; %bb.707:
	s_delay_alu instid0(VALU_DEP_1)
	s_cmp_gt_u32 s8, 0x387fffff
	s_cbranch_scc0 .LBB167_710
; %bb.708:
	s_bfe_u32 s9, s8, 0x10015
	s_delay_alu instid0(SALU_CYCLE_1) | instskip(NEXT) | instid1(SALU_CYCLE_1)
	s_add_i32 s9, s8, s9
	s_add_i32 s9, s9, 0x80fffff
	s_delay_alu instid0(SALU_CYCLE_1)
	s_lshr_b32 s10, s9, 21
	s_mov_b32 s9, 0
	s_branch .LBB167_711
.LBB167_709:
	s_mov_b32 s9, -1
                                        ; implicit-def: $vgpr5
	s_branch .LBB167_714
.LBB167_710:
	s_mov_b32 s9, -1
                                        ; implicit-def: $sgpr10
.LBB167_711:
	v_mov_b32_e32 v5, s10
	s_and_not1_b32 vcc_lo, exec_lo, s9
	s_cbranch_vccnz .LBB167_713
; %bb.712:
	v_add_f32_e32 v5, 0x43000000, v4
.LBB167_713:
	s_mov_b32 s9, 0
.LBB167_714:
	s_delay_alu instid0(SALU_CYCLE_1)
	s_and_not1_b32 vcc_lo, exec_lo, s9
	s_cbranch_vccnz .LBB167_716
; %bb.715:
	s_cmp_gt_u32 s8, 0x7f800000
	s_movk_i32 s8, 0x7f
	s_delay_alu instid0(SALU_CYCLE_1) | instskip(NEXT) | instid1(SALU_CYCLE_1)
	s_cselect_b32 s8, s8, 0x7c
	v_mov_b32_e32 v5, s8
.LBB167_716:
	global_store_b8 v[2:3], v5, off
.LBB167_717:
	s_mov_b32 s8, 0
	s_mov_b32 s9, -1
.LBB167_718:
	s_and_not1_b32 vcc_lo, exec_lo, s8
	s_mov_b32 s8, 0
	s_cbranch_vccnz .LBB167_725
; %bb.719:
	v_cmp_gt_i16_e64 s8, s3, 14
	s_delay_alu instid0(VALU_DEP_1)
	s_and_b32 vcc_lo, exec_lo, s8
	s_mov_b32 s8, -1
	s_cbranch_vccz .LBB167_723
; %bb.720:
	v_cmp_eq_u16_e64 s5, s3, 15
	s_delay_alu instid0(VALU_DEP_1)
	s_and_b32 vcc_lo, exec_lo, s5
	s_mov_b32 s5, -1
	s_cbranch_vccz .LBB167_722
; %bb.721:
	v_cvt_f32_u32_e32 v4, s2
	s_mov_b32 s5, 0
	s_mov_b32 s9, -1
	s_delay_alu instid0(VALU_DEP_1) | instskip(NEXT) | instid1(VALU_DEP_1)
	v_bfe_u32 v5, v4, 16, 1
	v_add_nc_u32_e32 v4, v4, v5
	s_delay_alu instid0(VALU_DEP_1)
	v_add_nc_u32_e32 v4, 0x7fff, v4
	global_store_d16_hi_b16 v[2:3], v4, off
.LBB167_722:
	s_mov_b32 s8, 0
.LBB167_723:
	s_delay_alu instid0(SALU_CYCLE_1)
	s_and_b32 vcc_lo, exec_lo, s8
	s_mov_b32 s8, 0
	s_cbranch_vccz .LBB167_725
; %bb.724:
	v_cmp_ne_u16_e64 s5, s3, 11
	s_mov_b32 s8, -1
.LBB167_725:
	s_delay_alu instid0(VALU_DEP_1)
	s_and_b32 vcc_lo, exec_lo, s5
	s_cbranch_vccnz .LBB167_778
; %bb.726:
	s_and_not1_b32 vcc_lo, exec_lo, s8
	s_cbranch_vccnz .LBB167_728
.LBB167_727:
	s_cmp_lg_u32 s2, 0
	s_mov_b32 s9, -1
	s_cselect_b32 s5, -1, 0
	s_delay_alu instid0(SALU_CYCLE_1)
	v_cndmask_b32_e64 v4, 0, 1, s5
	global_store_b8 v[2:3], v4, off
.LBB167_728:
	s_mov_b32 s5, 0
.LBB167_729:
	s_delay_alu instid0(SALU_CYCLE_1)
	s_and_b32 vcc_lo, exec_lo, s5
	s_cbranch_vccz .LBB167_768
; %bb.730:
	v_cmp_lt_i16_e64 s5, s3, 5
	s_delay_alu instid0(VALU_DEP_1)
	s_and_b32 vcc_lo, exec_lo, s5
	s_mov_b32 s5, -1
	s_cbranch_vccnz .LBB167_751
; %bb.731:
	v_cmp_lt_i16_e64 s5, s3, 8
	s_delay_alu instid0(VALU_DEP_1)
	s_and_b32 vcc_lo, exec_lo, s5
	s_mov_b32 s5, -1
	s_cbranch_vccnz .LBB167_741
	;; [unrolled: 6-line block ×3, first 2 shown]
; %bb.733:
	v_cmp_gt_i16_e64 s5, s3, 9
	s_delay_alu instid0(VALU_DEP_1)
	s_and_b32 vcc_lo, exec_lo, s5
	s_mov_b32 s5, -1
	s_cbranch_vccz .LBB167_735
; %bb.734:
	v_cvt_f64_u32_e32 v[4:5], s2
	v_mov_b32_e32 v6, 0
	s_mov_b32 s5, 0
	s_delay_alu instid0(VALU_DEP_1)
	v_mov_b32_e32 v7, v6
	global_store_b128 v[2:3], v[4:7], off
.LBB167_735:
	s_and_not1_b32 vcc_lo, exec_lo, s5
	s_cbranch_vccnz .LBB167_737
; %bb.736:
	v_cvt_f32_u32_e32 v4, s2
	v_mov_b32_e32 v5, 0
	global_store_b64 v[2:3], v[4:5], off
.LBB167_737:
	s_mov_b32 s5, 0
.LBB167_738:
	s_delay_alu instid0(SALU_CYCLE_1)
	s_and_not1_b32 vcc_lo, exec_lo, s5
	s_cbranch_vccnz .LBB167_740
; %bb.739:
	v_cvt_f32_u32_e32 v4, s2
	s_delay_alu instid0(VALU_DEP_1) | instskip(NEXT) | instid1(VALU_DEP_1)
	v_cvt_f16_f32_e32 v4, v4
	v_and_b32_e32 v4, 0xffff, v4
	global_store_b32 v[2:3], v4, off
.LBB167_740:
	s_mov_b32 s5, 0
.LBB167_741:
	s_delay_alu instid0(SALU_CYCLE_1)
	s_and_not1_b32 vcc_lo, exec_lo, s5
	s_cbranch_vccnz .LBB167_750
; %bb.742:
	v_cmp_lt_i16_e64 s5, s3, 6
	s_delay_alu instid0(VALU_DEP_1)
	s_and_b32 vcc_lo, exec_lo, s5
	s_mov_b32 s5, -1
	s_cbranch_vccnz .LBB167_748
; %bb.743:
	v_cmp_gt_i16_e64 s5, s3, 6
	s_delay_alu instid0(VALU_DEP_1)
	s_and_b32 vcc_lo, exec_lo, s5
	s_mov_b32 s5, -1
	s_cbranch_vccz .LBB167_745
; %bb.744:
	v_cvt_f64_u32_e32 v[4:5], s2
	s_mov_b32 s5, 0
	global_store_b64 v[2:3], v[4:5], off
.LBB167_745:
	s_and_not1_b32 vcc_lo, exec_lo, s5
	s_cbranch_vccnz .LBB167_747
; %bb.746:
	v_cvt_f32_u32_e32 v4, s2
	global_store_b32 v[2:3], v4, off
.LBB167_747:
	s_mov_b32 s5, 0
.LBB167_748:
	s_delay_alu instid0(SALU_CYCLE_1)
	s_and_not1_b32 vcc_lo, exec_lo, s5
	s_cbranch_vccnz .LBB167_750
; %bb.749:
	v_cvt_f32_u32_e32 v4, s2
	s_delay_alu instid0(VALU_DEP_1)
	v_cvt_f16_f32_e32 v4, v4
	global_store_b16 v[2:3], v4, off
.LBB167_750:
	s_mov_b32 s5, 0
.LBB167_751:
	s_delay_alu instid0(SALU_CYCLE_1)
	s_and_not1_b32 vcc_lo, exec_lo, s5
	s_cbranch_vccnz .LBB167_767
; %bb.752:
	v_cmp_lt_i16_e64 s5, s3, 2
	s_delay_alu instid0(VALU_DEP_1)
	s_and_b32 vcc_lo, exec_lo, s5
	s_mov_b32 s5, -1
	s_cbranch_vccnz .LBB167_762
; %bb.753:
	v_cmp_lt_i16_e64 s5, s3, 3
	s_delay_alu instid0(VALU_DEP_1)
	s_and_b32 vcc_lo, exec_lo, s5
	s_mov_b32 s5, -1
	s_cbranch_vccnz .LBB167_759
; %bb.754:
	v_cmp_gt_i16_e64 s5, s3, 3
	s_delay_alu instid0(VALU_DEP_1)
	s_and_b32 vcc_lo, exec_lo, s5
	s_mov_b32 s5, -1
	s_cbranch_vccz .LBB167_756
; %bb.755:
	v_dual_mov_b32 v4, s2 :: v_dual_mov_b32 v5, 0
	s_mov_b32 s5, 0
	global_store_b64 v[2:3], v[4:5], off
.LBB167_756:
	s_and_not1_b32 vcc_lo, exec_lo, s5
	s_cbranch_vccnz .LBB167_758
; %bb.757:
	v_mov_b32_e32 v4, s2
	global_store_b32 v[2:3], v4, off
.LBB167_758:
	s_mov_b32 s5, 0
.LBB167_759:
	s_delay_alu instid0(SALU_CYCLE_1)
	s_and_not1_b32 vcc_lo, exec_lo, s5
	s_cbranch_vccnz .LBB167_761
; %bb.760:
	v_mov_b32_e32 v4, s2
	global_store_b16 v[2:3], v4, off
.LBB167_761:
	s_mov_b32 s5, 0
.LBB167_762:
	s_delay_alu instid0(SALU_CYCLE_1)
	s_and_not1_b32 vcc_lo, exec_lo, s5
	s_cbranch_vccnz .LBB167_767
; %bb.763:
	v_cmp_gt_i16_e64 s5, s3, 0
	s_delay_alu instid0(VALU_DEP_1)
	s_and_b32 vcc_lo, exec_lo, s5
	s_mov_b32 s5, -1
	s_cbranch_vccz .LBB167_765
; %bb.764:
	v_mov_b32_e32 v4, s2
	s_mov_b32 s5, 0
	global_store_b8 v[2:3], v4, off
.LBB167_765:
	s_and_not1_b32 vcc_lo, exec_lo, s5
	s_cbranch_vccnz .LBB167_767
; %bb.766:
	v_mov_b32_e32 v4, s2
	global_store_b8 v[2:3], v4, off
.LBB167_767:
	s_mov_b32 s9, -1
.LBB167_768:
	s_delay_alu instid0(SALU_CYCLE_1)
	s_and_not1_b32 vcc_lo, exec_lo, s9
	s_cbranch_vccnz .LBB167_910
; %bb.769:
	v_cmp_lt_i16_e64 s5, s3, 11
	v_add_co_u32 v1, s8, s0, v1
	s_delay_alu instid0(VALU_DEP_1) | instskip(SKIP_1) | instid1(VALU_DEP_3)
	v_add_co_ci_u32_e64 v2, null, s1, 0, s8
	s_mov_b32 s9, 0
	s_and_b32 vcc_lo, exec_lo, s5
	s_mov_b32 s5, -1
	s_cbranch_vccnz .LBB167_862
; %bb.770:
	v_cmp_gt_i16_e64 s5, s3, 25
	s_mov_b32 s10, -1
	s_mov_b32 s8, 0
	s_delay_alu instid0(VALU_DEP_1)
	s_and_b32 vcc_lo, exec_lo, s5
	s_mov_b32 s5, 0
	s_cbranch_vccz .LBB167_812
; %bb.771:
	v_cmp_gt_i16_e64 s5, s3, 28
	s_delay_alu instid0(VALU_DEP_1)
	s_and_b32 vcc_lo, exec_lo, s5
	s_cbranch_vccz .LBB167_776
; %bb.772:
	v_cmp_gt_i16_e64 s5, s3, 43
	s_delay_alu instid0(VALU_DEP_1)
	s_and_b32 vcc_lo, exec_lo, s5
	;; [unrolled: 5-line block ×3, first 2 shown]
	s_cbranch_vccz .LBB167_780
; %bb.774:
	v_cmp_eq_u16_e64 s9, s3, 46
	s_mov_b32 s5, -1
	s_mov_b32 s10, 0
	s_delay_alu instid0(VALU_DEP_1)
	s_and_b32 vcc_lo, exec_lo, s9
	s_mov_b32 s9, 0
	s_cbranch_vccz .LBB167_781
; %bb.775:
	v_cvt_f32_u32_e32 v3, s2
	s_mov_b32 s5, 0
	s_mov_b32 s9, -1
	s_delay_alu instid0(VALU_DEP_1) | instskip(NEXT) | instid1(VALU_DEP_1)
	v_bfe_u32 v4, v3, 16, 1
	v_add_nc_u32_e32 v3, v3, v4
	s_delay_alu instid0(VALU_DEP_1) | instskip(NEXT) | instid1(VALU_DEP_1)
	v_add_nc_u32_e32 v3, 0x7fff, v3
	v_lshrrev_b32_e32 v3, 16, v3
	global_store_b32 v[1:2], v3, off
	s_branch .LBB167_781
.LBB167_776:
	s_mov_b32 s5, 0
	s_branch .LBB167_791
.LBB167_777:
	s_mov_b32 s5, 0
	s_branch .LBB167_787
.LBB167_778:
	s_cbranch_execnz .LBB167_802
; %bb.779:
	s_or_b32 s4, s4, exec_lo
	s_cbranch_execz .LBB167_727
	s_branch .LBB167_728
.LBB167_780:
	s_mov_b32 s5, 0
.LBB167_781:
	s_and_b32 vcc_lo, exec_lo, s10
	s_cbranch_vccz .LBB167_786
; %bb.782:
	v_cmp_eq_u16_e64 s5, s3, 44
	s_delay_alu instid0(VALU_DEP_1)
	s_and_b32 vcc_lo, exec_lo, s5
	s_mov_b32 s5, -1
	s_cbranch_vccz .LBB167_786
; %bb.783:
	v_cvt_f32_u32_e32 v3, s2
	s_delay_alu instid0(VALU_DEP_1) | instskip(SKIP_1) | instid1(VALU_DEP_2)
	v_readfirstlane_b32 s9, v3
	v_mov_b32_e32 v3, 0xff
	s_lshr_b32 s5, s9, 23
	s_delay_alu instid0(SALU_CYCLE_1)
	s_cmpk_eq_i32 s5, 0xff
	s_cbranch_scc1 .LBB167_785
; %bb.784:
	s_bitcmp1_b32 s9, 22
	s_cselect_b32 s10, -1, 0
	s_and_b32 s9, s9, 0x3fffff
	s_delay_alu instid0(SALU_CYCLE_1) | instskip(NEXT) | instid1(SALU_CYCLE_1)
	s_or_b32 s9, s5, s9
	s_cmp_lg_u32 s9, 0
	s_cselect_b32 s9, -1, 0
	s_delay_alu instid0(SALU_CYCLE_1) | instskip(NEXT) | instid1(SALU_CYCLE_1)
	s_and_b32 s9, s10, s9
	v_cndmask_b32_e64 v3, 0, 1, s9
	s_delay_alu instid0(VALU_DEP_1)
	v_add_nc_u32_e32 v3, s5, v3
.LBB167_785:
	s_mov_b32 s5, 0
	s_mov_b32 s9, -1
	global_store_b8 v[1:2], v3, off
.LBB167_786:
	s_mov_b32 s10, 0
.LBB167_787:
	s_delay_alu instid0(SALU_CYCLE_1)
	s_and_b32 vcc_lo, exec_lo, s10
	s_cbranch_vccz .LBB167_790
; %bb.788:
	v_cmp_eq_u16_e64 s5, s3, 29
	s_delay_alu instid0(VALU_DEP_1)
	s_and_b32 vcc_lo, exec_lo, s5
	s_mov_b32 s5, -1
	s_cbranch_vccz .LBB167_790
; %bb.789:
	v_dual_mov_b32 v3, s2 :: v_dual_mov_b32 v4, 0
	s_mov_b32 s5, 0
	s_mov_b32 s9, -1
	s_mov_b32 s10, 0
	global_store_b64 v[1:2], v[3:4], off
	s_branch .LBB167_791
.LBB167_790:
	s_mov_b32 s10, 0
.LBB167_791:
	s_delay_alu instid0(SALU_CYCLE_1)
	s_and_b32 vcc_lo, exec_lo, s10
	s_cbranch_vccz .LBB167_811
; %bb.792:
	v_cmp_lt_i16_e64 s9, s3, 27
	s_delay_alu instid0(VALU_DEP_1)
	s_and_b32 vcc_lo, exec_lo, s9
	s_mov_b32 s9, -1
	s_cbranch_vccnz .LBB167_798
; %bb.793:
	v_cmp_gt_i16_e64 s9, s3, 27
	s_delay_alu instid0(VALU_DEP_1)
	s_and_b32 vcc_lo, exec_lo, s9
	s_mov_b32 s9, -1
	s_cbranch_vccz .LBB167_795
; %bb.794:
	v_mov_b32_e32 v3, s2
	s_mov_b32 s9, 0
	global_store_b32 v[1:2], v3, off
.LBB167_795:
	s_and_not1_b32 vcc_lo, exec_lo, s9
	s_cbranch_vccnz .LBB167_797
; %bb.796:
	v_mov_b32_e32 v3, s2
	global_store_b16 v[1:2], v3, off
.LBB167_797:
	s_mov_b32 s9, 0
.LBB167_798:
	s_delay_alu instid0(SALU_CYCLE_1)
	s_and_not1_b32 vcc_lo, exec_lo, s9
	s_cbranch_vccnz .LBB167_810
; %bb.799:
	v_cvt_f32_u32_e32 v3, s2
	v_mov_b32_e32 v5, 0x80
	s_delay_alu instid0(VALU_DEP_2)
	v_cmp_lt_u32_e32 vcc_lo, 0x437fffff, v3
	v_readfirstlane_b32 s9, v3
	s_cbranch_vccnz .LBB167_809
; %bb.800:
	s_delay_alu instid0(VALU_DEP_1)
	s_cmp_gt_u32 s9, 0x3bffffff
	s_cbranch_scc0 .LBB167_804
; %bb.801:
	s_bfe_u32 s10, s9, 0x10014
	s_delay_alu instid0(SALU_CYCLE_1) | instskip(SKIP_2) | instid1(SALU_CYCLE_1)
	s_add_i32 s9, s9, s10
	s_mov_b32 s10, 0
	s_add_i32 s9, s9, 0x487ffff
	s_lshr_b32 s11, s9, 20
	s_mov_b32 s9, -1
	s_branch .LBB167_805
.LBB167_802:
	s_trap 2
	s_sendmsg_rtn_b32 s0, sendmsg(MSG_RTN_GET_DOORBELL)
	s_mov_b32 ttmp2, m0
	s_waitcnt lgkmcnt(0)
	s_and_b32 s0, s0, 0x3ff
	s_delay_alu instid0(SALU_CYCLE_1) | instskip(NEXT) | instid1(SALU_CYCLE_1)
	s_bitset1_b32 s0, 10
	s_mov_b32 m0, s0
	s_sendmsg sendmsg(MSG_INTERRUPT)
	s_mov_b32 m0, ttmp2
.LBB167_803:                            ; =>This Inner Loop Header: Depth=1
	s_sethalt 5
	s_branch .LBB167_803
.LBB167_804:
	s_mov_b32 s10, -1
	s_mov_b32 s9, 0
                                        ; implicit-def: $sgpr11
.LBB167_805:
	v_mov_b32_e32 v4, s11
	s_and_not1_b32 vcc_lo, exec_lo, s10
                                        ; implicit-def: $sgpr10
	s_cbranch_vccnz .LBB167_807
; %bb.806:
	v_add_f32_e32 v3, 0x46000000, v3
	s_mov_b32 s10, 0
	s_delay_alu instid0(VALU_DEP_1) | instskip(NEXT) | instid1(VALU_DEP_1)
	v_and_b32_e32 v4, 0xff, v3
	v_cmp_ne_u32_e64 s9, 0, v4
.LBB167_807:
	v_mov_b32_e32 v5, s10
	s_delay_alu instid0(VALU_DEP_2)
	s_and_not1_b32 vcc_lo, exec_lo, s9
	s_cbranch_vccnz .LBB167_809
; %bb.808:
	v_mov_b32_e32 v5, v4
.LBB167_809:
	global_store_b8 v[1:2], v5, off
.LBB167_810:
	s_mov_b32 s9, -1
.LBB167_811:
	s_mov_b32 s10, 0
.LBB167_812:
	s_delay_alu instid0(SALU_CYCLE_1)
	s_and_b32 vcc_lo, exec_lo, s10
	s_cbranch_vccz .LBB167_858
; %bb.813:
	v_cmp_gt_i16_e64 s8, s3, 22
	s_delay_alu instid0(VALU_DEP_1)
	s_and_b32 vcc_lo, exec_lo, s8
	s_mov_b32 s8, -1
	s_cbranch_vccz .LBB167_851
; %bb.814:
	v_cmp_lt_i16_e64 s8, s3, 24
	s_delay_alu instid0(VALU_DEP_1)
	s_and_b32 vcc_lo, exec_lo, s8
	s_mov_b32 s8, -1
	s_cbranch_vccnz .LBB167_838
; %bb.815:
	v_cmp_gt_i16_e64 s8, s3, 24
	s_delay_alu instid0(VALU_DEP_1)
	s_and_b32 vcc_lo, exec_lo, s8
	s_mov_b32 s8, -1
	s_cbranch_vccz .LBB167_825
; %bb.816:
	v_cvt_f32_u32_e32 v3, s2
	v_mov_b32_e32 v5, 0x80
	s_delay_alu instid0(VALU_DEP_2)
	v_cmp_lt_u32_e32 vcc_lo, 0x477fffff, v3
	v_readfirstlane_b32 s8, v3
	s_cbranch_vccnz .LBB167_824
; %bb.817:
	s_delay_alu instid0(VALU_DEP_1)
	s_cmp_gt_u32 s8, 0x37ffffff
	s_cbranch_scc0 .LBB167_819
; %bb.818:
	s_bfe_u32 s9, s8, 0x10015
	s_delay_alu instid0(SALU_CYCLE_1) | instskip(SKIP_2) | instid1(SALU_CYCLE_1)
	s_add_i32 s8, s8, s9
	s_mov_b32 s9, 0
	s_add_i32 s8, s8, 0x88fffff
	s_lshr_b32 s10, s8, 21
	s_mov_b32 s8, -1
	s_branch .LBB167_820
.LBB167_819:
	s_mov_b32 s9, -1
	s_mov_b32 s8, 0
                                        ; implicit-def: $sgpr10
.LBB167_820:
	v_mov_b32_e32 v4, s10
	s_and_not1_b32 vcc_lo, exec_lo, s9
                                        ; implicit-def: $sgpr9
	s_cbranch_vccnz .LBB167_822
; %bb.821:
	v_add_f32_e32 v3, 0x42800000, v3
	s_mov_b32 s9, 0
	s_delay_alu instid0(VALU_DEP_1) | instskip(NEXT) | instid1(VALU_DEP_1)
	v_and_b32_e32 v4, 0xff, v3
	v_cmp_ne_u32_e64 s8, 0, v4
.LBB167_822:
	v_mov_b32_e32 v5, s9
	s_delay_alu instid0(VALU_DEP_2)
	s_and_not1_b32 vcc_lo, exec_lo, s8
	s_cbranch_vccnz .LBB167_824
; %bb.823:
	v_mov_b32_e32 v5, v4
.LBB167_824:
	s_mov_b32 s8, 0
	global_store_b8 v[1:2], v5, off
.LBB167_825:
	s_and_b32 vcc_lo, exec_lo, s8
	s_cbranch_vccz .LBB167_837
; %bb.826:
	v_cvt_f32_u32_e32 v3, s2
	s_delay_alu instid0(VALU_DEP_1)
	v_cmp_gt_u32_e32 vcc_lo, 0x43f00000, v3
	v_readfirstlane_b32 s8, v3
	s_cbranch_vccz .LBB167_829
; %bb.827:
	s_delay_alu instid0(VALU_DEP_1)
	s_cmp_gt_u32 s8, 0x3c7fffff
	s_cbranch_scc0 .LBB167_830
; %bb.828:
	s_bfe_u32 s9, s8, 0x10014
	s_delay_alu instid0(SALU_CYCLE_1) | instskip(NEXT) | instid1(SALU_CYCLE_1)
	s_add_i32 s9, s8, s9
	s_add_i32 s9, s9, 0x407ffff
	s_delay_alu instid0(SALU_CYCLE_1)
	s_and_b32 s10, s9, 0xff00000
	s_lshr_b32 s9, s9, 20
	s_cmp_lg_u32 s10, 0x7f00000
	s_cselect_b32 s10, s9, 0x7e
	s_mov_b32 s9, 0
	s_branch .LBB167_831
.LBB167_829:
	s_mov_b32 s9, -1
                                        ; implicit-def: $vgpr4
	s_branch .LBB167_834
.LBB167_830:
	s_mov_b32 s9, -1
                                        ; implicit-def: $sgpr10
.LBB167_831:
	v_mov_b32_e32 v4, s10
	s_and_not1_b32 vcc_lo, exec_lo, s9
	s_cbranch_vccnz .LBB167_833
; %bb.832:
	v_add_f32_e32 v4, 0x46800000, v3
.LBB167_833:
	s_mov_b32 s9, 0
.LBB167_834:
	s_delay_alu instid0(SALU_CYCLE_1)
	s_and_not1_b32 vcc_lo, exec_lo, s9
	s_cbranch_vccnz .LBB167_836
; %bb.835:
	s_cmp_gt_u32 s8, 0x7f800000
	s_movk_i32 s8, 0x7f
	s_delay_alu instid0(SALU_CYCLE_1) | instskip(NEXT) | instid1(SALU_CYCLE_1)
	s_cselect_b32 s8, s8, 0x7e
	v_mov_b32_e32 v4, s8
.LBB167_836:
	global_store_b8 v[1:2], v4, off
.LBB167_837:
	s_mov_b32 s8, 0
.LBB167_838:
	s_delay_alu instid0(SALU_CYCLE_1)
	s_and_not1_b32 vcc_lo, exec_lo, s8
	s_cbranch_vccnz .LBB167_850
; %bb.839:
	v_cvt_f32_u32_e32 v3, s2
	s_delay_alu instid0(VALU_DEP_1)
	v_cmp_gt_u32_e32 vcc_lo, 0x47800000, v3
	v_readfirstlane_b32 s8, v3
	s_cbranch_vccz .LBB167_842
; %bb.840:
	s_delay_alu instid0(VALU_DEP_1)
	s_cmp_gt_u32 s8, 0x387fffff
	s_cbranch_scc0 .LBB167_843
; %bb.841:
	s_bfe_u32 s9, s8, 0x10015
	s_delay_alu instid0(SALU_CYCLE_1) | instskip(NEXT) | instid1(SALU_CYCLE_1)
	s_add_i32 s9, s8, s9
	s_add_i32 s9, s9, 0x80fffff
	s_delay_alu instid0(SALU_CYCLE_1)
	s_lshr_b32 s10, s9, 21
	s_mov_b32 s9, 0
	s_branch .LBB167_844
.LBB167_842:
	s_mov_b32 s9, -1
                                        ; implicit-def: $vgpr4
	s_branch .LBB167_847
.LBB167_843:
	s_mov_b32 s9, -1
                                        ; implicit-def: $sgpr10
.LBB167_844:
	v_mov_b32_e32 v4, s10
	s_and_not1_b32 vcc_lo, exec_lo, s9
	s_cbranch_vccnz .LBB167_846
; %bb.845:
	v_add_f32_e32 v4, 0x43000000, v3
.LBB167_846:
	s_mov_b32 s9, 0
.LBB167_847:
	s_delay_alu instid0(SALU_CYCLE_1)
	s_and_not1_b32 vcc_lo, exec_lo, s9
	s_cbranch_vccnz .LBB167_849
; %bb.848:
	s_cmp_gt_u32 s8, 0x7f800000
	s_movk_i32 s8, 0x7f
	s_delay_alu instid0(SALU_CYCLE_1) | instskip(NEXT) | instid1(SALU_CYCLE_1)
	s_cselect_b32 s8, s8, 0x7c
	v_mov_b32_e32 v4, s8
.LBB167_849:
	global_store_b8 v[1:2], v4, off
.LBB167_850:
	s_mov_b32 s8, 0
	s_mov_b32 s9, -1
.LBB167_851:
	s_and_not1_b32 vcc_lo, exec_lo, s8
	s_mov_b32 s8, 0
	s_cbranch_vccnz .LBB167_858
; %bb.852:
	v_cmp_gt_i16_e64 s8, s3, 14
	s_delay_alu instid0(VALU_DEP_1)
	s_and_b32 vcc_lo, exec_lo, s8
	s_mov_b32 s8, -1
	s_cbranch_vccz .LBB167_856
; %bb.853:
	v_cmp_eq_u16_e64 s5, s3, 15
	s_delay_alu instid0(VALU_DEP_1)
	s_and_b32 vcc_lo, exec_lo, s5
	s_mov_b32 s5, -1
	s_cbranch_vccz .LBB167_855
; %bb.854:
	v_cvt_f32_u32_e32 v3, s2
	s_mov_b32 s5, 0
	s_mov_b32 s9, -1
	s_delay_alu instid0(VALU_DEP_1) | instskip(NEXT) | instid1(VALU_DEP_1)
	v_bfe_u32 v4, v3, 16, 1
	v_add_nc_u32_e32 v3, v3, v4
	s_delay_alu instid0(VALU_DEP_1)
	v_add_nc_u32_e32 v3, 0x7fff, v3
	global_store_d16_hi_b16 v[1:2], v3, off
.LBB167_855:
	s_mov_b32 s8, 0
.LBB167_856:
	s_delay_alu instid0(SALU_CYCLE_1)
	s_and_b32 vcc_lo, exec_lo, s8
	s_mov_b32 s8, 0
	s_cbranch_vccz .LBB167_858
; %bb.857:
	v_cmp_ne_u16_e64 s5, s3, 11
	s_mov_b32 s8, -1
.LBB167_858:
	s_delay_alu instid0(VALU_DEP_1)
	s_and_b32 vcc_lo, exec_lo, s5
	s_cbranch_vccnz .LBB167_957
; %bb.859:
	s_and_not1_b32 vcc_lo, exec_lo, s8
	s_cbranch_vccnz .LBB167_861
.LBB167_860:
	s_cmp_lg_u32 s2, 0
	s_mov_b32 s9, -1
	s_cselect_b32 s5, -1, 0
	s_delay_alu instid0(SALU_CYCLE_1)
	v_cndmask_b32_e64 v3, 0, 1, s5
	global_store_b8 v[1:2], v3, off
.LBB167_861:
	s_mov_b32 s5, 0
.LBB167_862:
	s_delay_alu instid0(SALU_CYCLE_1)
	s_and_b32 vcc_lo, exec_lo, s5
	s_cbranch_vccz .LBB167_901
; %bb.863:
	v_cmp_lt_i16_e64 s5, s3, 5
	s_delay_alu instid0(VALU_DEP_1)
	s_and_b32 vcc_lo, exec_lo, s5
	s_mov_b32 s5, -1
	s_cbranch_vccnz .LBB167_884
; %bb.864:
	v_cmp_lt_i16_e64 s5, s3, 8
	s_delay_alu instid0(VALU_DEP_1)
	s_and_b32 vcc_lo, exec_lo, s5
	s_mov_b32 s5, -1
	s_cbranch_vccnz .LBB167_874
	;; [unrolled: 6-line block ×3, first 2 shown]
; %bb.866:
	v_cmp_gt_i16_e64 s5, s3, 9
	s_delay_alu instid0(VALU_DEP_1)
	s_and_b32 vcc_lo, exec_lo, s5
	s_mov_b32 s5, -1
	s_cbranch_vccz .LBB167_868
; %bb.867:
	v_cvt_f64_u32_e32 v[3:4], s2
	v_mov_b32_e32 v5, 0
	s_mov_b32 s5, 0
	s_delay_alu instid0(VALU_DEP_1)
	v_mov_b32_e32 v6, v5
	global_store_b128 v[1:2], v[3:6], off
.LBB167_868:
	s_and_not1_b32 vcc_lo, exec_lo, s5
	s_cbranch_vccnz .LBB167_870
; %bb.869:
	v_cvt_f32_u32_e32 v3, s2
	v_mov_b32_e32 v4, 0
	global_store_b64 v[1:2], v[3:4], off
.LBB167_870:
	s_mov_b32 s5, 0
.LBB167_871:
	s_delay_alu instid0(SALU_CYCLE_1)
	s_and_not1_b32 vcc_lo, exec_lo, s5
	s_cbranch_vccnz .LBB167_873
; %bb.872:
	v_cvt_f32_u32_e32 v3, s2
	s_delay_alu instid0(VALU_DEP_1) | instskip(NEXT) | instid1(VALU_DEP_1)
	v_cvt_f16_f32_e32 v3, v3
	v_and_b32_e32 v3, 0xffff, v3
	global_store_b32 v[1:2], v3, off
.LBB167_873:
	s_mov_b32 s5, 0
.LBB167_874:
	s_delay_alu instid0(SALU_CYCLE_1)
	s_and_not1_b32 vcc_lo, exec_lo, s5
	s_cbranch_vccnz .LBB167_883
; %bb.875:
	v_cmp_lt_i16_e64 s5, s3, 6
	s_delay_alu instid0(VALU_DEP_1)
	s_and_b32 vcc_lo, exec_lo, s5
	s_mov_b32 s5, -1
	s_cbranch_vccnz .LBB167_881
; %bb.876:
	v_cmp_gt_i16_e64 s5, s3, 6
	s_delay_alu instid0(VALU_DEP_1)
	s_and_b32 vcc_lo, exec_lo, s5
	s_mov_b32 s5, -1
	s_cbranch_vccz .LBB167_878
; %bb.877:
	v_cvt_f64_u32_e32 v[3:4], s2
	s_mov_b32 s5, 0
	global_store_b64 v[1:2], v[3:4], off
.LBB167_878:
	s_and_not1_b32 vcc_lo, exec_lo, s5
	s_cbranch_vccnz .LBB167_880
; %bb.879:
	v_cvt_f32_u32_e32 v3, s2
	global_store_b32 v[1:2], v3, off
.LBB167_880:
	s_mov_b32 s5, 0
.LBB167_881:
	s_delay_alu instid0(SALU_CYCLE_1)
	s_and_not1_b32 vcc_lo, exec_lo, s5
	s_cbranch_vccnz .LBB167_883
; %bb.882:
	v_cvt_f32_u32_e32 v3, s2
	s_delay_alu instid0(VALU_DEP_1)
	v_cvt_f16_f32_e32 v3, v3
	global_store_b16 v[1:2], v3, off
.LBB167_883:
	s_mov_b32 s5, 0
.LBB167_884:
	s_delay_alu instid0(SALU_CYCLE_1)
	s_and_not1_b32 vcc_lo, exec_lo, s5
	s_cbranch_vccnz .LBB167_900
; %bb.885:
	v_cmp_lt_i16_e64 s5, s3, 2
	s_delay_alu instid0(VALU_DEP_1)
	s_and_b32 vcc_lo, exec_lo, s5
	s_mov_b32 s5, -1
	s_cbranch_vccnz .LBB167_895
; %bb.886:
	v_cmp_lt_i16_e64 s5, s3, 3
	s_delay_alu instid0(VALU_DEP_1)
	s_and_b32 vcc_lo, exec_lo, s5
	s_mov_b32 s5, -1
	s_cbranch_vccnz .LBB167_892
; %bb.887:
	v_cmp_gt_i16_e64 s5, s3, 3
	s_delay_alu instid0(VALU_DEP_1)
	s_and_b32 vcc_lo, exec_lo, s5
	s_mov_b32 s5, -1
	s_cbranch_vccz .LBB167_889
; %bb.888:
	v_dual_mov_b32 v3, s2 :: v_dual_mov_b32 v4, 0
	s_mov_b32 s5, 0
	global_store_b64 v[1:2], v[3:4], off
.LBB167_889:
	s_and_not1_b32 vcc_lo, exec_lo, s5
	s_cbranch_vccnz .LBB167_891
; %bb.890:
	v_mov_b32_e32 v3, s2
	global_store_b32 v[1:2], v3, off
.LBB167_891:
	s_mov_b32 s5, 0
.LBB167_892:
	s_delay_alu instid0(SALU_CYCLE_1)
	s_and_not1_b32 vcc_lo, exec_lo, s5
	s_cbranch_vccnz .LBB167_894
; %bb.893:
	v_mov_b32_e32 v3, s2
	global_store_b16 v[1:2], v3, off
.LBB167_894:
	s_mov_b32 s5, 0
.LBB167_895:
	s_delay_alu instid0(SALU_CYCLE_1)
	s_and_not1_b32 vcc_lo, exec_lo, s5
	s_cbranch_vccnz .LBB167_900
; %bb.896:
	v_cmp_gt_i16_e64 s5, s3, 0
	s_delay_alu instid0(VALU_DEP_1)
	s_and_b32 vcc_lo, exec_lo, s5
	s_mov_b32 s5, -1
	s_cbranch_vccz .LBB167_898
; %bb.897:
	v_mov_b32_e32 v3, s2
	s_mov_b32 s5, 0
	global_store_b8 v[1:2], v3, off
.LBB167_898:
	s_and_not1_b32 vcc_lo, exec_lo, s5
	s_cbranch_vccnz .LBB167_900
; %bb.899:
	v_mov_b32_e32 v3, s2
	global_store_b8 v[1:2], v3, off
.LBB167_900:
	s_mov_b32 s9, -1
.LBB167_901:
	s_delay_alu instid0(SALU_CYCLE_1)
	s_and_not1_b32 vcc_lo, exec_lo, s9
	s_cbranch_vccnz .LBB167_910
; %bb.902:
	v_cmp_lt_i16_e64 s8, s3, 11
	v_add_co_u32 v0, s0, s0, v0
	s_delay_alu instid0(VALU_DEP_1) | instskip(SKIP_1) | instid1(VALU_DEP_3)
	v_add_co_ci_u32_e64 v1, null, s1, 0, s0
	s_mov_b32 s5, 0
	s_and_b32 vcc_lo, exec_lo, s8
	s_mov_b32 s0, -1
	s_cbranch_vccnz .LBB167_911
; %bb.903:
	v_cmp_gt_i16_e64 s0, s3, 25
	s_mov_b32 s1, -1
	s_delay_alu instid0(VALU_DEP_1)
	s_and_b32 vcc_lo, exec_lo, s0
	s_mov_b32 s0, 0
	s_cbranch_vccz .LBB167_990
; %bb.904:
	v_cmp_gt_i16_e64 s0, s3, 28
	s_delay_alu instid0(VALU_DEP_1)
	s_and_b32 vcc_lo, exec_lo, s0
	s_cbranch_vccz .LBB167_955
; %bb.905:
	v_cmp_gt_i16_e64 s0, s3, 43
	s_delay_alu instid0(VALU_DEP_1)
	s_and_b32 vcc_lo, exec_lo, s0
	;; [unrolled: 5-line block ×3, first 2 shown]
	s_cbranch_vccz .LBB167_959
; %bb.907:
	v_cmp_eq_u16_e64 s0, s3, 46
	s_delay_alu instid0(VALU_DEP_1)
	s_and_b32 vcc_lo, exec_lo, s0
	s_mov_b32 s0, -1
	s_cbranch_vccz .LBB167_909
; %bb.908:
	v_cvt_f32_u32_e32 v2, s2
	s_mov_b32 s0, 0
	s_delay_alu instid0(VALU_DEP_1) | instskip(NEXT) | instid1(VALU_DEP_1)
	v_bfe_u32 v3, v2, 16, 1
	v_add_nc_u32_e32 v2, v2, v3
	s_delay_alu instid0(VALU_DEP_1) | instskip(NEXT) | instid1(VALU_DEP_1)
	v_add_nc_u32_e32 v2, 0x7fff, v2
	v_lshrrev_b32_e32 v2, 16, v2
	global_store_b32 v[0:1], v2, off
.LBB167_909:
	s_mov_b32 s1, 0
	s_branch .LBB167_960
.LBB167_910:
	s_mov_b32 s0, 0
	s_mov_b32 s5, 0
                                        ; implicit-def: $sgpr3
                                        ; implicit-def: $vgpr0_vgpr1
.LBB167_911:
	s_and_b32 s8, s0, exec_lo
	s_and_not1_b32 s0, s6, exec_lo
	s_and_b32 s1, s4, exec_lo
	s_and_b32 s34, s5, exec_lo
	s_or_b32 s6, s0, s1
.LBB167_912:
	s_or_b32 exec_lo, exec_lo, s7
	s_and_saveexec_b32 s0, s6
	s_cbranch_execz .LBB167_915
; %bb.913:
	; divergent unreachable
	s_or_b32 exec_lo, exec_lo, s0
	s_and_saveexec_b32 s0, s34
	s_delay_alu instid0(SALU_CYCLE_1)
	s_xor_b32 s0, exec_lo, s0
	s_cbranch_execnz .LBB167_916
.LBB167_914:
	s_or_b32 exec_lo, exec_lo, s0
	s_and_saveexec_b32 s0, s8
	s_cbranch_execnz .LBB167_917
	s_branch .LBB167_954
.LBB167_915:
	s_or_b32 exec_lo, exec_lo, s0
	s_and_saveexec_b32 s0, s34
	s_delay_alu instid0(SALU_CYCLE_1)
	s_xor_b32 s0, exec_lo, s0
	s_cbranch_execz .LBB167_914
.LBB167_916:
	s_cmp_lg_u32 s2, 0
	s_cselect_b32 s1, -1, 0
	s_delay_alu instid0(SALU_CYCLE_1)
	v_cndmask_b32_e64 v2, 0, 1, s1
	global_store_b8 v[0:1], v2, off
	s_or_b32 exec_lo, exec_lo, s0
	s_and_saveexec_b32 s0, s8
	s_cbranch_execz .LBB167_954
.LBB167_917:
	v_cmp_lt_i16_e64 s0, s3, 5
	s_delay_alu instid0(VALU_DEP_1)
	s_and_b32 vcc_lo, exec_lo, s0
	s_mov_b32 s0, -1
	s_cbranch_vccnz .LBB167_938
; %bb.918:
	v_cmp_lt_i16_e64 s0, s3, 8
	s_delay_alu instid0(VALU_DEP_1)
	s_and_b32 vcc_lo, exec_lo, s0
	s_mov_b32 s0, -1
	s_cbranch_vccnz .LBB167_928
; %bb.919:
	v_cmp_lt_i16_e64 s0, s3, 9
	s_delay_alu instid0(VALU_DEP_1)
	s_and_b32 vcc_lo, exec_lo, s0
	s_mov_b32 s0, -1
	s_cbranch_vccnz .LBB167_925
; %bb.920:
	v_cmp_gt_i16_e64 s0, s3, 9
	s_delay_alu instid0(VALU_DEP_1)
	s_and_b32 vcc_lo, exec_lo, s0
	s_mov_b32 s0, -1
	s_cbranch_vccz .LBB167_922
; %bb.921:
	v_cvt_f64_u32_e32 v[2:3], s2
	v_mov_b32_e32 v4, 0
	s_mov_b32 s0, 0
	s_delay_alu instid0(VALU_DEP_1)
	v_mov_b32_e32 v5, v4
	global_store_b128 v[0:1], v[2:5], off
.LBB167_922:
	s_and_not1_b32 vcc_lo, exec_lo, s0
	s_cbranch_vccnz .LBB167_924
; %bb.923:
	v_cvt_f32_u32_e32 v2, s2
	v_mov_b32_e32 v3, 0
	global_store_b64 v[0:1], v[2:3], off
.LBB167_924:
	s_mov_b32 s0, 0
.LBB167_925:
	s_delay_alu instid0(SALU_CYCLE_1)
	s_and_not1_b32 vcc_lo, exec_lo, s0
	s_cbranch_vccnz .LBB167_927
; %bb.926:
	v_cvt_f32_u32_e32 v2, s2
	s_delay_alu instid0(VALU_DEP_1) | instskip(NEXT) | instid1(VALU_DEP_1)
	v_cvt_f16_f32_e32 v2, v2
	v_and_b32_e32 v2, 0xffff, v2
	global_store_b32 v[0:1], v2, off
.LBB167_927:
	s_mov_b32 s0, 0
.LBB167_928:
	s_delay_alu instid0(SALU_CYCLE_1)
	s_and_not1_b32 vcc_lo, exec_lo, s0
	s_cbranch_vccnz .LBB167_937
; %bb.929:
	v_cmp_lt_i16_e64 s0, s3, 6
	s_delay_alu instid0(VALU_DEP_1)
	s_and_b32 vcc_lo, exec_lo, s0
	s_mov_b32 s0, -1
	s_cbranch_vccnz .LBB167_935
; %bb.930:
	v_cmp_gt_i16_e64 s0, s3, 6
	s_delay_alu instid0(VALU_DEP_1)
	s_and_b32 vcc_lo, exec_lo, s0
	s_mov_b32 s0, -1
	s_cbranch_vccz .LBB167_932
; %bb.931:
	v_cvt_f64_u32_e32 v[2:3], s2
	s_mov_b32 s0, 0
	global_store_b64 v[0:1], v[2:3], off
.LBB167_932:
	s_and_not1_b32 vcc_lo, exec_lo, s0
	s_cbranch_vccnz .LBB167_934
; %bb.933:
	v_cvt_f32_u32_e32 v2, s2
	global_store_b32 v[0:1], v2, off
.LBB167_934:
	s_mov_b32 s0, 0
.LBB167_935:
	s_delay_alu instid0(SALU_CYCLE_1)
	s_and_not1_b32 vcc_lo, exec_lo, s0
	s_cbranch_vccnz .LBB167_937
; %bb.936:
	v_cvt_f32_u32_e32 v2, s2
	s_delay_alu instid0(VALU_DEP_1)
	v_cvt_f16_f32_e32 v2, v2
	global_store_b16 v[0:1], v2, off
.LBB167_937:
	s_mov_b32 s0, 0
.LBB167_938:
	s_delay_alu instid0(SALU_CYCLE_1)
	s_and_not1_b32 vcc_lo, exec_lo, s0
	s_cbranch_vccnz .LBB167_954
; %bb.939:
	v_cmp_lt_i16_e64 s0, s3, 2
	s_delay_alu instid0(VALU_DEP_1)
	s_and_b32 vcc_lo, exec_lo, s0
	s_mov_b32 s0, -1
	s_cbranch_vccnz .LBB167_949
; %bb.940:
	v_cmp_lt_i16_e64 s0, s3, 3
	s_delay_alu instid0(VALU_DEP_1)
	s_and_b32 vcc_lo, exec_lo, s0
	s_mov_b32 s0, -1
	s_cbranch_vccnz .LBB167_946
; %bb.941:
	v_cmp_gt_i16_e64 s0, s3, 3
	s_delay_alu instid0(VALU_DEP_1)
	s_and_b32 vcc_lo, exec_lo, s0
	s_mov_b32 s0, -1
	s_cbranch_vccz .LBB167_943
; %bb.942:
	v_dual_mov_b32 v2, s2 :: v_dual_mov_b32 v3, 0
	s_mov_b32 s0, 0
	global_store_b64 v[0:1], v[2:3], off
.LBB167_943:
	s_and_not1_b32 vcc_lo, exec_lo, s0
	s_cbranch_vccnz .LBB167_945
; %bb.944:
	v_mov_b32_e32 v2, s2
	global_store_b32 v[0:1], v2, off
.LBB167_945:
	s_mov_b32 s0, 0
.LBB167_946:
	s_delay_alu instid0(SALU_CYCLE_1)
	s_and_not1_b32 vcc_lo, exec_lo, s0
	s_cbranch_vccnz .LBB167_948
; %bb.947:
	v_mov_b32_e32 v2, s2
	global_store_b16 v[0:1], v2, off
.LBB167_948:
	s_mov_b32 s0, 0
.LBB167_949:
	s_delay_alu instid0(SALU_CYCLE_1)
	s_and_not1_b32 vcc_lo, exec_lo, s0
	s_cbranch_vccnz .LBB167_954
; %bb.950:
	v_cmp_gt_i16_e64 s0, s3, 0
	s_delay_alu instid0(VALU_DEP_1)
	s_and_b32 vcc_lo, exec_lo, s0
	s_mov_b32 s0, -1
	s_cbranch_vccz .LBB167_952
; %bb.951:
	v_mov_b32_e32 v2, s2
	s_mov_b32 s0, 0
	global_store_b8 v[0:1], v2, off
.LBB167_952:
	s_and_not1_b32 vcc_lo, exec_lo, s0
	s_cbranch_vccnz .LBB167_954
; %bb.953:
	v_mov_b32_e32 v2, s2
	global_store_b8 v[0:1], v2, off
	s_nop 0
	s_sendmsg sendmsg(MSG_DEALLOC_VGPRS)
	s_endpgm
.LBB167_954:
	s_nop 0
	s_sendmsg sendmsg(MSG_DEALLOC_VGPRS)
	s_endpgm
.LBB167_955:
	s_mov_b32 s0, 0
	s_branch .LBB167_970
.LBB167_956:
	s_mov_b32 s0, 0
	s_branch .LBB167_966
.LBB167_957:
	s_cbranch_execnz .LBB167_981
; %bb.958:
	s_or_b32 s4, s4, exec_lo
	s_cbranch_execz .LBB167_860
	s_branch .LBB167_861
.LBB167_959:
	s_mov_b32 s0, 0
.LBB167_960:
	s_and_b32 vcc_lo, exec_lo, s1
	s_cbranch_vccz .LBB167_965
; %bb.961:
	v_cmp_eq_u16_e64 s0, s3, 44
	s_delay_alu instid0(VALU_DEP_1)
	s_and_b32 vcc_lo, exec_lo, s0
	s_mov_b32 s0, -1
	s_cbranch_vccz .LBB167_965
; %bb.962:
	v_cvt_f32_u32_e32 v2, s2
	s_delay_alu instid0(VALU_DEP_1) | instskip(SKIP_1) | instid1(VALU_DEP_2)
	v_readfirstlane_b32 s1, v2
	v_mov_b32_e32 v2, 0xff
	s_lshr_b32 s0, s1, 23
	s_delay_alu instid0(SALU_CYCLE_1)
	s_cmpk_eq_i32 s0, 0xff
	s_cbranch_scc1 .LBB167_964
; %bb.963:
	s_bitcmp1_b32 s1, 22
	s_cselect_b32 s8, -1, 0
	s_and_b32 s1, s1, 0x3fffff
	s_delay_alu instid0(SALU_CYCLE_1) | instskip(NEXT) | instid1(SALU_CYCLE_1)
	s_or_b32 s1, s0, s1
	s_cmp_lg_u32 s1, 0
	s_cselect_b32 s1, -1, 0
	s_delay_alu instid0(SALU_CYCLE_1) | instskip(NEXT) | instid1(SALU_CYCLE_1)
	s_and_b32 s1, s8, s1
	v_cndmask_b32_e64 v2, 0, 1, s1
	s_delay_alu instid0(VALU_DEP_1)
	v_add_nc_u32_e32 v2, s0, v2
.LBB167_964:
	s_mov_b32 s0, 0
	global_store_b8 v[0:1], v2, off
.LBB167_965:
	s_mov_b32 s1, 0
.LBB167_966:
	s_delay_alu instid0(SALU_CYCLE_1)
	s_and_b32 vcc_lo, exec_lo, s1
	s_cbranch_vccz .LBB167_969
; %bb.967:
	v_cmp_eq_u16_e64 s0, s3, 29
	s_delay_alu instid0(VALU_DEP_1)
	s_and_b32 vcc_lo, exec_lo, s0
	s_mov_b32 s0, -1
	s_cbranch_vccz .LBB167_969
; %bb.968:
	v_dual_mov_b32 v2, s2 :: v_dual_mov_b32 v3, 0
	s_mov_b32 s0, 0
	global_store_b64 v[0:1], v[2:3], off
.LBB167_969:
	s_mov_b32 s1, 0
.LBB167_970:
	s_delay_alu instid0(SALU_CYCLE_1)
	s_and_b32 vcc_lo, exec_lo, s1
	s_cbranch_vccz .LBB167_989
; %bb.971:
	v_cmp_lt_i16_e64 s1, s3, 27
	s_delay_alu instid0(VALU_DEP_1)
	s_and_b32 vcc_lo, exec_lo, s1
	s_mov_b32 s1, -1
	s_cbranch_vccnz .LBB167_977
; %bb.972:
	v_cmp_gt_i16_e64 s1, s3, 27
	s_delay_alu instid0(VALU_DEP_1)
	s_and_b32 vcc_lo, exec_lo, s1
	s_mov_b32 s1, -1
	s_cbranch_vccz .LBB167_974
; %bb.973:
	v_mov_b32_e32 v2, s2
	s_mov_b32 s1, 0
	global_store_b32 v[0:1], v2, off
.LBB167_974:
	s_and_not1_b32 vcc_lo, exec_lo, s1
	s_cbranch_vccnz .LBB167_976
; %bb.975:
	v_mov_b32_e32 v2, s2
	global_store_b16 v[0:1], v2, off
.LBB167_976:
	s_mov_b32 s1, 0
.LBB167_977:
	s_delay_alu instid0(SALU_CYCLE_1)
	s_and_not1_b32 vcc_lo, exec_lo, s1
	s_cbranch_vccnz .LBB167_989
; %bb.978:
	v_cvt_f32_u32_e32 v2, s2
	v_mov_b32_e32 v4, 0x80
	s_delay_alu instid0(VALU_DEP_2)
	v_cmp_lt_u32_e32 vcc_lo, 0x437fffff, v2
	v_readfirstlane_b32 s1, v2
	s_cbranch_vccnz .LBB167_988
; %bb.979:
	s_delay_alu instid0(VALU_DEP_1)
	s_cmp_gt_u32 s1, 0x3bffffff
	s_cbranch_scc0 .LBB167_983
; %bb.980:
	s_bfe_u32 s8, s1, 0x10014
	s_delay_alu instid0(SALU_CYCLE_1) | instskip(SKIP_2) | instid1(SALU_CYCLE_1)
	s_add_i32 s1, s1, s8
	s_mov_b32 s8, 0
	s_add_i32 s1, s1, 0x487ffff
	s_lshr_b32 s9, s1, 20
	s_mov_b32 s1, -1
	s_branch .LBB167_984
.LBB167_981:
	s_trap 2
	s_sendmsg_rtn_b32 s0, sendmsg(MSG_RTN_GET_DOORBELL)
	s_mov_b32 ttmp2, m0
	s_waitcnt lgkmcnt(0)
	s_and_b32 s0, s0, 0x3ff
	s_delay_alu instid0(SALU_CYCLE_1) | instskip(NEXT) | instid1(SALU_CYCLE_1)
	s_bitset1_b32 s0, 10
	s_mov_b32 m0, s0
	s_sendmsg sendmsg(MSG_INTERRUPT)
	s_mov_b32 m0, ttmp2
.LBB167_982:                            ; =>This Inner Loop Header: Depth=1
	s_sethalt 5
	s_branch .LBB167_982
.LBB167_983:
	s_mov_b32 s8, -1
	s_mov_b32 s1, 0
                                        ; implicit-def: $sgpr9
.LBB167_984:
	v_mov_b32_e32 v3, s9
	s_and_not1_b32 vcc_lo, exec_lo, s8
                                        ; implicit-def: $sgpr8
	s_cbranch_vccnz .LBB167_986
; %bb.985:
	v_add_f32_e32 v2, 0x46000000, v2
	s_mov_b32 s8, 0
	s_delay_alu instid0(VALU_DEP_1) | instskip(NEXT) | instid1(VALU_DEP_1)
	v_and_b32_e32 v3, 0xff, v2
	v_cmp_ne_u32_e64 s1, 0, v3
.LBB167_986:
	v_mov_b32_e32 v4, s8
	s_delay_alu instid0(VALU_DEP_2)
	s_and_not1_b32 vcc_lo, exec_lo, s1
	s_cbranch_vccnz .LBB167_988
; %bb.987:
	v_mov_b32_e32 v4, v3
.LBB167_988:
	global_store_b8 v[0:1], v4, off
.LBB167_989:
	s_mov_b32 s1, 0
.LBB167_990:
	s_delay_alu instid0(SALU_CYCLE_1)
	s_and_b32 vcc_lo, exec_lo, s1
	s_cbranch_vccz .LBB167_1036
; %bb.991:
	v_cmp_gt_i16_e64 s1, s3, 22
	s_delay_alu instid0(VALU_DEP_1)
	s_and_b32 vcc_lo, exec_lo, s1
	s_mov_b32 s1, -1
	s_cbranch_vccz .LBB167_1029
; %bb.992:
	v_cmp_lt_i16_e64 s1, s3, 24
	s_delay_alu instid0(VALU_DEP_1)
	s_and_b32 vcc_lo, exec_lo, s1
	s_mov_b32 s1, -1
	s_cbranch_vccnz .LBB167_1016
; %bb.993:
	v_cmp_gt_i16_e64 s1, s3, 24
	s_delay_alu instid0(VALU_DEP_1)
	s_and_b32 vcc_lo, exec_lo, s1
	s_mov_b32 s1, -1
	s_cbranch_vccz .LBB167_1003
; %bb.994:
	v_cvt_f32_u32_e32 v2, s2
	v_mov_b32_e32 v4, 0x80
	s_delay_alu instid0(VALU_DEP_2)
	v_cmp_lt_u32_e32 vcc_lo, 0x477fffff, v2
	v_readfirstlane_b32 s1, v2
	s_cbranch_vccnz .LBB167_1002
; %bb.995:
	s_delay_alu instid0(VALU_DEP_1)
	s_cmp_gt_u32 s1, 0x37ffffff
	s_cbranch_scc0 .LBB167_997
; %bb.996:
	s_bfe_u32 s5, s1, 0x10015
	s_delay_alu instid0(SALU_CYCLE_1) | instskip(SKIP_2) | instid1(SALU_CYCLE_1)
	s_add_i32 s1, s1, s5
	s_mov_b32 s5, 0
	s_add_i32 s1, s1, 0x88fffff
	s_lshr_b32 s8, s1, 21
	s_mov_b32 s1, -1
	s_branch .LBB167_998
.LBB167_997:
	s_mov_b32 s5, -1
	s_mov_b32 s1, 0
                                        ; implicit-def: $sgpr8
.LBB167_998:
	v_mov_b32_e32 v3, s8
	s_and_not1_b32 vcc_lo, exec_lo, s5
                                        ; implicit-def: $sgpr5
	s_cbranch_vccnz .LBB167_1000
; %bb.999:
	v_add_f32_e32 v2, 0x42800000, v2
	s_mov_b32 s5, 0
	s_delay_alu instid0(VALU_DEP_1) | instskip(NEXT) | instid1(VALU_DEP_1)
	v_and_b32_e32 v3, 0xff, v2
	v_cmp_ne_u32_e64 s1, 0, v3
.LBB167_1000:
	v_mov_b32_e32 v4, s5
	s_delay_alu instid0(VALU_DEP_2)
	s_and_not1_b32 vcc_lo, exec_lo, s1
	s_cbranch_vccnz .LBB167_1002
; %bb.1001:
	v_mov_b32_e32 v4, v3
.LBB167_1002:
	s_mov_b32 s1, 0
	global_store_b8 v[0:1], v4, off
.LBB167_1003:
	s_and_b32 vcc_lo, exec_lo, s1
	s_cbranch_vccz .LBB167_1015
; %bb.1004:
	v_cvt_f32_u32_e32 v2, s2
	s_delay_alu instid0(VALU_DEP_1)
	v_cmp_gt_u32_e32 vcc_lo, 0x43f00000, v2
	v_readfirstlane_b32 s1, v2
	s_cbranch_vccz .LBB167_1007
; %bb.1005:
	s_delay_alu instid0(VALU_DEP_1)
	s_cmp_gt_u32 s1, 0x3c7fffff
	s_cbranch_scc0 .LBB167_1008
; %bb.1006:
	s_bfe_u32 s5, s1, 0x10014
	s_delay_alu instid0(SALU_CYCLE_1) | instskip(NEXT) | instid1(SALU_CYCLE_1)
	s_add_i32 s5, s1, s5
	s_add_i32 s5, s5, 0x407ffff
	s_delay_alu instid0(SALU_CYCLE_1)
	s_and_b32 s8, s5, 0xff00000
	s_lshr_b32 s5, s5, 20
	s_cmp_lg_u32 s8, 0x7f00000
	s_cselect_b32 s8, s5, 0x7e
	s_mov_b32 s5, 0
	s_branch .LBB167_1009
.LBB167_1007:
	s_mov_b32 s5, -1
                                        ; implicit-def: $vgpr3
	s_branch .LBB167_1012
.LBB167_1008:
	s_mov_b32 s5, -1
                                        ; implicit-def: $sgpr8
.LBB167_1009:
	v_mov_b32_e32 v3, s8
	s_and_not1_b32 vcc_lo, exec_lo, s5
	s_cbranch_vccnz .LBB167_1011
; %bb.1010:
	v_add_f32_e32 v3, 0x46800000, v2
.LBB167_1011:
	s_mov_b32 s5, 0
.LBB167_1012:
	s_delay_alu instid0(SALU_CYCLE_1)
	s_and_not1_b32 vcc_lo, exec_lo, s5
	s_cbranch_vccnz .LBB167_1014
; %bb.1013:
	s_cmp_gt_u32 s1, 0x7f800000
	s_movk_i32 s1, 0x7f
	s_delay_alu instid0(SALU_CYCLE_1) | instskip(NEXT) | instid1(SALU_CYCLE_1)
	s_cselect_b32 s1, s1, 0x7e
	v_mov_b32_e32 v3, s1
.LBB167_1014:
	global_store_b8 v[0:1], v3, off
.LBB167_1015:
	s_mov_b32 s1, 0
.LBB167_1016:
	s_delay_alu instid0(SALU_CYCLE_1)
	s_and_not1_b32 vcc_lo, exec_lo, s1
	s_cbranch_vccnz .LBB167_1028
; %bb.1017:
	v_cvt_f32_u32_e32 v2, s2
	s_delay_alu instid0(VALU_DEP_1)
	v_cmp_gt_u32_e32 vcc_lo, 0x47800000, v2
	v_readfirstlane_b32 s1, v2
	s_cbranch_vccz .LBB167_1020
; %bb.1018:
	s_delay_alu instid0(VALU_DEP_1)
	s_cmp_gt_u32 s1, 0x387fffff
	s_cbranch_scc0 .LBB167_1021
; %bb.1019:
	s_bfe_u32 s5, s1, 0x10015
	s_delay_alu instid0(SALU_CYCLE_1) | instskip(NEXT) | instid1(SALU_CYCLE_1)
	s_add_i32 s5, s1, s5
	s_add_i32 s5, s5, 0x80fffff
	s_delay_alu instid0(SALU_CYCLE_1)
	s_lshr_b32 s8, s5, 21
	s_mov_b32 s5, 0
	s_branch .LBB167_1022
.LBB167_1020:
	s_mov_b32 s5, -1
                                        ; implicit-def: $vgpr3
	s_branch .LBB167_1025
.LBB167_1021:
	s_mov_b32 s5, -1
                                        ; implicit-def: $sgpr8
.LBB167_1022:
	v_mov_b32_e32 v3, s8
	s_and_not1_b32 vcc_lo, exec_lo, s5
	s_cbranch_vccnz .LBB167_1024
; %bb.1023:
	v_add_f32_e32 v3, 0x43000000, v2
.LBB167_1024:
	s_mov_b32 s5, 0
.LBB167_1025:
	s_delay_alu instid0(SALU_CYCLE_1)
	s_and_not1_b32 vcc_lo, exec_lo, s5
	s_cbranch_vccnz .LBB167_1027
; %bb.1026:
	s_cmp_gt_u32 s1, 0x7f800000
	s_movk_i32 s1, 0x7f
	s_delay_alu instid0(SALU_CYCLE_1) | instskip(NEXT) | instid1(SALU_CYCLE_1)
	s_cselect_b32 s1, s1, 0x7c
	v_mov_b32_e32 v3, s1
.LBB167_1027:
	global_store_b8 v[0:1], v3, off
.LBB167_1028:
	s_mov_b32 s1, 0
.LBB167_1029:
	s_delay_alu instid0(SALU_CYCLE_1)
	s_and_not1_b32 vcc_lo, exec_lo, s1
	s_mov_b32 s5, 0
	s_cbranch_vccnz .LBB167_1036
; %bb.1030:
	v_cmp_gt_i16_e64 s1, s3, 14
	s_delay_alu instid0(VALU_DEP_1)
	s_and_b32 vcc_lo, exec_lo, s1
	s_mov_b32 s1, -1
	s_cbranch_vccz .LBB167_1034
; %bb.1031:
	v_cmp_eq_u16_e64 s0, s3, 15
	s_delay_alu instid0(VALU_DEP_1)
	s_and_b32 vcc_lo, exec_lo, s0
	s_mov_b32 s0, -1
	s_cbranch_vccz .LBB167_1033
; %bb.1032:
	v_cvt_f32_u32_e32 v2, s2
	s_mov_b32 s0, 0
	s_delay_alu instid0(VALU_DEP_1) | instskip(NEXT) | instid1(VALU_DEP_1)
	v_bfe_u32 v3, v2, 16, 1
	v_add_nc_u32_e32 v2, v2, v3
	s_delay_alu instid0(VALU_DEP_1)
	v_add_nc_u32_e32 v2, 0x7fff, v2
	global_store_d16_hi_b16 v[0:1], v2, off
.LBB167_1033:
	s_mov_b32 s1, 0
.LBB167_1034:
	s_delay_alu instid0(SALU_CYCLE_1)
	s_and_b32 vcc_lo, exec_lo, s1
	s_cbranch_vccz .LBB167_1036
; %bb.1035:
	v_cmp_ne_u16_e64 s0, s3, 11
	s_mov_b32 s5, -1
.LBB167_1036:
	s_delay_alu instid0(VALU_DEP_1)
	s_and_b32 vcc_lo, exec_lo, s0
	s_cbranch_vccnz .LBB167_1038
.LBB167_1037:
	s_mov_b32 s0, 0
	s_branch .LBB167_911
.LBB167_1038:
	s_cbranch_execnz .LBB167_1040
; %bb.1039:
	s_mov_b32 s5, 0
	s_or_b32 s4, s4, exec_lo
	s_branch .LBB167_1037
.LBB167_1040:
	s_trap 2
	s_sendmsg_rtn_b32 s0, sendmsg(MSG_RTN_GET_DOORBELL)
	s_mov_b32 ttmp2, m0
	s_waitcnt lgkmcnt(0)
	s_and_b32 s0, s0, 0x3ff
	s_delay_alu instid0(SALU_CYCLE_1) | instskip(NEXT) | instid1(SALU_CYCLE_1)
	s_bitset1_b32 s0, 10
	s_mov_b32 m0, s0
	s_sendmsg sendmsg(MSG_INTERRUPT)
	s_mov_b32 m0, ttmp2
.LBB167_1041:                           ; =>This Inner Loop Header: Depth=1
	s_sethalt 5
	s_branch .LBB167_1041
	.section	.rodata,"a",@progbits
	.p2align	6, 0x0
	.amdhsa_kernel _ZN2at6native32elementwise_kernel_manual_unrollILi128ELi4EZNS0_15gpu_kernel_implINS0_11FillFunctorIjEEEEvRNS_18TensorIteratorBaseERKT_EUlibE0_EEviT1_
		.amdhsa_group_segment_fixed_size 0
		.amdhsa_private_segment_fixed_size 0
		.amdhsa_kernarg_size 288
		.amdhsa_user_sgpr_count 15
		.amdhsa_user_sgpr_dispatch_ptr 0
		.amdhsa_user_sgpr_queue_ptr 0
		.amdhsa_user_sgpr_kernarg_segment_ptr 1
		.amdhsa_user_sgpr_dispatch_id 0
		.amdhsa_user_sgpr_private_segment_size 0
		.amdhsa_wavefront_size32 1
		.amdhsa_uses_dynamic_stack 0
		.amdhsa_enable_private_segment 0
		.amdhsa_system_sgpr_workgroup_id_x 1
		.amdhsa_system_sgpr_workgroup_id_y 0
		.amdhsa_system_sgpr_workgroup_id_z 0
		.amdhsa_system_sgpr_workgroup_info 0
		.amdhsa_system_vgpr_workitem_id 0
		.amdhsa_next_free_vgpr 28
		.amdhsa_next_free_sgpr 68
		.amdhsa_reserve_vcc 1
		.amdhsa_float_round_mode_32 0
		.amdhsa_float_round_mode_16_64 0
		.amdhsa_float_denorm_mode_32 3
		.amdhsa_float_denorm_mode_16_64 3
		.amdhsa_dx10_clamp 1
		.amdhsa_ieee_mode 1
		.amdhsa_fp16_overflow 0
		.amdhsa_workgroup_processor_mode 1
		.amdhsa_memory_ordered 1
		.amdhsa_forward_progress 0
		.amdhsa_shared_vgpr_count 0
		.amdhsa_exception_fp_ieee_invalid_op 0
		.amdhsa_exception_fp_denorm_src 0
		.amdhsa_exception_fp_ieee_div_zero 0
		.amdhsa_exception_fp_ieee_overflow 0
		.amdhsa_exception_fp_ieee_underflow 0
		.amdhsa_exception_fp_ieee_inexact 0
		.amdhsa_exception_int_div_zero 0
	.end_amdhsa_kernel
	.section	.text._ZN2at6native32elementwise_kernel_manual_unrollILi128ELi4EZNS0_15gpu_kernel_implINS0_11FillFunctorIjEEEEvRNS_18TensorIteratorBaseERKT_EUlibE0_EEviT1_,"axG",@progbits,_ZN2at6native32elementwise_kernel_manual_unrollILi128ELi4EZNS0_15gpu_kernel_implINS0_11FillFunctorIjEEEEvRNS_18TensorIteratorBaseERKT_EUlibE0_EEviT1_,comdat
.Lfunc_end167:
	.size	_ZN2at6native32elementwise_kernel_manual_unrollILi128ELi4EZNS0_15gpu_kernel_implINS0_11FillFunctorIjEEEEvRNS_18TensorIteratorBaseERKT_EUlibE0_EEviT1_, .Lfunc_end167-_ZN2at6native32elementwise_kernel_manual_unrollILi128ELi4EZNS0_15gpu_kernel_implINS0_11FillFunctorIjEEEEvRNS_18TensorIteratorBaseERKT_EUlibE0_EEviT1_
                                        ; -- End function
	.section	.AMDGPU.csdata,"",@progbits
; Kernel info:
; codeLenInByte = 19792
; NumSgprs: 70
; NumVgprs: 28
; ScratchSize: 0
; MemoryBound: 0
; FloatMode: 240
; IeeeMode: 1
; LDSByteSize: 0 bytes/workgroup (compile time only)
; SGPRBlocks: 8
; VGPRBlocks: 3
; NumSGPRsForWavesPerEU: 70
; NumVGPRsForWavesPerEU: 28
; Occupancy: 16
; WaveLimiterHint : 1
; COMPUTE_PGM_RSRC2:SCRATCH_EN: 0
; COMPUTE_PGM_RSRC2:USER_SGPR: 15
; COMPUTE_PGM_RSRC2:TRAP_HANDLER: 0
; COMPUTE_PGM_RSRC2:TGID_X_EN: 1
; COMPUTE_PGM_RSRC2:TGID_Y_EN: 0
; COMPUTE_PGM_RSRC2:TGID_Z_EN: 0
; COMPUTE_PGM_RSRC2:TIDIG_COMP_CNT: 0
	.section	.text._ZN2at6native29vectorized_elementwise_kernelILi16ENS0_11FillFunctorImEESt5arrayIPcLm1EEEEviT0_T1_,"axG",@progbits,_ZN2at6native29vectorized_elementwise_kernelILi16ENS0_11FillFunctorImEESt5arrayIPcLm1EEEEviT0_T1_,comdat
	.protected	_ZN2at6native29vectorized_elementwise_kernelILi16ENS0_11FillFunctorImEESt5arrayIPcLm1EEEEviT0_T1_ ; -- Begin function _ZN2at6native29vectorized_elementwise_kernelILi16ENS0_11FillFunctorImEESt5arrayIPcLm1EEEEviT0_T1_
	.globl	_ZN2at6native29vectorized_elementwise_kernelILi16ENS0_11FillFunctorImEESt5arrayIPcLm1EEEEviT0_T1_
	.p2align	8
	.type	_ZN2at6native29vectorized_elementwise_kernelILi16ENS0_11FillFunctorImEESt5arrayIPcLm1EEEEviT0_T1_,@function
_ZN2at6native29vectorized_elementwise_kernelILi16ENS0_11FillFunctorImEESt5arrayIPcLm1EEEEviT0_T1_: ; @_ZN2at6native29vectorized_elementwise_kernelILi16ENS0_11FillFunctorImEESt5arrayIPcLm1EEEEviT0_T1_
; %bb.0:
	s_clause 0x1
	s_load_b32 s5, s[0:1], 0x0
	s_load_b128 s[0:3], s[0:1], 0x8
	s_lshl_b32 s4, s15, 10
	s_waitcnt lgkmcnt(0)
	s_sub_i32 s6, s5, s4
	s_mov_b32 s5, -1
	s_cmpk_gt_i32 s6, 0x3ff
	s_cbranch_scc0 .LBB168_2
; %bb.1:
	s_mov_b32 s8, s0
	s_ashr_i32 s5, s4, 31
	s_mov_b32 s9, s1
	s_mov_b32 s10, s0
	;; [unrolled: 1-line block ×3, first 2 shown]
	s_delay_alu instid0(SALU_CYCLE_1)
	v_dual_mov_b32 v1, s8 :: v_dual_mov_b32 v4, s11
	s_lshl_b64 s[12:13], s[4:5], 3
	v_dual_mov_b32 v2, s9 :: v_dual_lshlrev_b32 v5, 5, v0
	v_mov_b32_e32 v3, s10
	s_add_u32 s8, s2, s12
	s_addc_u32 s9, s3, s13
	s_mov_b32 s5, 0
	s_clause 0x1
	global_store_b128 v5, v[1:4], s[8:9]
	global_store_b128 v5, v[1:4], s[8:9] offset:16
.LBB168_2:
	s_and_not1_b32 vcc_lo, exec_lo, s5
	s_cbranch_vccnz .LBB168_8
; %bb.3:
	s_mov_b32 s5, exec_lo
	v_cmpx_gt_i32_e64 s6, v0
	s_cbranch_execnz .LBB168_9
; %bb.4:
	s_or_b32 exec_lo, exec_lo, s5
	s_delay_alu instid0(SALU_CYCLE_1)
	s_mov_b32 s5, exec_lo
	v_cmpx_gt_i32_e64 s6, v0
	s_cbranch_execnz .LBB168_10
.LBB168_5:
	s_or_b32 exec_lo, exec_lo, s5
	s_delay_alu instid0(SALU_CYCLE_1)
	s_mov_b32 s5, exec_lo
	v_cmpx_gt_i32_e64 s6, v0
	s_cbranch_execnz .LBB168_11
.LBB168_6:
	s_or_b32 exec_lo, exec_lo, s5
	s_delay_alu instid0(SALU_CYCLE_1)
	s_mov_b32 s5, exec_lo
	v_cmpx_gt_i32_e64 s6, v0
	s_cbranch_execz .LBB168_8
.LBB168_7:
	v_dual_mov_b32 v1, 0 :: v_dual_add_nc_u32 v0, s4, v0
	v_dual_mov_b32 v3, s1 :: v_dual_mov_b32 v2, s0
	s_delay_alu instid0(VALU_DEP_2) | instskip(NEXT) | instid1(VALU_DEP_1)
	v_lshlrev_b64 v[0:1], 3, v[0:1]
	v_add_co_u32 v0, vcc_lo, s2, v0
	s_delay_alu instid0(VALU_DEP_2)
	v_add_co_ci_u32_e32 v1, vcc_lo, s3, v1, vcc_lo
	global_store_b64 v[0:1], v[2:3], off
.LBB168_8:
	s_nop 0
	s_sendmsg sendmsg(MSG_DEALLOC_VGPRS)
	s_endpgm
.LBB168_9:
	v_or_b32_e32 v1, s4, v0
	v_dual_mov_b32 v2, 0 :: v_dual_mov_b32 v3, s0
	v_or_b32_e32 v0, 0x100, v0
	v_mov_b32_e32 v4, s1
	s_delay_alu instid0(VALU_DEP_3) | instskip(NEXT) | instid1(VALU_DEP_1)
	v_lshlrev_b64 v[1:2], 3, v[1:2]
	v_add_co_u32 v1, vcc_lo, s2, v1
	s_delay_alu instid0(VALU_DEP_2) | instskip(SKIP_2) | instid1(SALU_CYCLE_1)
	v_add_co_ci_u32_e32 v2, vcc_lo, s3, v2, vcc_lo
	global_store_b64 v[1:2], v[3:4], off
	s_or_b32 exec_lo, exec_lo, s5
	s_mov_b32 s5, exec_lo
	v_cmpx_gt_i32_e64 s6, v0
	s_cbranch_execz .LBB168_5
.LBB168_10:
	v_dual_mov_b32 v2, 0 :: v_dual_add_nc_u32 v1, s4, v0
	v_dual_mov_b32 v4, s1 :: v_dual_mov_b32 v3, s0
	v_add_nc_u32_e32 v0, 0x100, v0
	s_delay_alu instid0(VALU_DEP_3) | instskip(NEXT) | instid1(VALU_DEP_1)
	v_lshlrev_b64 v[1:2], 3, v[1:2]
	v_add_co_u32 v1, vcc_lo, s2, v1
	s_delay_alu instid0(VALU_DEP_2) | instskip(SKIP_2) | instid1(SALU_CYCLE_1)
	v_add_co_ci_u32_e32 v2, vcc_lo, s3, v2, vcc_lo
	global_store_b64 v[1:2], v[3:4], off
	s_or_b32 exec_lo, exec_lo, s5
	s_mov_b32 s5, exec_lo
	v_cmpx_gt_i32_e64 s6, v0
	s_cbranch_execz .LBB168_6
.LBB168_11:
	v_dual_mov_b32 v2, 0 :: v_dual_add_nc_u32 v1, s4, v0
	v_dual_mov_b32 v4, s1 :: v_dual_mov_b32 v3, s0
	v_add_nc_u32_e32 v0, 0x100, v0
	s_delay_alu instid0(VALU_DEP_3) | instskip(NEXT) | instid1(VALU_DEP_1)
	v_lshlrev_b64 v[1:2], 3, v[1:2]
	v_add_co_u32 v1, vcc_lo, s2, v1
	s_delay_alu instid0(VALU_DEP_2) | instskip(SKIP_2) | instid1(SALU_CYCLE_1)
	v_add_co_ci_u32_e32 v2, vcc_lo, s3, v2, vcc_lo
	global_store_b64 v[1:2], v[3:4], off
	s_or_b32 exec_lo, exec_lo, s5
	s_mov_b32 s5, exec_lo
	v_cmpx_gt_i32_e64 s6, v0
	s_cbranch_execnz .LBB168_7
	s_branch .LBB168_8
	.section	.rodata,"a",@progbits
	.p2align	6, 0x0
	.amdhsa_kernel _ZN2at6native29vectorized_elementwise_kernelILi16ENS0_11FillFunctorImEESt5arrayIPcLm1EEEEviT0_T1_
		.amdhsa_group_segment_fixed_size 0
		.amdhsa_private_segment_fixed_size 0
		.amdhsa_kernarg_size 24
		.amdhsa_user_sgpr_count 15
		.amdhsa_user_sgpr_dispatch_ptr 0
		.amdhsa_user_sgpr_queue_ptr 0
		.amdhsa_user_sgpr_kernarg_segment_ptr 1
		.amdhsa_user_sgpr_dispatch_id 0
		.amdhsa_user_sgpr_private_segment_size 0
		.amdhsa_wavefront_size32 1
		.amdhsa_uses_dynamic_stack 0
		.amdhsa_enable_private_segment 0
		.amdhsa_system_sgpr_workgroup_id_x 1
		.amdhsa_system_sgpr_workgroup_id_y 0
		.amdhsa_system_sgpr_workgroup_id_z 0
		.amdhsa_system_sgpr_workgroup_info 0
		.amdhsa_system_vgpr_workitem_id 0
		.amdhsa_next_free_vgpr 6
		.amdhsa_next_free_sgpr 16
		.amdhsa_reserve_vcc 1
		.amdhsa_float_round_mode_32 0
		.amdhsa_float_round_mode_16_64 0
		.amdhsa_float_denorm_mode_32 3
		.amdhsa_float_denorm_mode_16_64 3
		.amdhsa_dx10_clamp 1
		.amdhsa_ieee_mode 1
		.amdhsa_fp16_overflow 0
		.amdhsa_workgroup_processor_mode 1
		.amdhsa_memory_ordered 1
		.amdhsa_forward_progress 0
		.amdhsa_shared_vgpr_count 0
		.amdhsa_exception_fp_ieee_invalid_op 0
		.amdhsa_exception_fp_denorm_src 0
		.amdhsa_exception_fp_ieee_div_zero 0
		.amdhsa_exception_fp_ieee_overflow 0
		.amdhsa_exception_fp_ieee_underflow 0
		.amdhsa_exception_fp_ieee_inexact 0
		.amdhsa_exception_int_div_zero 0
	.end_amdhsa_kernel
	.section	.text._ZN2at6native29vectorized_elementwise_kernelILi16ENS0_11FillFunctorImEESt5arrayIPcLm1EEEEviT0_T1_,"axG",@progbits,_ZN2at6native29vectorized_elementwise_kernelILi16ENS0_11FillFunctorImEESt5arrayIPcLm1EEEEviT0_T1_,comdat
.Lfunc_end168:
	.size	_ZN2at6native29vectorized_elementwise_kernelILi16ENS0_11FillFunctorImEESt5arrayIPcLm1EEEEviT0_T1_, .Lfunc_end168-_ZN2at6native29vectorized_elementwise_kernelILi16ENS0_11FillFunctorImEESt5arrayIPcLm1EEEEviT0_T1_
                                        ; -- End function
	.section	.AMDGPU.csdata,"",@progbits
; Kernel info:
; codeLenInByte = 528
; NumSgprs: 18
; NumVgprs: 6
; ScratchSize: 0
; MemoryBound: 0
; FloatMode: 240
; IeeeMode: 1
; LDSByteSize: 0 bytes/workgroup (compile time only)
; SGPRBlocks: 2
; VGPRBlocks: 0
; NumSGPRsForWavesPerEU: 18
; NumVGPRsForWavesPerEU: 6
; Occupancy: 16
; WaveLimiterHint : 0
; COMPUTE_PGM_RSRC2:SCRATCH_EN: 0
; COMPUTE_PGM_RSRC2:USER_SGPR: 15
; COMPUTE_PGM_RSRC2:TRAP_HANDLER: 0
; COMPUTE_PGM_RSRC2:TGID_X_EN: 1
; COMPUTE_PGM_RSRC2:TGID_Y_EN: 0
; COMPUTE_PGM_RSRC2:TGID_Z_EN: 0
; COMPUTE_PGM_RSRC2:TIDIG_COMP_CNT: 0
	.section	.text._ZN2at6native29vectorized_elementwise_kernelILi8ENS0_11FillFunctorImEESt5arrayIPcLm1EEEEviT0_T1_,"axG",@progbits,_ZN2at6native29vectorized_elementwise_kernelILi8ENS0_11FillFunctorImEESt5arrayIPcLm1EEEEviT0_T1_,comdat
	.protected	_ZN2at6native29vectorized_elementwise_kernelILi8ENS0_11FillFunctorImEESt5arrayIPcLm1EEEEviT0_T1_ ; -- Begin function _ZN2at6native29vectorized_elementwise_kernelILi8ENS0_11FillFunctorImEESt5arrayIPcLm1EEEEviT0_T1_
	.globl	_ZN2at6native29vectorized_elementwise_kernelILi8ENS0_11FillFunctorImEESt5arrayIPcLm1EEEEviT0_T1_
	.p2align	8
	.type	_ZN2at6native29vectorized_elementwise_kernelILi8ENS0_11FillFunctorImEESt5arrayIPcLm1EEEEviT0_T1_,@function
_ZN2at6native29vectorized_elementwise_kernelILi8ENS0_11FillFunctorImEESt5arrayIPcLm1EEEEviT0_T1_: ; @_ZN2at6native29vectorized_elementwise_kernelILi8ENS0_11FillFunctorImEESt5arrayIPcLm1EEEEviT0_T1_
; %bb.0:
	s_clause 0x1
	s_load_b32 s5, s[0:1], 0x0
	s_load_b128 s[0:3], s[0:1], 0x8
	s_lshl_b32 s4, s15, 10
	s_waitcnt lgkmcnt(0)
	s_sub_i32 s6, s5, s4
	s_mov_b32 s5, -1
	s_cmpk_gt_i32 s6, 0x3ff
	s_cbranch_scc0 .LBB169_2
; %bb.1:
	s_mov_b32 s8, s0
	s_ashr_i32 s5, s4, 31
	s_mov_b32 s9, s1
	s_mov_b32 s10, s0
	;; [unrolled: 1-line block ×3, first 2 shown]
	s_delay_alu instid0(SALU_CYCLE_1)
	v_dual_mov_b32 v1, s8 :: v_dual_mov_b32 v4, s11
	s_lshl_b64 s[12:13], s[4:5], 3
	v_dual_mov_b32 v2, s9 :: v_dual_lshlrev_b32 v5, 5, v0
	v_mov_b32_e32 v3, s10
	s_add_u32 s8, s2, s12
	s_addc_u32 s9, s3, s13
	s_mov_b32 s5, 0
	s_clause 0x1
	global_store_b128 v5, v[1:4], s[8:9]
	global_store_b128 v5, v[1:4], s[8:9] offset:16
.LBB169_2:
	s_and_not1_b32 vcc_lo, exec_lo, s5
	s_cbranch_vccnz .LBB169_8
; %bb.3:
	s_mov_b32 s5, exec_lo
	v_cmpx_gt_i32_e64 s6, v0
	s_cbranch_execnz .LBB169_9
; %bb.4:
	s_or_b32 exec_lo, exec_lo, s5
	s_delay_alu instid0(SALU_CYCLE_1)
	s_mov_b32 s5, exec_lo
	v_cmpx_gt_i32_e64 s6, v0
	s_cbranch_execnz .LBB169_10
.LBB169_5:
	s_or_b32 exec_lo, exec_lo, s5
	s_delay_alu instid0(SALU_CYCLE_1)
	s_mov_b32 s5, exec_lo
	v_cmpx_gt_i32_e64 s6, v0
	s_cbranch_execnz .LBB169_11
.LBB169_6:
	s_or_b32 exec_lo, exec_lo, s5
	s_delay_alu instid0(SALU_CYCLE_1)
	s_mov_b32 s5, exec_lo
	v_cmpx_gt_i32_e64 s6, v0
	s_cbranch_execz .LBB169_8
.LBB169_7:
	v_dual_mov_b32 v1, 0 :: v_dual_add_nc_u32 v0, s4, v0
	v_dual_mov_b32 v3, s1 :: v_dual_mov_b32 v2, s0
	s_delay_alu instid0(VALU_DEP_2) | instskip(NEXT) | instid1(VALU_DEP_1)
	v_lshlrev_b64 v[0:1], 3, v[0:1]
	v_add_co_u32 v0, vcc_lo, s2, v0
	s_delay_alu instid0(VALU_DEP_2)
	v_add_co_ci_u32_e32 v1, vcc_lo, s3, v1, vcc_lo
	global_store_b64 v[0:1], v[2:3], off
.LBB169_8:
	s_nop 0
	s_sendmsg sendmsg(MSG_DEALLOC_VGPRS)
	s_endpgm
.LBB169_9:
	v_or_b32_e32 v1, s4, v0
	v_dual_mov_b32 v2, 0 :: v_dual_mov_b32 v3, s0
	v_or_b32_e32 v0, 0x100, v0
	v_mov_b32_e32 v4, s1
	s_delay_alu instid0(VALU_DEP_3) | instskip(NEXT) | instid1(VALU_DEP_1)
	v_lshlrev_b64 v[1:2], 3, v[1:2]
	v_add_co_u32 v1, vcc_lo, s2, v1
	s_delay_alu instid0(VALU_DEP_2) | instskip(SKIP_2) | instid1(SALU_CYCLE_1)
	v_add_co_ci_u32_e32 v2, vcc_lo, s3, v2, vcc_lo
	global_store_b64 v[1:2], v[3:4], off
	s_or_b32 exec_lo, exec_lo, s5
	s_mov_b32 s5, exec_lo
	v_cmpx_gt_i32_e64 s6, v0
	s_cbranch_execz .LBB169_5
.LBB169_10:
	v_dual_mov_b32 v2, 0 :: v_dual_add_nc_u32 v1, s4, v0
	v_dual_mov_b32 v4, s1 :: v_dual_mov_b32 v3, s0
	v_add_nc_u32_e32 v0, 0x100, v0
	s_delay_alu instid0(VALU_DEP_3) | instskip(NEXT) | instid1(VALU_DEP_1)
	v_lshlrev_b64 v[1:2], 3, v[1:2]
	v_add_co_u32 v1, vcc_lo, s2, v1
	s_delay_alu instid0(VALU_DEP_2) | instskip(SKIP_2) | instid1(SALU_CYCLE_1)
	v_add_co_ci_u32_e32 v2, vcc_lo, s3, v2, vcc_lo
	global_store_b64 v[1:2], v[3:4], off
	s_or_b32 exec_lo, exec_lo, s5
	s_mov_b32 s5, exec_lo
	v_cmpx_gt_i32_e64 s6, v0
	s_cbranch_execz .LBB169_6
.LBB169_11:
	v_dual_mov_b32 v2, 0 :: v_dual_add_nc_u32 v1, s4, v0
	v_dual_mov_b32 v4, s1 :: v_dual_mov_b32 v3, s0
	v_add_nc_u32_e32 v0, 0x100, v0
	s_delay_alu instid0(VALU_DEP_3) | instskip(NEXT) | instid1(VALU_DEP_1)
	v_lshlrev_b64 v[1:2], 3, v[1:2]
	v_add_co_u32 v1, vcc_lo, s2, v1
	s_delay_alu instid0(VALU_DEP_2) | instskip(SKIP_2) | instid1(SALU_CYCLE_1)
	v_add_co_ci_u32_e32 v2, vcc_lo, s3, v2, vcc_lo
	global_store_b64 v[1:2], v[3:4], off
	s_or_b32 exec_lo, exec_lo, s5
	s_mov_b32 s5, exec_lo
	v_cmpx_gt_i32_e64 s6, v0
	s_cbranch_execnz .LBB169_7
	s_branch .LBB169_8
	.section	.rodata,"a",@progbits
	.p2align	6, 0x0
	.amdhsa_kernel _ZN2at6native29vectorized_elementwise_kernelILi8ENS0_11FillFunctorImEESt5arrayIPcLm1EEEEviT0_T1_
		.amdhsa_group_segment_fixed_size 0
		.amdhsa_private_segment_fixed_size 0
		.amdhsa_kernarg_size 24
		.amdhsa_user_sgpr_count 15
		.amdhsa_user_sgpr_dispatch_ptr 0
		.amdhsa_user_sgpr_queue_ptr 0
		.amdhsa_user_sgpr_kernarg_segment_ptr 1
		.amdhsa_user_sgpr_dispatch_id 0
		.amdhsa_user_sgpr_private_segment_size 0
		.amdhsa_wavefront_size32 1
		.amdhsa_uses_dynamic_stack 0
		.amdhsa_enable_private_segment 0
		.amdhsa_system_sgpr_workgroup_id_x 1
		.amdhsa_system_sgpr_workgroup_id_y 0
		.amdhsa_system_sgpr_workgroup_id_z 0
		.amdhsa_system_sgpr_workgroup_info 0
		.amdhsa_system_vgpr_workitem_id 0
		.amdhsa_next_free_vgpr 6
		.amdhsa_next_free_sgpr 16
		.amdhsa_reserve_vcc 1
		.amdhsa_float_round_mode_32 0
		.amdhsa_float_round_mode_16_64 0
		.amdhsa_float_denorm_mode_32 3
		.amdhsa_float_denorm_mode_16_64 3
		.amdhsa_dx10_clamp 1
		.amdhsa_ieee_mode 1
		.amdhsa_fp16_overflow 0
		.amdhsa_workgroup_processor_mode 1
		.amdhsa_memory_ordered 1
		.amdhsa_forward_progress 0
		.amdhsa_shared_vgpr_count 0
		.amdhsa_exception_fp_ieee_invalid_op 0
		.amdhsa_exception_fp_denorm_src 0
		.amdhsa_exception_fp_ieee_div_zero 0
		.amdhsa_exception_fp_ieee_overflow 0
		.amdhsa_exception_fp_ieee_underflow 0
		.amdhsa_exception_fp_ieee_inexact 0
		.amdhsa_exception_int_div_zero 0
	.end_amdhsa_kernel
	.section	.text._ZN2at6native29vectorized_elementwise_kernelILi8ENS0_11FillFunctorImEESt5arrayIPcLm1EEEEviT0_T1_,"axG",@progbits,_ZN2at6native29vectorized_elementwise_kernelILi8ENS0_11FillFunctorImEESt5arrayIPcLm1EEEEviT0_T1_,comdat
.Lfunc_end169:
	.size	_ZN2at6native29vectorized_elementwise_kernelILi8ENS0_11FillFunctorImEESt5arrayIPcLm1EEEEviT0_T1_, .Lfunc_end169-_ZN2at6native29vectorized_elementwise_kernelILi8ENS0_11FillFunctorImEESt5arrayIPcLm1EEEEviT0_T1_
                                        ; -- End function
	.section	.AMDGPU.csdata,"",@progbits
; Kernel info:
; codeLenInByte = 528
; NumSgprs: 18
; NumVgprs: 6
; ScratchSize: 0
; MemoryBound: 0
; FloatMode: 240
; IeeeMode: 1
; LDSByteSize: 0 bytes/workgroup (compile time only)
; SGPRBlocks: 2
; VGPRBlocks: 0
; NumSGPRsForWavesPerEU: 18
; NumVGPRsForWavesPerEU: 6
; Occupancy: 16
; WaveLimiterHint : 0
; COMPUTE_PGM_RSRC2:SCRATCH_EN: 0
; COMPUTE_PGM_RSRC2:USER_SGPR: 15
; COMPUTE_PGM_RSRC2:TRAP_HANDLER: 0
; COMPUTE_PGM_RSRC2:TGID_X_EN: 1
; COMPUTE_PGM_RSRC2:TGID_Y_EN: 0
; COMPUTE_PGM_RSRC2:TGID_Z_EN: 0
; COMPUTE_PGM_RSRC2:TIDIG_COMP_CNT: 0
	.section	.text._ZN2at6native29vectorized_elementwise_kernelILi4ENS0_11FillFunctorImEESt5arrayIPcLm1EEEEviT0_T1_,"axG",@progbits,_ZN2at6native29vectorized_elementwise_kernelILi4ENS0_11FillFunctorImEESt5arrayIPcLm1EEEEviT0_T1_,comdat
	.protected	_ZN2at6native29vectorized_elementwise_kernelILi4ENS0_11FillFunctorImEESt5arrayIPcLm1EEEEviT0_T1_ ; -- Begin function _ZN2at6native29vectorized_elementwise_kernelILi4ENS0_11FillFunctorImEESt5arrayIPcLm1EEEEviT0_T1_
	.globl	_ZN2at6native29vectorized_elementwise_kernelILi4ENS0_11FillFunctorImEESt5arrayIPcLm1EEEEviT0_T1_
	.p2align	8
	.type	_ZN2at6native29vectorized_elementwise_kernelILi4ENS0_11FillFunctorImEESt5arrayIPcLm1EEEEviT0_T1_,@function
_ZN2at6native29vectorized_elementwise_kernelILi4ENS0_11FillFunctorImEESt5arrayIPcLm1EEEEviT0_T1_: ; @_ZN2at6native29vectorized_elementwise_kernelILi4ENS0_11FillFunctorImEESt5arrayIPcLm1EEEEviT0_T1_
; %bb.0:
	s_clause 0x1
	s_load_b32 s5, s[0:1], 0x0
	s_load_b128 s[0:3], s[0:1], 0x8
	s_lshl_b32 s4, s15, 10
	s_waitcnt lgkmcnt(0)
	s_sub_i32 s6, s5, s4
	s_mov_b32 s5, -1
	s_cmpk_gt_i32 s6, 0x3ff
	s_cbranch_scc0 .LBB170_2
; %bb.1:
	s_mov_b32 s8, s0
	s_ashr_i32 s5, s4, 31
	s_mov_b32 s9, s1
	s_mov_b32 s10, s0
	;; [unrolled: 1-line block ×3, first 2 shown]
	s_delay_alu instid0(SALU_CYCLE_1)
	v_dual_mov_b32 v1, s8 :: v_dual_mov_b32 v4, s11
	s_lshl_b64 s[12:13], s[4:5], 3
	v_dual_mov_b32 v2, s9 :: v_dual_lshlrev_b32 v5, 5, v0
	v_mov_b32_e32 v3, s10
	s_add_u32 s8, s2, s12
	s_addc_u32 s9, s3, s13
	s_mov_b32 s5, 0
	s_clause 0x1
	global_store_b128 v5, v[1:4], s[8:9]
	global_store_b128 v5, v[1:4], s[8:9] offset:16
.LBB170_2:
	s_and_not1_b32 vcc_lo, exec_lo, s5
	s_cbranch_vccnz .LBB170_8
; %bb.3:
	s_mov_b32 s5, exec_lo
	v_cmpx_gt_i32_e64 s6, v0
	s_cbranch_execnz .LBB170_9
; %bb.4:
	s_or_b32 exec_lo, exec_lo, s5
	s_delay_alu instid0(SALU_CYCLE_1)
	s_mov_b32 s5, exec_lo
	v_cmpx_gt_i32_e64 s6, v0
	s_cbranch_execnz .LBB170_10
.LBB170_5:
	s_or_b32 exec_lo, exec_lo, s5
	s_delay_alu instid0(SALU_CYCLE_1)
	s_mov_b32 s5, exec_lo
	v_cmpx_gt_i32_e64 s6, v0
	s_cbranch_execnz .LBB170_11
.LBB170_6:
	s_or_b32 exec_lo, exec_lo, s5
	s_delay_alu instid0(SALU_CYCLE_1)
	s_mov_b32 s5, exec_lo
	v_cmpx_gt_i32_e64 s6, v0
	s_cbranch_execz .LBB170_8
.LBB170_7:
	v_dual_mov_b32 v1, 0 :: v_dual_add_nc_u32 v0, s4, v0
	v_dual_mov_b32 v3, s1 :: v_dual_mov_b32 v2, s0
	s_delay_alu instid0(VALU_DEP_2) | instskip(NEXT) | instid1(VALU_DEP_1)
	v_lshlrev_b64 v[0:1], 3, v[0:1]
	v_add_co_u32 v0, vcc_lo, s2, v0
	s_delay_alu instid0(VALU_DEP_2)
	v_add_co_ci_u32_e32 v1, vcc_lo, s3, v1, vcc_lo
	global_store_b64 v[0:1], v[2:3], off
.LBB170_8:
	s_nop 0
	s_sendmsg sendmsg(MSG_DEALLOC_VGPRS)
	s_endpgm
.LBB170_9:
	v_or_b32_e32 v1, s4, v0
	v_dual_mov_b32 v2, 0 :: v_dual_mov_b32 v3, s0
	v_or_b32_e32 v0, 0x100, v0
	v_mov_b32_e32 v4, s1
	s_delay_alu instid0(VALU_DEP_3) | instskip(NEXT) | instid1(VALU_DEP_1)
	v_lshlrev_b64 v[1:2], 3, v[1:2]
	v_add_co_u32 v1, vcc_lo, s2, v1
	s_delay_alu instid0(VALU_DEP_2) | instskip(SKIP_2) | instid1(SALU_CYCLE_1)
	v_add_co_ci_u32_e32 v2, vcc_lo, s3, v2, vcc_lo
	global_store_b64 v[1:2], v[3:4], off
	s_or_b32 exec_lo, exec_lo, s5
	s_mov_b32 s5, exec_lo
	v_cmpx_gt_i32_e64 s6, v0
	s_cbranch_execz .LBB170_5
.LBB170_10:
	v_dual_mov_b32 v2, 0 :: v_dual_add_nc_u32 v1, s4, v0
	v_dual_mov_b32 v4, s1 :: v_dual_mov_b32 v3, s0
	v_add_nc_u32_e32 v0, 0x100, v0
	s_delay_alu instid0(VALU_DEP_3) | instskip(NEXT) | instid1(VALU_DEP_1)
	v_lshlrev_b64 v[1:2], 3, v[1:2]
	v_add_co_u32 v1, vcc_lo, s2, v1
	s_delay_alu instid0(VALU_DEP_2) | instskip(SKIP_2) | instid1(SALU_CYCLE_1)
	v_add_co_ci_u32_e32 v2, vcc_lo, s3, v2, vcc_lo
	global_store_b64 v[1:2], v[3:4], off
	s_or_b32 exec_lo, exec_lo, s5
	s_mov_b32 s5, exec_lo
	v_cmpx_gt_i32_e64 s6, v0
	s_cbranch_execz .LBB170_6
.LBB170_11:
	v_dual_mov_b32 v2, 0 :: v_dual_add_nc_u32 v1, s4, v0
	v_dual_mov_b32 v4, s1 :: v_dual_mov_b32 v3, s0
	v_add_nc_u32_e32 v0, 0x100, v0
	s_delay_alu instid0(VALU_DEP_3) | instskip(NEXT) | instid1(VALU_DEP_1)
	v_lshlrev_b64 v[1:2], 3, v[1:2]
	v_add_co_u32 v1, vcc_lo, s2, v1
	s_delay_alu instid0(VALU_DEP_2) | instskip(SKIP_2) | instid1(SALU_CYCLE_1)
	v_add_co_ci_u32_e32 v2, vcc_lo, s3, v2, vcc_lo
	global_store_b64 v[1:2], v[3:4], off
	s_or_b32 exec_lo, exec_lo, s5
	s_mov_b32 s5, exec_lo
	v_cmpx_gt_i32_e64 s6, v0
	s_cbranch_execnz .LBB170_7
	s_branch .LBB170_8
	.section	.rodata,"a",@progbits
	.p2align	6, 0x0
	.amdhsa_kernel _ZN2at6native29vectorized_elementwise_kernelILi4ENS0_11FillFunctorImEESt5arrayIPcLm1EEEEviT0_T1_
		.amdhsa_group_segment_fixed_size 0
		.amdhsa_private_segment_fixed_size 0
		.amdhsa_kernarg_size 24
		.amdhsa_user_sgpr_count 15
		.amdhsa_user_sgpr_dispatch_ptr 0
		.amdhsa_user_sgpr_queue_ptr 0
		.amdhsa_user_sgpr_kernarg_segment_ptr 1
		.amdhsa_user_sgpr_dispatch_id 0
		.amdhsa_user_sgpr_private_segment_size 0
		.amdhsa_wavefront_size32 1
		.amdhsa_uses_dynamic_stack 0
		.amdhsa_enable_private_segment 0
		.amdhsa_system_sgpr_workgroup_id_x 1
		.amdhsa_system_sgpr_workgroup_id_y 0
		.amdhsa_system_sgpr_workgroup_id_z 0
		.amdhsa_system_sgpr_workgroup_info 0
		.amdhsa_system_vgpr_workitem_id 0
		.amdhsa_next_free_vgpr 6
		.amdhsa_next_free_sgpr 16
		.amdhsa_reserve_vcc 1
		.amdhsa_float_round_mode_32 0
		.amdhsa_float_round_mode_16_64 0
		.amdhsa_float_denorm_mode_32 3
		.amdhsa_float_denorm_mode_16_64 3
		.amdhsa_dx10_clamp 1
		.amdhsa_ieee_mode 1
		.amdhsa_fp16_overflow 0
		.amdhsa_workgroup_processor_mode 1
		.amdhsa_memory_ordered 1
		.amdhsa_forward_progress 0
		.amdhsa_shared_vgpr_count 0
		.amdhsa_exception_fp_ieee_invalid_op 0
		.amdhsa_exception_fp_denorm_src 0
		.amdhsa_exception_fp_ieee_div_zero 0
		.amdhsa_exception_fp_ieee_overflow 0
		.amdhsa_exception_fp_ieee_underflow 0
		.amdhsa_exception_fp_ieee_inexact 0
		.amdhsa_exception_int_div_zero 0
	.end_amdhsa_kernel
	.section	.text._ZN2at6native29vectorized_elementwise_kernelILi4ENS0_11FillFunctorImEESt5arrayIPcLm1EEEEviT0_T1_,"axG",@progbits,_ZN2at6native29vectorized_elementwise_kernelILi4ENS0_11FillFunctorImEESt5arrayIPcLm1EEEEviT0_T1_,comdat
.Lfunc_end170:
	.size	_ZN2at6native29vectorized_elementwise_kernelILi4ENS0_11FillFunctorImEESt5arrayIPcLm1EEEEviT0_T1_, .Lfunc_end170-_ZN2at6native29vectorized_elementwise_kernelILi4ENS0_11FillFunctorImEESt5arrayIPcLm1EEEEviT0_T1_
                                        ; -- End function
	.section	.AMDGPU.csdata,"",@progbits
; Kernel info:
; codeLenInByte = 528
; NumSgprs: 18
; NumVgprs: 6
; ScratchSize: 0
; MemoryBound: 0
; FloatMode: 240
; IeeeMode: 1
; LDSByteSize: 0 bytes/workgroup (compile time only)
; SGPRBlocks: 2
; VGPRBlocks: 0
; NumSGPRsForWavesPerEU: 18
; NumVGPRsForWavesPerEU: 6
; Occupancy: 16
; WaveLimiterHint : 0
; COMPUTE_PGM_RSRC2:SCRATCH_EN: 0
; COMPUTE_PGM_RSRC2:USER_SGPR: 15
; COMPUTE_PGM_RSRC2:TRAP_HANDLER: 0
; COMPUTE_PGM_RSRC2:TGID_X_EN: 1
; COMPUTE_PGM_RSRC2:TGID_Y_EN: 0
; COMPUTE_PGM_RSRC2:TGID_Z_EN: 0
; COMPUTE_PGM_RSRC2:TIDIG_COMP_CNT: 0
	.section	.text._ZN2at6native29vectorized_elementwise_kernelILi2ENS0_11FillFunctorImEESt5arrayIPcLm1EEEEviT0_T1_,"axG",@progbits,_ZN2at6native29vectorized_elementwise_kernelILi2ENS0_11FillFunctorImEESt5arrayIPcLm1EEEEviT0_T1_,comdat
	.protected	_ZN2at6native29vectorized_elementwise_kernelILi2ENS0_11FillFunctorImEESt5arrayIPcLm1EEEEviT0_T1_ ; -- Begin function _ZN2at6native29vectorized_elementwise_kernelILi2ENS0_11FillFunctorImEESt5arrayIPcLm1EEEEviT0_T1_
	.globl	_ZN2at6native29vectorized_elementwise_kernelILi2ENS0_11FillFunctorImEESt5arrayIPcLm1EEEEviT0_T1_
	.p2align	8
	.type	_ZN2at6native29vectorized_elementwise_kernelILi2ENS0_11FillFunctorImEESt5arrayIPcLm1EEEEviT0_T1_,@function
_ZN2at6native29vectorized_elementwise_kernelILi2ENS0_11FillFunctorImEESt5arrayIPcLm1EEEEviT0_T1_: ; @_ZN2at6native29vectorized_elementwise_kernelILi2ENS0_11FillFunctorImEESt5arrayIPcLm1EEEEviT0_T1_
; %bb.0:
	s_clause 0x1
	s_load_b32 s5, s[0:1], 0x0
	s_load_b128 s[0:3], s[0:1], 0x8
	s_lshl_b32 s4, s15, 10
	s_waitcnt lgkmcnt(0)
	s_sub_i32 s6, s5, s4
	s_mov_b32 s5, -1
	s_cmpk_gt_i32 s6, 0x3ff
	s_cbranch_scc0 .LBB171_2
; %bb.1:
	s_ashr_i32 s5, s4, 31
	s_mov_b32 s8, s0
	s_lshl_b64 s[10:11], s[4:5], 3
	s_mov_b32 s9, s1
	s_add_u32 s12, s2, s10
	s_addc_u32 s13, s3, s11
	s_mov_b32 s10, s0
	s_mov_b32 s11, s1
	v_lshlrev_b32_e32 v7, 4, v0
	v_dual_mov_b32 v1, s8 :: v_dual_mov_b32 v4, s11
	v_dual_mov_b32 v2, s9 :: v_dual_mov_b32 v3, s10
	s_delay_alu instid0(VALU_DEP_3) | instskip(NEXT) | instid1(VALU_DEP_1)
	v_add_co_u32 v5, s5, s12, v7
	v_add_co_ci_u32_e64 v6, null, s13, 0, s5
	s_mov_b32 s5, 0
	s_delay_alu instid0(VALU_DEP_2) | instskip(NEXT) | instid1(VALU_DEP_2)
	v_add_co_u32 v5, vcc_lo, 0x1000, v5
	v_add_co_ci_u32_e32 v6, vcc_lo, 0, v6, vcc_lo
	s_clause 0x1
	global_store_b128 v7, v[1:4], s[12:13]
	global_store_b128 v[5:6], v[1:4], off
.LBB171_2:
	s_and_not1_b32 vcc_lo, exec_lo, s5
	s_cbranch_vccnz .LBB171_8
; %bb.3:
	s_mov_b32 s5, exec_lo
	v_cmpx_gt_i32_e64 s6, v0
	s_cbranch_execnz .LBB171_9
; %bb.4:
	s_or_b32 exec_lo, exec_lo, s5
	s_delay_alu instid0(SALU_CYCLE_1)
	s_mov_b32 s5, exec_lo
	v_cmpx_gt_i32_e64 s6, v0
	s_cbranch_execnz .LBB171_10
.LBB171_5:
	s_or_b32 exec_lo, exec_lo, s5
	s_delay_alu instid0(SALU_CYCLE_1)
	s_mov_b32 s5, exec_lo
	v_cmpx_gt_i32_e64 s6, v0
	s_cbranch_execnz .LBB171_11
.LBB171_6:
	s_or_b32 exec_lo, exec_lo, s5
	s_delay_alu instid0(SALU_CYCLE_1)
	s_mov_b32 s5, exec_lo
	v_cmpx_gt_i32_e64 s6, v0
	s_cbranch_execz .LBB171_8
.LBB171_7:
	v_dual_mov_b32 v1, 0 :: v_dual_add_nc_u32 v0, s4, v0
	v_dual_mov_b32 v3, s1 :: v_dual_mov_b32 v2, s0
	s_delay_alu instid0(VALU_DEP_2) | instskip(NEXT) | instid1(VALU_DEP_1)
	v_lshlrev_b64 v[0:1], 3, v[0:1]
	v_add_co_u32 v0, vcc_lo, s2, v0
	s_delay_alu instid0(VALU_DEP_2)
	v_add_co_ci_u32_e32 v1, vcc_lo, s3, v1, vcc_lo
	global_store_b64 v[0:1], v[2:3], off
.LBB171_8:
	s_nop 0
	s_sendmsg sendmsg(MSG_DEALLOC_VGPRS)
	s_endpgm
.LBB171_9:
	v_or_b32_e32 v1, s4, v0
	v_dual_mov_b32 v2, 0 :: v_dual_mov_b32 v3, s0
	v_or_b32_e32 v0, 0x100, v0
	v_mov_b32_e32 v4, s1
	s_delay_alu instid0(VALU_DEP_3) | instskip(NEXT) | instid1(VALU_DEP_1)
	v_lshlrev_b64 v[1:2], 3, v[1:2]
	v_add_co_u32 v1, vcc_lo, s2, v1
	s_delay_alu instid0(VALU_DEP_2) | instskip(SKIP_2) | instid1(SALU_CYCLE_1)
	v_add_co_ci_u32_e32 v2, vcc_lo, s3, v2, vcc_lo
	global_store_b64 v[1:2], v[3:4], off
	s_or_b32 exec_lo, exec_lo, s5
	s_mov_b32 s5, exec_lo
	v_cmpx_gt_i32_e64 s6, v0
	s_cbranch_execz .LBB171_5
.LBB171_10:
	v_dual_mov_b32 v2, 0 :: v_dual_add_nc_u32 v1, s4, v0
	v_dual_mov_b32 v4, s1 :: v_dual_mov_b32 v3, s0
	v_add_nc_u32_e32 v0, 0x100, v0
	s_delay_alu instid0(VALU_DEP_3) | instskip(NEXT) | instid1(VALU_DEP_1)
	v_lshlrev_b64 v[1:2], 3, v[1:2]
	v_add_co_u32 v1, vcc_lo, s2, v1
	s_delay_alu instid0(VALU_DEP_2) | instskip(SKIP_2) | instid1(SALU_CYCLE_1)
	v_add_co_ci_u32_e32 v2, vcc_lo, s3, v2, vcc_lo
	global_store_b64 v[1:2], v[3:4], off
	s_or_b32 exec_lo, exec_lo, s5
	s_mov_b32 s5, exec_lo
	v_cmpx_gt_i32_e64 s6, v0
	s_cbranch_execz .LBB171_6
.LBB171_11:
	v_dual_mov_b32 v2, 0 :: v_dual_add_nc_u32 v1, s4, v0
	v_dual_mov_b32 v4, s1 :: v_dual_mov_b32 v3, s0
	v_add_nc_u32_e32 v0, 0x100, v0
	s_delay_alu instid0(VALU_DEP_3) | instskip(NEXT) | instid1(VALU_DEP_1)
	v_lshlrev_b64 v[1:2], 3, v[1:2]
	v_add_co_u32 v1, vcc_lo, s2, v1
	s_delay_alu instid0(VALU_DEP_2) | instskip(SKIP_2) | instid1(SALU_CYCLE_1)
	v_add_co_ci_u32_e32 v2, vcc_lo, s3, v2, vcc_lo
	global_store_b64 v[1:2], v[3:4], off
	s_or_b32 exec_lo, exec_lo, s5
	s_mov_b32 s5, exec_lo
	v_cmpx_gt_i32_e64 s6, v0
	s_cbranch_execnz .LBB171_7
	s_branch .LBB171_8
	.section	.rodata,"a",@progbits
	.p2align	6, 0x0
	.amdhsa_kernel _ZN2at6native29vectorized_elementwise_kernelILi2ENS0_11FillFunctorImEESt5arrayIPcLm1EEEEviT0_T1_
		.amdhsa_group_segment_fixed_size 0
		.amdhsa_private_segment_fixed_size 0
		.amdhsa_kernarg_size 24
		.amdhsa_user_sgpr_count 15
		.amdhsa_user_sgpr_dispatch_ptr 0
		.amdhsa_user_sgpr_queue_ptr 0
		.amdhsa_user_sgpr_kernarg_segment_ptr 1
		.amdhsa_user_sgpr_dispatch_id 0
		.amdhsa_user_sgpr_private_segment_size 0
		.amdhsa_wavefront_size32 1
		.amdhsa_uses_dynamic_stack 0
		.amdhsa_enable_private_segment 0
		.amdhsa_system_sgpr_workgroup_id_x 1
		.amdhsa_system_sgpr_workgroup_id_y 0
		.amdhsa_system_sgpr_workgroup_id_z 0
		.amdhsa_system_sgpr_workgroup_info 0
		.amdhsa_system_vgpr_workitem_id 0
		.amdhsa_next_free_vgpr 8
		.amdhsa_next_free_sgpr 16
		.amdhsa_reserve_vcc 1
		.amdhsa_float_round_mode_32 0
		.amdhsa_float_round_mode_16_64 0
		.amdhsa_float_denorm_mode_32 3
		.amdhsa_float_denorm_mode_16_64 3
		.amdhsa_dx10_clamp 1
		.amdhsa_ieee_mode 1
		.amdhsa_fp16_overflow 0
		.amdhsa_workgroup_processor_mode 1
		.amdhsa_memory_ordered 1
		.amdhsa_forward_progress 0
		.amdhsa_shared_vgpr_count 0
		.amdhsa_exception_fp_ieee_invalid_op 0
		.amdhsa_exception_fp_denorm_src 0
		.amdhsa_exception_fp_ieee_div_zero 0
		.amdhsa_exception_fp_ieee_overflow 0
		.amdhsa_exception_fp_ieee_underflow 0
		.amdhsa_exception_fp_ieee_inexact 0
		.amdhsa_exception_int_div_zero 0
	.end_amdhsa_kernel
	.section	.text._ZN2at6native29vectorized_elementwise_kernelILi2ENS0_11FillFunctorImEESt5arrayIPcLm1EEEEviT0_T1_,"axG",@progbits,_ZN2at6native29vectorized_elementwise_kernelILi2ENS0_11FillFunctorImEESt5arrayIPcLm1EEEEviT0_T1_,comdat
.Lfunc_end171:
	.size	_ZN2at6native29vectorized_elementwise_kernelILi2ENS0_11FillFunctorImEESt5arrayIPcLm1EEEEviT0_T1_, .Lfunc_end171-_ZN2at6native29vectorized_elementwise_kernelILi2ENS0_11FillFunctorImEESt5arrayIPcLm1EEEEviT0_T1_
                                        ; -- End function
	.section	.AMDGPU.csdata,"",@progbits
; Kernel info:
; codeLenInByte = 564
; NumSgprs: 18
; NumVgprs: 8
; ScratchSize: 0
; MemoryBound: 0
; FloatMode: 240
; IeeeMode: 1
; LDSByteSize: 0 bytes/workgroup (compile time only)
; SGPRBlocks: 2
; VGPRBlocks: 0
; NumSGPRsForWavesPerEU: 18
; NumVGPRsForWavesPerEU: 8
; Occupancy: 16
; WaveLimiterHint : 1
; COMPUTE_PGM_RSRC2:SCRATCH_EN: 0
; COMPUTE_PGM_RSRC2:USER_SGPR: 15
; COMPUTE_PGM_RSRC2:TRAP_HANDLER: 0
; COMPUTE_PGM_RSRC2:TGID_X_EN: 1
; COMPUTE_PGM_RSRC2:TGID_Y_EN: 0
; COMPUTE_PGM_RSRC2:TGID_Z_EN: 0
; COMPUTE_PGM_RSRC2:TIDIG_COMP_CNT: 0
	.section	.text._ZN2at6native27unrolled_elementwise_kernelINS0_11FillFunctorImEESt5arrayIPcLm1EELi4E23TrivialOffsetCalculatorILi0EjES7_ILi1EjENS0_6memory15LoadWithoutCastENSA_16StoreWithoutCastEEEviT_T0_T2_T3_T4_T5_,"axG",@progbits,_ZN2at6native27unrolled_elementwise_kernelINS0_11FillFunctorImEESt5arrayIPcLm1EELi4E23TrivialOffsetCalculatorILi0EjES7_ILi1EjENS0_6memory15LoadWithoutCastENSA_16StoreWithoutCastEEEviT_T0_T2_T3_T4_T5_,comdat
	.protected	_ZN2at6native27unrolled_elementwise_kernelINS0_11FillFunctorImEESt5arrayIPcLm1EELi4E23TrivialOffsetCalculatorILi0EjES7_ILi1EjENS0_6memory15LoadWithoutCastENSA_16StoreWithoutCastEEEviT_T0_T2_T3_T4_T5_ ; -- Begin function _ZN2at6native27unrolled_elementwise_kernelINS0_11FillFunctorImEESt5arrayIPcLm1EELi4E23TrivialOffsetCalculatorILi0EjES7_ILi1EjENS0_6memory15LoadWithoutCastENSA_16StoreWithoutCastEEEviT_T0_T2_T3_T4_T5_
	.globl	_ZN2at6native27unrolled_elementwise_kernelINS0_11FillFunctorImEESt5arrayIPcLm1EELi4E23TrivialOffsetCalculatorILi0EjES7_ILi1EjENS0_6memory15LoadWithoutCastENSA_16StoreWithoutCastEEEviT_T0_T2_T3_T4_T5_
	.p2align	8
	.type	_ZN2at6native27unrolled_elementwise_kernelINS0_11FillFunctorImEESt5arrayIPcLm1EELi4E23TrivialOffsetCalculatorILi0EjES7_ILi1EjENS0_6memory15LoadWithoutCastENSA_16StoreWithoutCastEEEviT_T0_T2_T3_T4_T5_,@function
_ZN2at6native27unrolled_elementwise_kernelINS0_11FillFunctorImEESt5arrayIPcLm1EELi4E23TrivialOffsetCalculatorILi0EjES7_ILi1EjENS0_6memory15LoadWithoutCastENSA_16StoreWithoutCastEEEviT_T0_T2_T3_T4_T5_: ; @_ZN2at6native27unrolled_elementwise_kernelINS0_11FillFunctorImEESt5arrayIPcLm1EELi4E23TrivialOffsetCalculatorILi0EjES7_ILi1EjENS0_6memory15LoadWithoutCastENSA_16StoreWithoutCastEEEviT_T0_T2_T3_T4_T5_
; %bb.0:
	s_clause 0x1
	s_load_b32 s2, s[0:1], 0x0
	s_load_b128 s[4:7], s[0:1], 0x8
	v_or_b32_e32 v3, 0x100, v0
	s_lshl_b32 s1, s15, 10
	s_mov_b32 s3, exec_lo
	s_waitcnt lgkmcnt(0)
	s_sub_i32 s2, s2, s1
	v_dual_mov_b32 v1, s5 :: v_dual_mov_b32 v4, s4
	v_cmp_gt_i32_e32 vcc_lo, s2, v3
	s_delay_alu instid0(VALU_DEP_2) | instskip(NEXT) | instid1(VALU_DEP_3)
	v_cndmask_b32_e32 v2, s7, v1, vcc_lo
	v_cndmask_b32_e32 v1, s6, v4, vcc_lo
	v_cmpx_gt_i32_e64 s2, v0
	s_cbranch_execnz .LBB172_5
; %bb.1:
	s_or_b32 exec_lo, exec_lo, s3
	s_delay_alu instid0(SALU_CYCLE_1)
	s_mov_b32 s0, exec_lo
	v_cmpx_gt_i32_e64 s2, v0
	s_cbranch_execnz .LBB172_6
.LBB172_2:
	s_or_b32 exec_lo, exec_lo, s0
	s_delay_alu instid0(SALU_CYCLE_1)
	s_mov_b32 s0, exec_lo
	v_cmpx_gt_i32_e64 s2, v0
	s_cbranch_execnz .LBB172_7
.LBB172_3:
	s_or_b32 exec_lo, exec_lo, s0
	s_delay_alu instid0(SALU_CYCLE_1)
	s_mov_b32 s0, exec_lo
	v_cmpx_gt_i32_e64 s2, v0
	s_cbranch_execnz .LBB172_8
.LBB172_4:
	s_nop 0
	s_sendmsg sendmsg(MSG_DEALLOC_VGPRS)
	s_endpgm
.LBB172_5:
	v_or_b32_e32 v4, s1, v0
	v_dual_mov_b32 v5, 0 :: v_dual_mov_b32 v6, s5
	v_mov_b32_e32 v0, v3
	s_delay_alu instid0(VALU_DEP_2) | instskip(NEXT) | instid1(VALU_DEP_1)
	v_lshlrev_b64 v[4:5], 3, v[4:5]
	v_add_co_u32 v7, vcc_lo, s6, v4
	s_delay_alu instid0(VALU_DEP_2) | instskip(SKIP_3) | instid1(SALU_CYCLE_1)
	v_add_co_ci_u32_e32 v8, vcc_lo, s7, v5, vcc_lo
	v_mov_b32_e32 v5, s4
	global_store_b64 v[7:8], v[5:6], off
	s_or_b32 exec_lo, exec_lo, s3
	s_mov_b32 s0, exec_lo
	v_cmpx_gt_i32_e64 s2, v0
	s_cbranch_execz .LBB172_2
.LBB172_6:
	v_dual_mov_b32 v4, 0 :: v_dual_add_nc_u32 v3, s1, v0
	v_add_nc_u32_e32 v0, 0x100, v0
	s_delay_alu instid0(VALU_DEP_2) | instskip(NEXT) | instid1(VALU_DEP_1)
	v_lshlrev_b64 v[3:4], 3, v[3:4]
	v_add_co_u32 v3, vcc_lo, s6, v3
	s_delay_alu instid0(VALU_DEP_2) | instskip(SKIP_2) | instid1(SALU_CYCLE_1)
	v_add_co_ci_u32_e32 v4, vcc_lo, s7, v4, vcc_lo
	global_store_b64 v[3:4], v[1:2], off
	s_or_b32 exec_lo, exec_lo, s0
	s_mov_b32 s0, exec_lo
	v_cmpx_gt_i32_e64 s2, v0
	s_cbranch_execz .LBB172_3
.LBB172_7:
	v_dual_mov_b32 v2, 0 :: v_dual_add_nc_u32 v1, s1, v0
	v_dual_mov_b32 v3, s5 :: v_dual_add_nc_u32 v0, 0x100, v0
	s_delay_alu instid0(VALU_DEP_2) | instskip(NEXT) | instid1(VALU_DEP_1)
	v_lshlrev_b64 v[1:2], 3, v[1:2]
	v_add_co_u32 v4, vcc_lo, s6, v1
	s_delay_alu instid0(VALU_DEP_2) | instskip(SKIP_3) | instid1(SALU_CYCLE_1)
	v_add_co_ci_u32_e32 v5, vcc_lo, s7, v2, vcc_lo
	v_mov_b32_e32 v2, s4
	global_store_b64 v[4:5], v[2:3], off
	s_or_b32 exec_lo, exec_lo, s0
	s_mov_b32 s0, exec_lo
	v_cmpx_gt_i32_e64 s2, v0
	s_cbranch_execz .LBB172_4
.LBB172_8:
	v_dual_mov_b32 v1, 0 :: v_dual_add_nc_u32 v0, s1, v0
	v_mov_b32_e32 v2, s5
	s_delay_alu instid0(VALU_DEP_2) | instskip(NEXT) | instid1(VALU_DEP_1)
	v_lshlrev_b64 v[0:1], 3, v[0:1]
	v_add_co_u32 v3, vcc_lo, s6, v0
	s_delay_alu instid0(VALU_DEP_2)
	v_add_co_ci_u32_e32 v4, vcc_lo, s7, v1, vcc_lo
	v_mov_b32_e32 v1, s4
	global_store_b64 v[3:4], v[1:2], off
	s_nop 0
	s_sendmsg sendmsg(MSG_DEALLOC_VGPRS)
	s_endpgm
	.section	.rodata,"a",@progbits
	.p2align	6, 0x0
	.amdhsa_kernel _ZN2at6native27unrolled_elementwise_kernelINS0_11FillFunctorImEESt5arrayIPcLm1EELi4E23TrivialOffsetCalculatorILi0EjES7_ILi1EjENS0_6memory15LoadWithoutCastENSA_16StoreWithoutCastEEEviT_T0_T2_T3_T4_T5_
		.amdhsa_group_segment_fixed_size 0
		.amdhsa_private_segment_fixed_size 0
		.amdhsa_kernarg_size 28
		.amdhsa_user_sgpr_count 15
		.amdhsa_user_sgpr_dispatch_ptr 0
		.amdhsa_user_sgpr_queue_ptr 0
		.amdhsa_user_sgpr_kernarg_segment_ptr 1
		.amdhsa_user_sgpr_dispatch_id 0
		.amdhsa_user_sgpr_private_segment_size 0
		.amdhsa_wavefront_size32 1
		.amdhsa_uses_dynamic_stack 0
		.amdhsa_enable_private_segment 0
		.amdhsa_system_sgpr_workgroup_id_x 1
		.amdhsa_system_sgpr_workgroup_id_y 0
		.amdhsa_system_sgpr_workgroup_id_z 0
		.amdhsa_system_sgpr_workgroup_info 0
		.amdhsa_system_vgpr_workitem_id 0
		.amdhsa_next_free_vgpr 9
		.amdhsa_next_free_sgpr 16
		.amdhsa_reserve_vcc 1
		.amdhsa_float_round_mode_32 0
		.amdhsa_float_round_mode_16_64 0
		.amdhsa_float_denorm_mode_32 3
		.amdhsa_float_denorm_mode_16_64 3
		.amdhsa_dx10_clamp 1
		.amdhsa_ieee_mode 1
		.amdhsa_fp16_overflow 0
		.amdhsa_workgroup_processor_mode 1
		.amdhsa_memory_ordered 1
		.amdhsa_forward_progress 0
		.amdhsa_shared_vgpr_count 0
		.amdhsa_exception_fp_ieee_invalid_op 0
		.amdhsa_exception_fp_denorm_src 0
		.amdhsa_exception_fp_ieee_div_zero 0
		.amdhsa_exception_fp_ieee_overflow 0
		.amdhsa_exception_fp_ieee_underflow 0
		.amdhsa_exception_fp_ieee_inexact 0
		.amdhsa_exception_int_div_zero 0
	.end_amdhsa_kernel
	.section	.text._ZN2at6native27unrolled_elementwise_kernelINS0_11FillFunctorImEESt5arrayIPcLm1EELi4E23TrivialOffsetCalculatorILi0EjES7_ILi1EjENS0_6memory15LoadWithoutCastENSA_16StoreWithoutCastEEEviT_T0_T2_T3_T4_T5_,"axG",@progbits,_ZN2at6native27unrolled_elementwise_kernelINS0_11FillFunctorImEESt5arrayIPcLm1EELi4E23TrivialOffsetCalculatorILi0EjES7_ILi1EjENS0_6memory15LoadWithoutCastENSA_16StoreWithoutCastEEEviT_T0_T2_T3_T4_T5_,comdat
.Lfunc_end172:
	.size	_ZN2at6native27unrolled_elementwise_kernelINS0_11FillFunctorImEESt5arrayIPcLm1EELi4E23TrivialOffsetCalculatorILi0EjES7_ILi1EjENS0_6memory15LoadWithoutCastENSA_16StoreWithoutCastEEEviT_T0_T2_T3_T4_T5_, .Lfunc_end172-_ZN2at6native27unrolled_elementwise_kernelINS0_11FillFunctorImEESt5arrayIPcLm1EELi4E23TrivialOffsetCalculatorILi0EjES7_ILi1EjENS0_6memory15LoadWithoutCastENSA_16StoreWithoutCastEEEviT_T0_T2_T3_T4_T5_
                                        ; -- End function
	.section	.AMDGPU.csdata,"",@progbits
; Kernel info:
; codeLenInByte = 456
; NumSgprs: 18
; NumVgprs: 9
; ScratchSize: 0
; MemoryBound: 0
; FloatMode: 240
; IeeeMode: 1
; LDSByteSize: 0 bytes/workgroup (compile time only)
; SGPRBlocks: 2
; VGPRBlocks: 1
; NumSGPRsForWavesPerEU: 18
; NumVGPRsForWavesPerEU: 9
; Occupancy: 16
; WaveLimiterHint : 0
; COMPUTE_PGM_RSRC2:SCRATCH_EN: 0
; COMPUTE_PGM_RSRC2:USER_SGPR: 15
; COMPUTE_PGM_RSRC2:TRAP_HANDLER: 0
; COMPUTE_PGM_RSRC2:TGID_X_EN: 1
; COMPUTE_PGM_RSRC2:TGID_Y_EN: 0
; COMPUTE_PGM_RSRC2:TGID_Z_EN: 0
; COMPUTE_PGM_RSRC2:TIDIG_COMP_CNT: 0
	.section	.text._ZN2at6native32elementwise_kernel_manual_unrollILi128ELi4EZNS0_22gpu_kernel_impl_nocastINS0_11FillFunctorImEEEEvRNS_18TensorIteratorBaseERKT_EUlibE_EEviT1_,"axG",@progbits,_ZN2at6native32elementwise_kernel_manual_unrollILi128ELi4EZNS0_22gpu_kernel_impl_nocastINS0_11FillFunctorImEEEEvRNS_18TensorIteratorBaseERKT_EUlibE_EEviT1_,comdat
	.protected	_ZN2at6native32elementwise_kernel_manual_unrollILi128ELi4EZNS0_22gpu_kernel_impl_nocastINS0_11FillFunctorImEEEEvRNS_18TensorIteratorBaseERKT_EUlibE_EEviT1_ ; -- Begin function _ZN2at6native32elementwise_kernel_manual_unrollILi128ELi4EZNS0_22gpu_kernel_impl_nocastINS0_11FillFunctorImEEEEvRNS_18TensorIteratorBaseERKT_EUlibE_EEviT1_
	.globl	_ZN2at6native32elementwise_kernel_manual_unrollILi128ELi4EZNS0_22gpu_kernel_impl_nocastINS0_11FillFunctorImEEEEvRNS_18TensorIteratorBaseERKT_EUlibE_EEviT1_
	.p2align	8
	.type	_ZN2at6native32elementwise_kernel_manual_unrollILi128ELi4EZNS0_22gpu_kernel_impl_nocastINS0_11FillFunctorImEEEEvRNS_18TensorIteratorBaseERKT_EUlibE_EEviT1_,@function
_ZN2at6native32elementwise_kernel_manual_unrollILi128ELi4EZNS0_22gpu_kernel_impl_nocastINS0_11FillFunctorImEEEEvRNS_18TensorIteratorBaseERKT_EUlibE_EEviT1_: ; @_ZN2at6native32elementwise_kernel_manual_unrollILi128ELi4EZNS0_22gpu_kernel_impl_nocastINS0_11FillFunctorImEEEEvRNS_18TensorIteratorBaseERKT_EUlibE_EEviT1_
; %bb.0:
	s_clause 0x1
	s_load_b32 s20, s[0:1], 0x8
	s_load_b32 s25, s[0:1], 0x0
	v_lshl_or_b32 v2, s15, 9, v0
	s_or_b32 s0, s0, 8
	s_mov_b32 s2, exec_lo
	s_delay_alu instid0(VALU_DEP_1) | instskip(SKIP_2) | instid1(SALU_CYCLE_1)
	v_or_b32_e32 v4, 0x180, v2
	s_waitcnt lgkmcnt(0)
	s_add_i32 s21, s20, -1
	s_cmp_gt_u32 s21, 1
	s_cselect_b32 s22, -1, 0
	v_cmpx_le_i32_e64 s25, v4
	s_xor_b32 s23, exec_lo, s2
	s_cbranch_execz .LBB173_7
; %bb.1:
	s_clause 0x3
	s_load_b128 s[8:11], s[0:1], 0x4
	s_load_b64 s[12:13], s[0:1], 0x14
	s_load_b64 s[2:3], s[0:1], 0xc4
	s_load_b128 s[4:7], s[0:1], 0x108
	s_cmp_lg_u32 s20, 0
	s_mov_b32 s28, exec_lo
	s_cselect_b32 s27, -1, 0
	s_add_u32 s14, s0, 0xc4
	s_addc_u32 s15, s1, 0
	s_min_u32 s26, s21, 15
	s_cmp_gt_u32 s20, 1
	s_cselect_b32 s24, -1, 0
	v_cmpx_gt_i32_e64 s25, v2
	s_cbranch_execz .LBB173_14
; %bb.2:
	s_and_not1_b32 vcc_lo, exec_lo, s22
	s_cbranch_vccnz .LBB173_21
; %bb.3:
	v_mov_b32_e32 v0, 0
	s_and_not1_b32 vcc_lo, exec_lo, s27
	s_cbranch_vccnz .LBB173_73
; %bb.4:
	s_add_i32 s30, s26, 1
	s_cmp_eq_u32 s21, 2
	s_mov_b32 s29, 0
	s_cbranch_scc1 .LBB173_69
; %bb.5:
	v_dual_mov_b32 v0, 0 :: v_dual_mov_b32 v1, v2
	s_and_b32 s29, s30, 28
	s_mov_b32 s31, 0
	s_mov_b64 s[16:17], s[0:1]
	s_mov_b64 s[18:19], s[14:15]
.LBB173_6:                              ; =>This Inner Loop Header: Depth=1
	s_clause 0x1
	s_load_b256 s[36:43], s[16:17], 0x4
	s_load_b128 s[44:47], s[16:17], 0x24
	s_load_b128 s[48:51], s[18:19], 0x0
	s_add_u32 s16, s16, 48
	s_addc_u32 s17, s17, 0
	s_add_i32 s31, s31, 4
	s_add_u32 s18, s18, 16
	s_addc_u32 s19, s19, 0
	s_cmp_lg_u32 s29, s31
	s_waitcnt lgkmcnt(0)
	v_mul_hi_u32 v3, s37, v1
	s_delay_alu instid0(VALU_DEP_1) | instskip(NEXT) | instid1(VALU_DEP_1)
	v_add_nc_u32_e32 v3, v1, v3
	v_lshrrev_b32_e32 v3, s38, v3
	s_delay_alu instid0(VALU_DEP_1) | instskip(SKIP_1) | instid1(VALU_DEP_2)
	v_mul_hi_u32 v4, s40, v3
	v_mul_lo_u32 v7, v3, s36
	v_add_nc_u32_e32 v4, v3, v4
	s_delay_alu instid0(VALU_DEP_2) | instskip(NEXT) | instid1(VALU_DEP_2)
	v_sub_nc_u32_e32 v7, v1, v7
	v_lshrrev_b32_e32 v4, s41, v4
	s_delay_alu instid0(VALU_DEP_2) | instskip(NEXT) | instid1(VALU_DEP_2)
	v_mul_lo_u32 v7, v7, s48
	v_mul_hi_u32 v5, s43, v4
	v_mul_lo_u32 v8, v4, s39
	s_delay_alu instid0(VALU_DEP_2) | instskip(NEXT) | instid1(VALU_DEP_2)
	v_add_nc_u32_e32 v5, v4, v5
	v_sub_nc_u32_e32 v3, v3, v8
	s_delay_alu instid0(VALU_DEP_2) | instskip(NEXT) | instid1(VALU_DEP_2)
	v_lshrrev_b32_e32 v5, s44, v5
	v_mul_lo_u32 v3, v3, s49
	s_delay_alu instid0(VALU_DEP_2) | instskip(NEXT) | instid1(VALU_DEP_2)
	v_mul_hi_u32 v6, s46, v5
	v_add3_u32 v0, v7, v0, v3
	s_delay_alu instid0(VALU_DEP_2) | instskip(NEXT) | instid1(VALU_DEP_1)
	v_add_nc_u32_e32 v6, v5, v6
	v_lshrrev_b32_e32 v1, s47, v6
	v_mul_lo_u32 v6, v5, s42
	s_delay_alu instid0(VALU_DEP_2) | instskip(NEXT) | instid1(VALU_DEP_2)
	v_mul_lo_u32 v9, v1, s45
	v_sub_nc_u32_e32 v4, v4, v6
	s_delay_alu instid0(VALU_DEP_2) | instskip(NEXT) | instid1(VALU_DEP_2)
	v_sub_nc_u32_e32 v5, v5, v9
	v_mul_lo_u32 v4, v4, s50
	s_delay_alu instid0(VALU_DEP_2) | instskip(NEXT) | instid1(VALU_DEP_1)
	v_mul_lo_u32 v5, v5, s51
	v_add3_u32 v0, v4, v0, v5
	s_cbranch_scc1 .LBB173_6
	s_branch .LBB173_70
.LBB173_7:
	s_and_not1_saveexec_b32 s2, s23
	s_cbranch_execz .LBB173_94
.LBB173_8:
	v_cndmask_b32_e64 v3, 0, 1, s22
	s_and_not1_b32 vcc_lo, exec_lo, s22
	s_cbranch_vccnz .LBB173_20
; %bb.9:
	v_mov_b32_e32 v0, 0
	s_cmp_eq_u32 s20, 0
	s_mov_b32 s6, 0
	s_cbranch_scc1 .LBB173_26
; %bb.10:
	s_min_u32 s7, s21, 15
	v_mov_b32_e32 v0, 0
	s_add_i32 s7, s7, 1
	s_cmp_eq_u32 s21, 2
	s_mov_b32 s8, 0
	s_cbranch_scc1 .LBB173_23
; %bb.11:
	v_dual_mov_b32 v0, 0 :: v_dual_mov_b32 v1, v2
	s_add_u32 s2, s0, 0xc4
	s_addc_u32 s3, s1, 0
	s_and_b32 s8, s7, 28
	s_mov_b32 s9, 0
	s_mov_b64 s[4:5], s[0:1]
.LBB173_12:                             ; =>This Inner Loop Header: Depth=1
	s_clause 0x1
	s_load_b256 s[12:19], s[4:5], 0x4
	s_load_b128 s[24:27], s[4:5], 0x24
	s_load_b128 s[28:31], s[2:3], 0x0
	s_add_u32 s4, s4, 48
	s_addc_u32 s5, s5, 0
	s_add_i32 s9, s9, 4
	s_add_u32 s2, s2, 16
	s_addc_u32 s3, s3, 0
	s_cmp_lg_u32 s8, s9
	s_waitcnt lgkmcnt(0)
	v_mul_hi_u32 v5, s13, v1
	s_delay_alu instid0(VALU_DEP_1) | instskip(NEXT) | instid1(VALU_DEP_1)
	v_add_nc_u32_e32 v5, v1, v5
	v_lshrrev_b32_e32 v5, s14, v5
	s_delay_alu instid0(VALU_DEP_1) | instskip(SKIP_1) | instid1(VALU_DEP_2)
	v_mul_hi_u32 v6, s16, v5
	v_mul_lo_u32 v9, v5, s12
	v_add_nc_u32_e32 v6, v5, v6
	s_delay_alu instid0(VALU_DEP_2) | instskip(NEXT) | instid1(VALU_DEP_2)
	v_sub_nc_u32_e32 v9, v1, v9
	v_lshrrev_b32_e32 v6, s17, v6
	s_delay_alu instid0(VALU_DEP_2) | instskip(NEXT) | instid1(VALU_DEP_2)
	v_mul_lo_u32 v9, v9, s28
	v_mul_hi_u32 v7, s19, v6
	v_mul_lo_u32 v10, v6, s15
	s_delay_alu instid0(VALU_DEP_2) | instskip(NEXT) | instid1(VALU_DEP_2)
	v_add_nc_u32_e32 v7, v6, v7
	v_sub_nc_u32_e32 v5, v5, v10
	s_delay_alu instid0(VALU_DEP_2) | instskip(NEXT) | instid1(VALU_DEP_2)
	v_lshrrev_b32_e32 v7, s24, v7
	v_mul_lo_u32 v5, v5, s29
	s_delay_alu instid0(VALU_DEP_2) | instskip(NEXT) | instid1(VALU_DEP_2)
	v_mul_hi_u32 v8, s26, v7
	v_add3_u32 v0, v9, v0, v5
	s_delay_alu instid0(VALU_DEP_2) | instskip(NEXT) | instid1(VALU_DEP_1)
	v_add_nc_u32_e32 v8, v7, v8
	v_lshrrev_b32_e32 v1, s27, v8
	v_mul_lo_u32 v8, v7, s18
	s_delay_alu instid0(VALU_DEP_2) | instskip(NEXT) | instid1(VALU_DEP_2)
	v_mul_lo_u32 v11, v1, s25
	v_sub_nc_u32_e32 v6, v6, v8
	s_delay_alu instid0(VALU_DEP_2) | instskip(NEXT) | instid1(VALU_DEP_2)
	v_sub_nc_u32_e32 v7, v7, v11
	v_mul_lo_u32 v6, v6, s30
	s_delay_alu instid0(VALU_DEP_2) | instskip(NEXT) | instid1(VALU_DEP_1)
	v_mul_lo_u32 v7, v7, s31
	v_add3_u32 v0, v6, v0, v7
	s_cbranch_scc1 .LBB173_12
; %bb.13:
	s_and_b32 s7, s7, 3
	s_delay_alu instid0(SALU_CYCLE_1)
	s_cmp_eq_u32 s7, 0
	s_cbranch_scc0 .LBB173_24
	s_branch .LBB173_26
.LBB173_14:
	s_or_b32 exec_lo, exec_lo, s28
	s_delay_alu instid0(SALU_CYCLE_1)
	s_mov_b32 s28, exec_lo
	v_cmpx_gt_i32_e64 s25, v2
	s_cbranch_execz .LBB173_77
.LBB173_15:
	s_and_not1_b32 vcc_lo, exec_lo, s22
	s_cbranch_vccnz .LBB173_22
; %bb.16:
	v_mov_b32_e32 v0, 0
	s_and_not1_b32 vcc_lo, exec_lo, s27
	s_cbranch_vccnz .LBB173_88
; %bb.17:
	s_add_i32 s30, s26, 1
	s_cmp_eq_u32 s21, 2
	s_mov_b32 s29, 0
	s_cbranch_scc1 .LBB173_84
; %bb.18:
	v_dual_mov_b32 v0, 0 :: v_dual_mov_b32 v1, v2
	s_and_b32 s29, s30, 28
	s_mov_b32 s31, 0
	s_mov_b64 s[16:17], s[0:1]
	s_mov_b64 s[18:19], s[14:15]
.LBB173_19:                             ; =>This Inner Loop Header: Depth=1
	s_clause 0x1
	s_load_b256 s[36:43], s[16:17], 0x4
	s_load_b128 s[44:47], s[16:17], 0x24
	s_load_b128 s[48:51], s[18:19], 0x0
	s_add_u32 s16, s16, 48
	s_addc_u32 s17, s17, 0
	s_add_i32 s31, s31, 4
	s_add_u32 s18, s18, 16
	s_addc_u32 s19, s19, 0
	s_cmp_eq_u32 s29, s31
	s_waitcnt lgkmcnt(0)
	v_mul_hi_u32 v3, s37, v1
	s_delay_alu instid0(VALU_DEP_1) | instskip(NEXT) | instid1(VALU_DEP_1)
	v_add_nc_u32_e32 v3, v1, v3
	v_lshrrev_b32_e32 v3, s38, v3
	s_delay_alu instid0(VALU_DEP_1) | instskip(SKIP_1) | instid1(VALU_DEP_2)
	v_mul_hi_u32 v4, s40, v3
	v_mul_lo_u32 v7, v3, s36
	v_add_nc_u32_e32 v4, v3, v4
	s_delay_alu instid0(VALU_DEP_2) | instskip(NEXT) | instid1(VALU_DEP_2)
	v_sub_nc_u32_e32 v7, v1, v7
	v_lshrrev_b32_e32 v4, s41, v4
	s_delay_alu instid0(VALU_DEP_2) | instskip(NEXT) | instid1(VALU_DEP_2)
	v_mul_lo_u32 v7, v7, s48
	v_mul_hi_u32 v5, s43, v4
	v_mul_lo_u32 v8, v4, s39
	s_delay_alu instid0(VALU_DEP_2) | instskip(NEXT) | instid1(VALU_DEP_2)
	v_add_nc_u32_e32 v5, v4, v5
	v_sub_nc_u32_e32 v3, v3, v8
	s_delay_alu instid0(VALU_DEP_2) | instskip(NEXT) | instid1(VALU_DEP_2)
	v_lshrrev_b32_e32 v5, s44, v5
	v_mul_lo_u32 v3, v3, s49
	s_delay_alu instid0(VALU_DEP_2) | instskip(NEXT) | instid1(VALU_DEP_2)
	v_mul_hi_u32 v6, s46, v5
	v_add3_u32 v0, v7, v0, v3
	s_delay_alu instid0(VALU_DEP_2) | instskip(NEXT) | instid1(VALU_DEP_1)
	v_add_nc_u32_e32 v6, v5, v6
	v_lshrrev_b32_e32 v1, s47, v6
	v_mul_lo_u32 v6, v5, s42
	s_delay_alu instid0(VALU_DEP_2) | instskip(NEXT) | instid1(VALU_DEP_2)
	v_mul_lo_u32 v9, v1, s45
	v_sub_nc_u32_e32 v4, v4, v6
	s_delay_alu instid0(VALU_DEP_2) | instskip(NEXT) | instid1(VALU_DEP_2)
	v_sub_nc_u32_e32 v5, v5, v9
	v_mul_lo_u32 v4, v4, s50
	s_delay_alu instid0(VALU_DEP_2) | instskip(NEXT) | instid1(VALU_DEP_1)
	v_mul_lo_u32 v5, v5, s51
	v_add3_u32 v0, v4, v0, v5
	s_cbranch_scc0 .LBB173_19
	s_branch .LBB173_85
.LBB173_20:
	s_mov_b32 s6, -1
                                        ; implicit-def: $vgpr0
	s_branch .LBB173_26
.LBB173_21:
                                        ; implicit-def: $vgpr0
	s_branch .LBB173_74
.LBB173_22:
                                        ; implicit-def: $vgpr0
	s_branch .LBB173_89
.LBB173_23:
	v_mov_b32_e32 v1, v2
	s_and_b32 s7, s7, 3
	s_delay_alu instid0(SALU_CYCLE_1)
	s_cmp_eq_u32 s7, 0
	s_cbranch_scc1 .LBB173_26
.LBB173_24:
	s_lshl_b32 s2, s8, 2
	s_mul_i32 s4, s8, 12
	s_add_u32 s2, s2, s0
	s_addc_u32 s3, 0, s1
	s_add_u32 s2, s2, 0xc4
	s_addc_u32 s3, s3, 0
	;; [unrolled: 2-line block ×3, first 2 shown]
	.p2align	6
.LBB173_25:                             ; =>This Inner Loop Header: Depth=1
	s_clause 0x1
	s_load_b64 s[8:9], s[4:5], 0x4
	s_load_b32 s10, s[4:5], 0xc
	s_add_u32 s4, s4, 12
	s_addc_u32 s5, s5, 0
	s_waitcnt lgkmcnt(0)
	v_mul_hi_u32 v5, s9, v1
	s_load_b32 s9, s[2:3], 0x0
	s_add_u32 s2, s2, 4
	s_addc_u32 s3, s3, 0
	s_add_i32 s7, s7, -1
	s_delay_alu instid0(SALU_CYCLE_1) | instskip(NEXT) | instid1(VALU_DEP_1)
	s_cmp_lg_u32 s7, 0
	v_add_nc_u32_e32 v5, v1, v5
	s_delay_alu instid0(VALU_DEP_1) | instskip(NEXT) | instid1(VALU_DEP_1)
	v_lshrrev_b32_e32 v7, s10, v5
	v_mul_lo_u32 v5, v7, s8
	s_delay_alu instid0(VALU_DEP_1) | instskip(SKIP_1) | instid1(VALU_DEP_1)
	v_sub_nc_u32_e32 v1, v1, v5
	s_waitcnt lgkmcnt(0)
	v_mad_u64_u32 v[5:6], null, v1, s9, v[0:1]
	s_delay_alu instid0(VALU_DEP_1)
	v_dual_mov_b32 v1, v7 :: v_dual_mov_b32 v0, v5
	s_cbranch_scc1 .LBB173_25
.LBB173_26:
	s_and_not1_b32 vcc_lo, exec_lo, s6
	s_cbranch_vccnz .LBB173_29
; %bb.27:
	s_clause 0x1
	s_load_b128 s[4:7], s[0:1], 0x4
	s_load_b32 s2, s[0:1], 0xc4
	s_cmp_lt_u32 s20, 2
	s_waitcnt lgkmcnt(0)
	v_mul_hi_u32 v0, s5, v2
	s_delay_alu instid0(VALU_DEP_1) | instskip(NEXT) | instid1(VALU_DEP_1)
	v_add_nc_u32_e32 v0, v2, v0
	v_lshrrev_b32_e32 v1, s6, v0
	s_delay_alu instid0(VALU_DEP_1) | instskip(NEXT) | instid1(VALU_DEP_1)
	v_mul_lo_u32 v0, v1, s4
	v_sub_nc_u32_e32 v0, v2, v0
	s_delay_alu instid0(VALU_DEP_1)
	v_mul_lo_u32 v0, v0, s2
	s_cbranch_scc1 .LBB173_29
; %bb.28:
	s_clause 0x1
	s_load_b128 s[4:7], s[0:1], 0x10
	s_load_b32 s2, s[0:1], 0xc8
	s_waitcnt lgkmcnt(0)
	v_mul_hi_u32 v5, s5, v1
	s_delay_alu instid0(VALU_DEP_1) | instskip(NEXT) | instid1(VALU_DEP_1)
	v_add_nc_u32_e32 v5, v1, v5
	v_lshrrev_b32_e32 v5, s6, v5
	s_delay_alu instid0(VALU_DEP_1) | instskip(NEXT) | instid1(VALU_DEP_1)
	v_mul_lo_u32 v5, v5, s4
	v_sub_nc_u32_e32 v1, v1, v5
	s_delay_alu instid0(VALU_DEP_1) | instskip(NEXT) | instid1(VALU_DEP_1)
	v_mad_u64_u32 v[5:6], null, v1, s2, v[0:1]
	v_mov_b32_e32 v0, v5
.LBB173_29:
	v_cmp_ne_u32_e32 vcc_lo, 1, v3
	v_add_nc_u32_e32 v5, 0x80, v2
	s_cbranch_vccnz .LBB173_35
; %bb.30:
	v_mov_b32_e32 v1, 0
	s_cmp_eq_u32 s20, 0
	s_mov_b32 s6, 0
	s_cbranch_scc1 .LBB173_39
; %bb.31:
	s_min_u32 s7, s21, 15
	v_mov_b32_e32 v1, 0
	s_add_i32 s7, s7, 1
	s_cmp_eq_u32 s21, 2
	s_mov_b32 s8, 0
	s_cbranch_scc1 .LBB173_36
; %bb.32:
	v_dual_mov_b32 v1, 0 :: v_dual_mov_b32 v6, v5
	s_add_u32 s2, s0, 0xc4
	s_addc_u32 s3, s1, 0
	s_and_b32 s8, s7, 28
	s_mov_b32 s9, 0
	s_mov_b64 s[4:5], s[0:1]
.LBB173_33:                             ; =>This Inner Loop Header: Depth=1
	s_clause 0x1
	s_load_b256 s[12:19], s[4:5], 0x4
	s_load_b128 s[24:27], s[4:5], 0x24
	s_load_b128 s[28:31], s[2:3], 0x0
	s_add_u32 s4, s4, 48
	s_addc_u32 s5, s5, 0
	s_add_i32 s9, s9, 4
	s_add_u32 s2, s2, 16
	s_addc_u32 s3, s3, 0
	s_cmp_lg_u32 s8, s9
	s_waitcnt lgkmcnt(0)
	v_mul_hi_u32 v7, s13, v6
	s_delay_alu instid0(VALU_DEP_1) | instskip(NEXT) | instid1(VALU_DEP_1)
	v_add_nc_u32_e32 v7, v6, v7
	v_lshrrev_b32_e32 v7, s14, v7
	s_delay_alu instid0(VALU_DEP_1) | instskip(SKIP_1) | instid1(VALU_DEP_2)
	v_mul_hi_u32 v8, s16, v7
	v_mul_lo_u32 v11, v7, s12
	v_add_nc_u32_e32 v8, v7, v8
	s_delay_alu instid0(VALU_DEP_2) | instskip(NEXT) | instid1(VALU_DEP_2)
	v_sub_nc_u32_e32 v11, v6, v11
	v_lshrrev_b32_e32 v8, s17, v8
	s_delay_alu instid0(VALU_DEP_2) | instskip(NEXT) | instid1(VALU_DEP_2)
	v_mul_lo_u32 v11, v11, s28
	v_mul_hi_u32 v9, s19, v8
	v_mul_lo_u32 v12, v8, s15
	s_delay_alu instid0(VALU_DEP_2) | instskip(NEXT) | instid1(VALU_DEP_2)
	v_add_nc_u32_e32 v9, v8, v9
	v_sub_nc_u32_e32 v7, v7, v12
	s_delay_alu instid0(VALU_DEP_2) | instskip(NEXT) | instid1(VALU_DEP_2)
	v_lshrrev_b32_e32 v9, s24, v9
	v_mul_lo_u32 v7, v7, s29
	s_delay_alu instid0(VALU_DEP_2) | instskip(NEXT) | instid1(VALU_DEP_2)
	v_mul_hi_u32 v10, s26, v9
	v_add3_u32 v1, v11, v1, v7
	s_delay_alu instid0(VALU_DEP_2) | instskip(NEXT) | instid1(VALU_DEP_1)
	v_add_nc_u32_e32 v10, v9, v10
	v_lshrrev_b32_e32 v6, s27, v10
	v_mul_lo_u32 v10, v9, s18
	s_delay_alu instid0(VALU_DEP_2) | instskip(NEXT) | instid1(VALU_DEP_2)
	v_mul_lo_u32 v13, v6, s25
	v_sub_nc_u32_e32 v8, v8, v10
	s_delay_alu instid0(VALU_DEP_2) | instskip(NEXT) | instid1(VALU_DEP_2)
	v_sub_nc_u32_e32 v9, v9, v13
	v_mul_lo_u32 v8, v8, s30
	s_delay_alu instid0(VALU_DEP_2) | instskip(NEXT) | instid1(VALU_DEP_1)
	v_mul_lo_u32 v9, v9, s31
	v_add3_u32 v1, v8, v1, v9
	s_cbranch_scc1 .LBB173_33
; %bb.34:
	s_and_b32 s7, s7, 3
	s_delay_alu instid0(SALU_CYCLE_1)
	s_cmp_eq_u32 s7, 0
	s_cbranch_scc0 .LBB173_37
	s_branch .LBB173_39
.LBB173_35:
	s_mov_b32 s6, -1
                                        ; implicit-def: $vgpr1
	s_branch .LBB173_39
.LBB173_36:
	v_mov_b32_e32 v6, v5
	s_and_b32 s7, s7, 3
	s_delay_alu instid0(SALU_CYCLE_1)
	s_cmp_eq_u32 s7, 0
	s_cbranch_scc1 .LBB173_39
.LBB173_37:
	s_lshl_b32 s2, s8, 2
	s_mul_i32 s4, s8, 12
	s_add_u32 s2, s2, s0
	s_addc_u32 s3, 0, s1
	s_add_u32 s2, s2, 0xc4
	s_addc_u32 s3, s3, 0
	;; [unrolled: 2-line block ×3, first 2 shown]
	.p2align	6
.LBB173_38:                             ; =>This Inner Loop Header: Depth=1
	s_clause 0x1
	s_load_b64 s[8:9], s[4:5], 0x4
	s_load_b32 s10, s[4:5], 0xc
	s_add_u32 s4, s4, 12
	s_addc_u32 s5, s5, 0
	s_waitcnt lgkmcnt(0)
	v_mul_hi_u32 v7, s9, v6
	s_load_b32 s9, s[2:3], 0x0
	s_add_u32 s2, s2, 4
	s_addc_u32 s3, s3, 0
	s_add_i32 s7, s7, -1
	s_delay_alu instid0(SALU_CYCLE_1) | instskip(NEXT) | instid1(VALU_DEP_1)
	s_cmp_lg_u32 s7, 0
	v_add_nc_u32_e32 v7, v6, v7
	s_delay_alu instid0(VALU_DEP_1) | instskip(NEXT) | instid1(VALU_DEP_1)
	v_lshrrev_b32_e32 v9, s10, v7
	v_mul_lo_u32 v7, v9, s8
	s_delay_alu instid0(VALU_DEP_1) | instskip(SKIP_1) | instid1(VALU_DEP_1)
	v_sub_nc_u32_e32 v6, v6, v7
	s_waitcnt lgkmcnt(0)
	v_mad_u64_u32 v[7:8], null, v6, s9, v[1:2]
	s_delay_alu instid0(VALU_DEP_1)
	v_dual_mov_b32 v6, v9 :: v_dual_mov_b32 v1, v7
	s_cbranch_scc1 .LBB173_38
.LBB173_39:
	s_and_not1_b32 vcc_lo, exec_lo, s6
	s_cbranch_vccnz .LBB173_42
; %bb.40:
	s_clause 0x1
	s_load_b128 s[4:7], s[0:1], 0x4
	s_load_b32 s2, s[0:1], 0xc4
	s_cmp_lt_u32 s20, 2
	s_waitcnt lgkmcnt(0)
	v_mul_hi_u32 v1, s5, v5
	s_delay_alu instid0(VALU_DEP_1) | instskip(NEXT) | instid1(VALU_DEP_1)
	v_add_nc_u32_e32 v1, v5, v1
	v_lshrrev_b32_e32 v6, s6, v1
	s_delay_alu instid0(VALU_DEP_1) | instskip(NEXT) | instid1(VALU_DEP_1)
	v_mul_lo_u32 v1, v6, s4
	v_sub_nc_u32_e32 v1, v5, v1
	s_delay_alu instid0(VALU_DEP_1)
	v_mul_lo_u32 v1, v1, s2
	s_cbranch_scc1 .LBB173_42
; %bb.41:
	s_clause 0x1
	s_load_b128 s[4:7], s[0:1], 0x10
	s_load_b32 s2, s[0:1], 0xc8
	s_waitcnt lgkmcnt(0)
	v_mul_hi_u32 v5, s5, v6
	s_delay_alu instid0(VALU_DEP_1) | instskip(NEXT) | instid1(VALU_DEP_1)
	v_add_nc_u32_e32 v5, v6, v5
	v_lshrrev_b32_e32 v5, s6, v5
	s_delay_alu instid0(VALU_DEP_1) | instskip(NEXT) | instid1(VALU_DEP_1)
	v_mul_lo_u32 v5, v5, s4
	v_sub_nc_u32_e32 v7, v6, v5
	s_delay_alu instid0(VALU_DEP_1) | instskip(NEXT) | instid1(VALU_DEP_1)
	v_mad_u64_u32 v[5:6], null, v7, s2, v[1:2]
	v_mov_b32_e32 v1, v5
.LBB173_42:
	v_cmp_ne_u32_e32 vcc_lo, 1, v3
	v_add_nc_u32_e32 v5, 0x100, v2
	s_cbranch_vccnz .LBB173_48
; %bb.43:
	v_mov_b32_e32 v2, 0
	s_cmp_eq_u32 s20, 0
	s_mov_b32 s6, 0
	s_cbranch_scc1 .LBB173_52
; %bb.44:
	s_min_u32 s7, s21, 15
	v_mov_b32_e32 v2, 0
	s_add_i32 s7, s7, 1
	s_cmp_eq_u32 s21, 2
	s_mov_b32 s8, 0
	s_cbranch_scc1 .LBB173_49
; %bb.45:
	v_mov_b32_e32 v2, 0
	v_mov_b32_e32 v6, v5
	s_add_u32 s2, s0, 0xc4
	s_addc_u32 s3, s1, 0
	s_and_b32 s8, s7, 28
	s_mov_b32 s9, 0
	s_mov_b64 s[4:5], s[0:1]
.LBB173_46:                             ; =>This Inner Loop Header: Depth=1
	s_clause 0x1
	s_load_b256 s[12:19], s[4:5], 0x4
	s_load_b128 s[24:27], s[4:5], 0x24
	s_load_b128 s[28:31], s[2:3], 0x0
	s_add_u32 s4, s4, 48
	s_addc_u32 s5, s5, 0
	s_add_i32 s9, s9, 4
	s_add_u32 s2, s2, 16
	s_addc_u32 s3, s3, 0
	s_cmp_lg_u32 s8, s9
	s_waitcnt lgkmcnt(0)
	v_mul_hi_u32 v7, s13, v6
	s_delay_alu instid0(VALU_DEP_1) | instskip(NEXT) | instid1(VALU_DEP_1)
	v_add_nc_u32_e32 v7, v6, v7
	v_lshrrev_b32_e32 v7, s14, v7
	s_delay_alu instid0(VALU_DEP_1) | instskip(SKIP_1) | instid1(VALU_DEP_2)
	v_mul_hi_u32 v8, s16, v7
	v_mul_lo_u32 v11, v7, s12
	v_add_nc_u32_e32 v8, v7, v8
	s_delay_alu instid0(VALU_DEP_2) | instskip(NEXT) | instid1(VALU_DEP_2)
	v_sub_nc_u32_e32 v11, v6, v11
	v_lshrrev_b32_e32 v8, s17, v8
	s_delay_alu instid0(VALU_DEP_2) | instskip(NEXT) | instid1(VALU_DEP_2)
	v_mul_lo_u32 v11, v11, s28
	v_mul_hi_u32 v9, s19, v8
	v_mul_lo_u32 v12, v8, s15
	s_delay_alu instid0(VALU_DEP_2) | instskip(NEXT) | instid1(VALU_DEP_2)
	v_add_nc_u32_e32 v9, v8, v9
	v_sub_nc_u32_e32 v7, v7, v12
	s_delay_alu instid0(VALU_DEP_2) | instskip(NEXT) | instid1(VALU_DEP_2)
	v_lshrrev_b32_e32 v9, s24, v9
	v_mul_lo_u32 v7, v7, s29
	s_delay_alu instid0(VALU_DEP_2) | instskip(NEXT) | instid1(VALU_DEP_2)
	v_mul_hi_u32 v10, s26, v9
	v_add3_u32 v2, v11, v2, v7
	s_delay_alu instid0(VALU_DEP_2) | instskip(NEXT) | instid1(VALU_DEP_1)
	v_add_nc_u32_e32 v10, v9, v10
	v_lshrrev_b32_e32 v6, s27, v10
	v_mul_lo_u32 v10, v9, s18
	s_delay_alu instid0(VALU_DEP_2) | instskip(NEXT) | instid1(VALU_DEP_2)
	v_mul_lo_u32 v13, v6, s25
	v_sub_nc_u32_e32 v8, v8, v10
	s_delay_alu instid0(VALU_DEP_2) | instskip(NEXT) | instid1(VALU_DEP_2)
	v_sub_nc_u32_e32 v9, v9, v13
	v_mul_lo_u32 v8, v8, s30
	s_delay_alu instid0(VALU_DEP_2) | instskip(NEXT) | instid1(VALU_DEP_1)
	v_mul_lo_u32 v9, v9, s31
	v_add3_u32 v2, v8, v2, v9
	s_cbranch_scc1 .LBB173_46
; %bb.47:
	s_and_b32 s7, s7, 3
	s_delay_alu instid0(SALU_CYCLE_1)
	s_cmp_eq_u32 s7, 0
	s_cbranch_scc0 .LBB173_50
	s_branch .LBB173_52
.LBB173_48:
	s_mov_b32 s6, -1
                                        ; implicit-def: $vgpr2
	s_branch .LBB173_52
.LBB173_49:
	v_mov_b32_e32 v6, v5
	s_and_b32 s7, s7, 3
	s_delay_alu instid0(SALU_CYCLE_1)
	s_cmp_eq_u32 s7, 0
	s_cbranch_scc1 .LBB173_52
.LBB173_50:
	s_lshl_b32 s2, s8, 2
	s_mul_i32 s4, s8, 12
	s_add_u32 s2, s2, s0
	s_addc_u32 s3, 0, s1
	s_add_u32 s2, s2, 0xc4
	s_addc_u32 s3, s3, 0
	;; [unrolled: 2-line block ×3, first 2 shown]
	.p2align	6
.LBB173_51:                             ; =>This Inner Loop Header: Depth=1
	s_clause 0x1
	s_load_b64 s[8:9], s[4:5], 0x4
	s_load_b32 s10, s[4:5], 0xc
	s_add_u32 s4, s4, 12
	s_addc_u32 s5, s5, 0
	s_waitcnt lgkmcnt(0)
	v_mul_hi_u32 v7, s9, v6
	s_load_b32 s9, s[2:3], 0x0
	s_add_u32 s2, s2, 4
	s_addc_u32 s3, s3, 0
	s_add_i32 s7, s7, -1
	s_delay_alu instid0(SALU_CYCLE_1) | instskip(NEXT) | instid1(VALU_DEP_1)
	s_cmp_lg_u32 s7, 0
	v_add_nc_u32_e32 v7, v6, v7
	s_delay_alu instid0(VALU_DEP_1) | instskip(NEXT) | instid1(VALU_DEP_1)
	v_lshrrev_b32_e32 v9, s10, v7
	v_mul_lo_u32 v7, v9, s8
	s_delay_alu instid0(VALU_DEP_1) | instskip(SKIP_1) | instid1(VALU_DEP_1)
	v_sub_nc_u32_e32 v6, v6, v7
	s_waitcnt lgkmcnt(0)
	v_mad_u64_u32 v[7:8], null, v6, s9, v[2:3]
	v_mov_b32_e32 v6, v9
	s_delay_alu instid0(VALU_DEP_2)
	v_mov_b32_e32 v2, v7
	s_cbranch_scc1 .LBB173_51
.LBB173_52:
	s_and_not1_b32 vcc_lo, exec_lo, s6
	s_cbranch_vccnz .LBB173_55
; %bb.53:
	s_clause 0x1
	s_load_b128 s[4:7], s[0:1], 0x4
	s_load_b32 s2, s[0:1], 0xc4
	s_cmp_lt_u32 s20, 2
	s_waitcnt lgkmcnt(0)
	v_mul_hi_u32 v2, s5, v5
	s_delay_alu instid0(VALU_DEP_1) | instskip(NEXT) | instid1(VALU_DEP_1)
	v_add_nc_u32_e32 v2, v5, v2
	v_lshrrev_b32_e32 v6, s6, v2
	s_delay_alu instid0(VALU_DEP_1) | instskip(NEXT) | instid1(VALU_DEP_1)
	v_mul_lo_u32 v2, v6, s4
	v_sub_nc_u32_e32 v2, v5, v2
	s_delay_alu instid0(VALU_DEP_1)
	v_mul_lo_u32 v2, v2, s2
	s_cbranch_scc1 .LBB173_55
; %bb.54:
	s_clause 0x1
	s_load_b128 s[4:7], s[0:1], 0x10
	s_load_b32 s2, s[0:1], 0xc8
	s_waitcnt lgkmcnt(0)
	v_mul_hi_u32 v5, s5, v6
	s_delay_alu instid0(VALU_DEP_1) | instskip(NEXT) | instid1(VALU_DEP_1)
	v_add_nc_u32_e32 v5, v6, v5
	v_lshrrev_b32_e32 v5, s6, v5
	s_delay_alu instid0(VALU_DEP_1) | instskip(NEXT) | instid1(VALU_DEP_1)
	v_mul_lo_u32 v5, v5, s4
	v_sub_nc_u32_e32 v7, v6, v5
	s_delay_alu instid0(VALU_DEP_1) | instskip(NEXT) | instid1(VALU_DEP_1)
	v_mad_u64_u32 v[5:6], null, v7, s2, v[2:3]
	v_mov_b32_e32 v2, v5
.LBB173_55:
	v_cmp_ne_u32_e32 vcc_lo, 1, v3
	s_cbranch_vccnz .LBB173_61
; %bb.56:
	v_mov_b32_e32 v3, 0
	s_cmp_eq_u32 s20, 0
	s_mov_b32 s6, 0
	s_cbranch_scc1 .LBB173_65
; %bb.57:
	s_min_u32 s7, s21, 15
	v_mov_b32_e32 v3, 0
	s_add_i32 s7, s7, 1
	s_cmp_eq_u32 s21, 2
	s_mov_b32 s8, 0
	s_cbranch_scc1 .LBB173_62
; %bb.58:
	v_mov_b32_e32 v3, 0
	v_mov_b32_e32 v5, v4
	s_add_u32 s2, s0, 0xc4
	s_addc_u32 s3, s1, 0
	s_and_b32 s8, s7, 28
	s_mov_b32 s9, 0
	s_mov_b64 s[4:5], s[0:1]
.LBB173_59:                             ; =>This Inner Loop Header: Depth=1
	s_clause 0x1
	s_load_b256 s[12:19], s[4:5], 0x4
	s_load_b128 s[24:27], s[4:5], 0x24
	s_load_b128 s[28:31], s[2:3], 0x0
	s_add_u32 s4, s4, 48
	s_addc_u32 s5, s5, 0
	s_add_i32 s9, s9, 4
	s_add_u32 s2, s2, 16
	s_addc_u32 s3, s3, 0
	s_cmp_lg_u32 s8, s9
	s_waitcnt lgkmcnt(0)
	v_mul_hi_u32 v6, s13, v5
	s_delay_alu instid0(VALU_DEP_1) | instskip(NEXT) | instid1(VALU_DEP_1)
	v_add_nc_u32_e32 v6, v5, v6
	v_lshrrev_b32_e32 v6, s14, v6
	s_delay_alu instid0(VALU_DEP_1) | instskip(SKIP_1) | instid1(VALU_DEP_2)
	v_mul_hi_u32 v7, s16, v6
	v_mul_lo_u32 v10, v6, s12
	v_add_nc_u32_e32 v7, v6, v7
	s_delay_alu instid0(VALU_DEP_2) | instskip(NEXT) | instid1(VALU_DEP_2)
	v_sub_nc_u32_e32 v10, v5, v10
	v_lshrrev_b32_e32 v7, s17, v7
	s_delay_alu instid0(VALU_DEP_2) | instskip(NEXT) | instid1(VALU_DEP_2)
	v_mul_lo_u32 v10, v10, s28
	v_mul_hi_u32 v8, s19, v7
	v_mul_lo_u32 v11, v7, s15
	s_delay_alu instid0(VALU_DEP_2) | instskip(NEXT) | instid1(VALU_DEP_2)
	v_add_nc_u32_e32 v8, v7, v8
	v_sub_nc_u32_e32 v6, v6, v11
	s_delay_alu instid0(VALU_DEP_2) | instskip(NEXT) | instid1(VALU_DEP_2)
	v_lshrrev_b32_e32 v8, s24, v8
	v_mul_lo_u32 v6, v6, s29
	s_delay_alu instid0(VALU_DEP_2) | instskip(NEXT) | instid1(VALU_DEP_2)
	v_mul_hi_u32 v9, s26, v8
	v_add3_u32 v3, v10, v3, v6
	s_delay_alu instid0(VALU_DEP_2) | instskip(NEXT) | instid1(VALU_DEP_1)
	v_add_nc_u32_e32 v9, v8, v9
	v_lshrrev_b32_e32 v5, s27, v9
	v_mul_lo_u32 v9, v8, s18
	s_delay_alu instid0(VALU_DEP_2) | instskip(NEXT) | instid1(VALU_DEP_2)
	v_mul_lo_u32 v12, v5, s25
	v_sub_nc_u32_e32 v7, v7, v9
	s_delay_alu instid0(VALU_DEP_2) | instskip(NEXT) | instid1(VALU_DEP_2)
	v_sub_nc_u32_e32 v8, v8, v12
	v_mul_lo_u32 v7, v7, s30
	s_delay_alu instid0(VALU_DEP_2) | instskip(NEXT) | instid1(VALU_DEP_1)
	v_mul_lo_u32 v8, v8, s31
	v_add3_u32 v3, v7, v3, v8
	s_cbranch_scc1 .LBB173_59
; %bb.60:
	s_and_b32 s7, s7, 3
	s_delay_alu instid0(SALU_CYCLE_1)
	s_cmp_eq_u32 s7, 0
	s_cbranch_scc0 .LBB173_63
	s_branch .LBB173_65
.LBB173_61:
	s_mov_b32 s6, -1
                                        ; implicit-def: $vgpr3
	s_branch .LBB173_65
.LBB173_62:
	v_mov_b32_e32 v5, v4
	s_and_b32 s7, s7, 3
	s_delay_alu instid0(SALU_CYCLE_1)
	s_cmp_eq_u32 s7, 0
	s_cbranch_scc1 .LBB173_65
.LBB173_63:
	s_lshl_b32 s2, s8, 2
	s_mul_i32 s4, s8, 12
	s_add_u32 s2, s2, s0
	s_addc_u32 s3, 0, s1
	s_add_u32 s2, s2, 0xc4
	s_addc_u32 s3, s3, 0
	;; [unrolled: 2-line block ×3, first 2 shown]
	.p2align	6
.LBB173_64:                             ; =>This Inner Loop Header: Depth=1
	s_clause 0x1
	s_load_b64 s[8:9], s[4:5], 0x4
	s_load_b32 s10, s[4:5], 0xc
	s_add_u32 s4, s4, 12
	s_addc_u32 s5, s5, 0
	s_waitcnt lgkmcnt(0)
	v_mul_hi_u32 v6, s9, v5
	s_load_b32 s9, s[2:3], 0x0
	s_add_u32 s2, s2, 4
	s_addc_u32 s3, s3, 0
	s_add_i32 s7, s7, -1
	s_delay_alu instid0(SALU_CYCLE_1) | instskip(NEXT) | instid1(VALU_DEP_1)
	s_cmp_lg_u32 s7, 0
	v_add_nc_u32_e32 v6, v5, v6
	s_delay_alu instid0(VALU_DEP_1) | instskip(NEXT) | instid1(VALU_DEP_1)
	v_lshrrev_b32_e32 v8, s10, v6
	v_mul_lo_u32 v6, v8, s8
	s_delay_alu instid0(VALU_DEP_1) | instskip(SKIP_1) | instid1(VALU_DEP_1)
	v_sub_nc_u32_e32 v5, v5, v6
	s_waitcnt lgkmcnt(0)
	v_mad_u64_u32 v[6:7], null, v5, s9, v[3:4]
	v_mov_b32_e32 v5, v8
	s_delay_alu instid0(VALU_DEP_2)
	v_mov_b32_e32 v3, v6
	s_cbranch_scc1 .LBB173_64
.LBB173_65:
	s_and_not1_b32 vcc_lo, exec_lo, s6
	s_cbranch_vccnz .LBB173_68
; %bb.66:
	s_clause 0x1
	s_load_b128 s[4:7], s[0:1], 0x4
	s_load_b32 s2, s[0:1], 0xc4
	s_cmp_lt_u32 s20, 2
	s_waitcnt lgkmcnt(0)
	v_mul_hi_u32 v3, s5, v4
	s_delay_alu instid0(VALU_DEP_1) | instskip(NEXT) | instid1(VALU_DEP_1)
	v_add_nc_u32_e32 v3, v4, v3
	v_lshrrev_b32_e32 v5, s6, v3
	s_delay_alu instid0(VALU_DEP_1) | instskip(NEXT) | instid1(VALU_DEP_1)
	v_mul_lo_u32 v3, v5, s4
	v_sub_nc_u32_e32 v3, v4, v3
	s_delay_alu instid0(VALU_DEP_1)
	v_mul_lo_u32 v3, v3, s2
	s_cbranch_scc1 .LBB173_68
; %bb.67:
	s_clause 0x1
	s_load_b128 s[4:7], s[0:1], 0x10
	s_load_b32 s2, s[0:1], 0xc8
	s_waitcnt lgkmcnt(0)
	v_mul_hi_u32 v4, s5, v5
	s_delay_alu instid0(VALU_DEP_1) | instskip(NEXT) | instid1(VALU_DEP_1)
	v_add_nc_u32_e32 v4, v5, v4
	v_lshrrev_b32_e32 v4, s6, v4
	s_delay_alu instid0(VALU_DEP_1) | instskip(NEXT) | instid1(VALU_DEP_1)
	v_mul_lo_u32 v4, v4, s4
	v_sub_nc_u32_e32 v6, v5, v4
	s_delay_alu instid0(VALU_DEP_1) | instskip(NEXT) | instid1(VALU_DEP_1)
	v_mad_u64_u32 v[4:5], null, v6, s2, v[3:4]
	v_mov_b32_e32 v3, v4
.LBB173_68:
	s_load_b128 s[0:3], s[0:1], 0x108
	s_waitcnt lgkmcnt(0)
	v_dual_mov_b32 v5, s3 :: v_dual_mov_b32 v4, s2
	s_clause 0x3
	global_store_b64 v0, v[4:5], s[0:1]
	global_store_b64 v1, v[4:5], s[0:1]
	;; [unrolled: 1-line block ×4, first 2 shown]
	s_nop 0
	s_sendmsg sendmsg(MSG_DEALLOC_VGPRS)
	s_endpgm
.LBB173_69:
	v_mov_b32_e32 v1, v2
.LBB173_70:
	s_and_b32 s30, s30, 3
	s_delay_alu instid0(SALU_CYCLE_1)
	s_cmp_eq_u32 s30, 0
	s_cbranch_scc1 .LBB173_73
; %bb.71:
	s_lshl_b32 s16, s29, 2
	s_mul_i32 s18, s29, 12
	s_add_u32 s16, s16, s0
	s_addc_u32 s17, s1, 0
	s_add_u32 s16, s16, 0xc4
	s_addc_u32 s17, s17, 0
	s_add_u32 s18, s0, s18
	s_addc_u32 s19, s1, 0
	.p2align	6
.LBB173_72:                             ; =>This Inner Loop Header: Depth=1
	s_clause 0x1
	s_load_b64 s[34:35], s[18:19], 0x4
	s_load_b32 s29, s[18:19], 0xc
	s_load_b32 s31, s[16:17], 0x0
	s_add_u32 s18, s18, 12
	s_addc_u32 s19, s19, 0
	s_add_u32 s16, s16, 4
	s_addc_u32 s17, s17, 0
	s_add_i32 s30, s30, -1
	s_delay_alu instid0(SALU_CYCLE_1) | instskip(SKIP_2) | instid1(VALU_DEP_1)
	s_cmp_lg_u32 s30, 0
	s_waitcnt lgkmcnt(0)
	v_mul_hi_u32 v3, s35, v1
	v_add_nc_u32_e32 v3, v1, v3
	s_delay_alu instid0(VALU_DEP_1) | instskip(NEXT) | instid1(VALU_DEP_1)
	v_lshrrev_b32_e32 v5, s29, v3
	v_mul_lo_u32 v3, v5, s34
	s_delay_alu instid0(VALU_DEP_1) | instskip(NEXT) | instid1(VALU_DEP_1)
	v_sub_nc_u32_e32 v1, v1, v3
	v_mad_u64_u32 v[3:4], null, v1, s31, v[0:1]
	s_delay_alu instid0(VALU_DEP_1)
	v_dual_mov_b32 v1, v5 :: v_dual_mov_b32 v0, v3
	s_cbranch_scc1 .LBB173_72
.LBB173_73:
	s_cbranch_execnz .LBB173_76
.LBB173_74:
	s_waitcnt lgkmcnt(0)
	v_mul_hi_u32 v0, s9, v2
	s_and_not1_b32 vcc_lo, exec_lo, s24
	s_delay_alu instid0(VALU_DEP_1) | instskip(NEXT) | instid1(VALU_DEP_1)
	v_add_nc_u32_e32 v0, v2, v0
	v_lshrrev_b32_e32 v1, s10, v0
	s_delay_alu instid0(VALU_DEP_1) | instskip(NEXT) | instid1(VALU_DEP_1)
	v_mul_lo_u32 v0, v1, s8
	v_sub_nc_u32_e32 v0, v2, v0
	s_delay_alu instid0(VALU_DEP_1)
	v_mul_lo_u32 v0, v0, s2
	s_cbranch_vccnz .LBB173_76
; %bb.75:
	v_mul_hi_u32 v3, s12, v1
	s_delay_alu instid0(VALU_DEP_1) | instskip(NEXT) | instid1(VALU_DEP_1)
	v_add_nc_u32_e32 v3, v1, v3
	v_lshrrev_b32_e32 v3, s13, v3
	s_delay_alu instid0(VALU_DEP_1) | instskip(NEXT) | instid1(VALU_DEP_1)
	v_mul_lo_u32 v3, v3, s11
	v_sub_nc_u32_e32 v1, v1, v3
	s_delay_alu instid0(VALU_DEP_1) | instskip(NEXT) | instid1(VALU_DEP_1)
	v_mad_u64_u32 v[3:4], null, v1, s3, v[0:1]
	v_mov_b32_e32 v0, v3
.LBB173_76:
	s_waitcnt lgkmcnt(0)
	v_dual_mov_b32 v3, s6 :: v_dual_mov_b32 v4, s7
	v_add_nc_u32_e32 v2, 0x80, v2
	global_store_b64 v0, v[3:4], s[4:5]
	s_or_b32 exec_lo, exec_lo, s28
	s_delay_alu instid0(SALU_CYCLE_1)
	s_mov_b32 s28, exec_lo
	v_cmpx_gt_i32_e64 s25, v2
	s_cbranch_execnz .LBB173_15
.LBB173_77:
	s_or_b32 exec_lo, exec_lo, s28
	s_delay_alu instid0(SALU_CYCLE_1)
	s_mov_b32 s28, exec_lo
	v_cmpx_gt_i32_e64 s25, v2
	s_cbranch_execz .LBB173_92
.LBB173_78:
	s_and_not1_b32 vcc_lo, exec_lo, s22
	s_cbranch_vccnz .LBB173_83
; %bb.79:
	v_mov_b32_e32 v0, 0
	s_and_not1_b32 vcc_lo, exec_lo, s27
	s_cbranch_vccnz .LBB173_99
; %bb.80:
	s_add_i32 s30, s26, 1
	s_cmp_eq_u32 s21, 2
	s_mov_b32 s29, 0
	s_cbranch_scc1 .LBB173_95
; %bb.81:
	v_dual_mov_b32 v0, 0 :: v_dual_mov_b32 v1, v2
	s_and_b32 s29, s30, 28
	s_mov_b32 s31, 0
	s_mov_b64 s[16:17], s[0:1]
	s_mov_b64 s[18:19], s[14:15]
.LBB173_82:                             ; =>This Inner Loop Header: Depth=1
	s_clause 0x1
	s_load_b256 s[36:43], s[16:17], 0x4
	s_load_b128 s[44:47], s[16:17], 0x24
	s_load_b128 s[48:51], s[18:19], 0x0
	s_add_u32 s16, s16, 48
	s_addc_u32 s17, s17, 0
	s_add_i32 s31, s31, 4
	s_add_u32 s18, s18, 16
	s_addc_u32 s19, s19, 0
	s_cmp_eq_u32 s29, s31
	s_waitcnt lgkmcnt(0)
	v_mul_hi_u32 v3, s37, v1
	s_delay_alu instid0(VALU_DEP_1) | instskip(NEXT) | instid1(VALU_DEP_1)
	v_add_nc_u32_e32 v3, v1, v3
	v_lshrrev_b32_e32 v3, s38, v3
	s_delay_alu instid0(VALU_DEP_1) | instskip(SKIP_1) | instid1(VALU_DEP_2)
	v_mul_hi_u32 v4, s40, v3
	v_mul_lo_u32 v7, v3, s36
	v_add_nc_u32_e32 v4, v3, v4
	s_delay_alu instid0(VALU_DEP_2) | instskip(NEXT) | instid1(VALU_DEP_2)
	v_sub_nc_u32_e32 v7, v1, v7
	v_lshrrev_b32_e32 v4, s41, v4
	s_delay_alu instid0(VALU_DEP_2) | instskip(NEXT) | instid1(VALU_DEP_2)
	v_mul_lo_u32 v7, v7, s48
	v_mul_hi_u32 v5, s43, v4
	v_mul_lo_u32 v8, v4, s39
	s_delay_alu instid0(VALU_DEP_2) | instskip(NEXT) | instid1(VALU_DEP_2)
	v_add_nc_u32_e32 v5, v4, v5
	v_sub_nc_u32_e32 v3, v3, v8
	s_delay_alu instid0(VALU_DEP_2) | instskip(NEXT) | instid1(VALU_DEP_2)
	v_lshrrev_b32_e32 v5, s44, v5
	v_mul_lo_u32 v3, v3, s49
	s_delay_alu instid0(VALU_DEP_2) | instskip(NEXT) | instid1(VALU_DEP_2)
	v_mul_hi_u32 v6, s46, v5
	v_add3_u32 v0, v7, v0, v3
	s_delay_alu instid0(VALU_DEP_2) | instskip(NEXT) | instid1(VALU_DEP_1)
	v_add_nc_u32_e32 v6, v5, v6
	v_lshrrev_b32_e32 v1, s47, v6
	v_mul_lo_u32 v6, v5, s42
	s_delay_alu instid0(VALU_DEP_2) | instskip(NEXT) | instid1(VALU_DEP_2)
	v_mul_lo_u32 v9, v1, s45
	v_sub_nc_u32_e32 v4, v4, v6
	s_delay_alu instid0(VALU_DEP_2) | instskip(NEXT) | instid1(VALU_DEP_2)
	v_sub_nc_u32_e32 v5, v5, v9
	v_mul_lo_u32 v4, v4, s50
	s_delay_alu instid0(VALU_DEP_2) | instskip(NEXT) | instid1(VALU_DEP_1)
	v_mul_lo_u32 v5, v5, s51
	v_add3_u32 v0, v4, v0, v5
	s_cbranch_scc0 .LBB173_82
	s_branch .LBB173_96
.LBB173_83:
                                        ; implicit-def: $vgpr0
	s_branch .LBB173_100
.LBB173_84:
	v_mov_b32_e32 v1, v2
.LBB173_85:
	s_and_b32 s30, s30, 3
	s_delay_alu instid0(SALU_CYCLE_1)
	s_cmp_eq_u32 s30, 0
	s_cbranch_scc1 .LBB173_88
; %bb.86:
	s_lshl_b32 s16, s29, 2
	s_mul_i32 s18, s29, 12
	s_add_u32 s16, s16, s0
	s_addc_u32 s17, s1, 0
	s_add_u32 s16, s16, 0xc4
	s_addc_u32 s17, s17, 0
	;; [unrolled: 2-line block ×3, first 2 shown]
	.p2align	6
.LBB173_87:                             ; =>This Inner Loop Header: Depth=1
	s_clause 0x1
	s_load_b64 s[34:35], s[18:19], 0x4
	s_load_b32 s29, s[18:19], 0xc
	s_load_b32 s31, s[16:17], 0x0
	s_add_u32 s18, s18, 12
	s_addc_u32 s19, s19, 0
	s_add_u32 s16, s16, 4
	s_addc_u32 s17, s17, 0
	s_add_i32 s30, s30, -1
	s_delay_alu instid0(SALU_CYCLE_1) | instskip(SKIP_2) | instid1(VALU_DEP_1)
	s_cmp_lg_u32 s30, 0
	s_waitcnt lgkmcnt(0)
	v_mul_hi_u32 v3, s35, v1
	v_add_nc_u32_e32 v3, v1, v3
	s_delay_alu instid0(VALU_DEP_1) | instskip(NEXT) | instid1(VALU_DEP_1)
	v_lshrrev_b32_e32 v5, s29, v3
	v_mul_lo_u32 v3, v5, s34
	s_delay_alu instid0(VALU_DEP_1) | instskip(NEXT) | instid1(VALU_DEP_1)
	v_sub_nc_u32_e32 v1, v1, v3
	v_mad_u64_u32 v[3:4], null, v1, s31, v[0:1]
	s_delay_alu instid0(VALU_DEP_1)
	v_dual_mov_b32 v1, v5 :: v_dual_mov_b32 v0, v3
	s_cbranch_scc1 .LBB173_87
.LBB173_88:
	s_cbranch_execnz .LBB173_91
.LBB173_89:
	s_waitcnt lgkmcnt(0)
	v_mul_hi_u32 v0, s9, v2
	s_and_not1_b32 vcc_lo, exec_lo, s24
	s_delay_alu instid0(VALU_DEP_1) | instskip(NEXT) | instid1(VALU_DEP_1)
	v_add_nc_u32_e32 v0, v2, v0
	v_lshrrev_b32_e32 v1, s10, v0
	s_delay_alu instid0(VALU_DEP_1) | instskip(NEXT) | instid1(VALU_DEP_1)
	v_mul_lo_u32 v0, v1, s8
	v_sub_nc_u32_e32 v0, v2, v0
	s_delay_alu instid0(VALU_DEP_1)
	v_mul_lo_u32 v0, v0, s2
	s_cbranch_vccnz .LBB173_91
; %bb.90:
	v_mul_hi_u32 v3, s12, v1
	s_delay_alu instid0(VALU_DEP_1) | instskip(NEXT) | instid1(VALU_DEP_1)
	v_add_nc_u32_e32 v3, v1, v3
	v_lshrrev_b32_e32 v3, s13, v3
	s_delay_alu instid0(VALU_DEP_1) | instskip(NEXT) | instid1(VALU_DEP_1)
	v_mul_lo_u32 v3, v3, s11
	v_sub_nc_u32_e32 v1, v1, v3
	s_delay_alu instid0(VALU_DEP_1) | instskip(NEXT) | instid1(VALU_DEP_1)
	v_mad_u64_u32 v[3:4], null, v1, s3, v[0:1]
	v_mov_b32_e32 v0, v3
.LBB173_91:
	s_waitcnt lgkmcnt(0)
	v_dual_mov_b32 v3, s6 :: v_dual_mov_b32 v4, s7
	v_add_nc_u32_e32 v2, 0x80, v2
	global_store_b64 v0, v[3:4], s[4:5]
	s_or_b32 exec_lo, exec_lo, s28
	s_delay_alu instid0(SALU_CYCLE_1)
	s_mov_b32 s28, exec_lo
	v_cmpx_gt_i32_e64 s25, v2
	s_cbranch_execnz .LBB173_78
.LBB173_92:
	s_or_b32 exec_lo, exec_lo, s28
	s_delay_alu instid0(SALU_CYCLE_1)
	s_mov_b32 s18, exec_lo
	v_cmpx_gt_i32_e64 s25, v2
	s_cbranch_execnz .LBB173_103
.LBB173_93:
	s_or_b32 exec_lo, exec_lo, s18
                                        ; implicit-def: $vgpr4
                                        ; implicit-def: $vgpr2
	s_waitcnt lgkmcnt(0)
	s_and_not1_saveexec_b32 s2, s23
	s_cbranch_execnz .LBB173_8
.LBB173_94:
	s_nop 0
	s_sendmsg sendmsg(MSG_DEALLOC_VGPRS)
	s_endpgm
.LBB173_95:
	v_mov_b32_e32 v1, v2
.LBB173_96:
	s_and_b32 s30, s30, 3
	s_delay_alu instid0(SALU_CYCLE_1)
	s_cmp_eq_u32 s30, 0
	s_cbranch_scc1 .LBB173_99
; %bb.97:
	s_lshl_b32 s16, s29, 2
	s_mul_i32 s18, s29, 12
	s_add_u32 s16, s16, s0
	s_addc_u32 s17, s1, 0
	s_add_u32 s16, s16, 0xc4
	s_addc_u32 s17, s17, 0
	s_add_u32 s18, s0, s18
	s_addc_u32 s19, s1, 0
	.p2align	6
.LBB173_98:                             ; =>This Inner Loop Header: Depth=1
	s_clause 0x1
	s_load_b64 s[34:35], s[18:19], 0x4
	s_load_b32 s29, s[18:19], 0xc
	s_load_b32 s31, s[16:17], 0x0
	s_add_u32 s18, s18, 12
	s_addc_u32 s19, s19, 0
	s_add_u32 s16, s16, 4
	s_addc_u32 s17, s17, 0
	s_add_i32 s30, s30, -1
	s_delay_alu instid0(SALU_CYCLE_1) | instskip(SKIP_2) | instid1(VALU_DEP_1)
	s_cmp_lg_u32 s30, 0
	s_waitcnt lgkmcnt(0)
	v_mul_hi_u32 v3, s35, v1
	v_add_nc_u32_e32 v3, v1, v3
	s_delay_alu instid0(VALU_DEP_1) | instskip(NEXT) | instid1(VALU_DEP_1)
	v_lshrrev_b32_e32 v5, s29, v3
	v_mul_lo_u32 v3, v5, s34
	s_delay_alu instid0(VALU_DEP_1) | instskip(NEXT) | instid1(VALU_DEP_1)
	v_sub_nc_u32_e32 v1, v1, v3
	v_mad_u64_u32 v[3:4], null, v1, s31, v[0:1]
	s_delay_alu instid0(VALU_DEP_1)
	v_dual_mov_b32 v1, v5 :: v_dual_mov_b32 v0, v3
	s_cbranch_scc1 .LBB173_98
.LBB173_99:
	s_cbranch_execnz .LBB173_102
.LBB173_100:
	s_waitcnt lgkmcnt(0)
	v_mul_hi_u32 v0, s9, v2
	s_and_not1_b32 vcc_lo, exec_lo, s24
	s_delay_alu instid0(VALU_DEP_1) | instskip(NEXT) | instid1(VALU_DEP_1)
	v_add_nc_u32_e32 v0, v2, v0
	v_lshrrev_b32_e32 v1, s10, v0
	s_delay_alu instid0(VALU_DEP_1) | instskip(NEXT) | instid1(VALU_DEP_1)
	v_mul_lo_u32 v0, v1, s8
	v_sub_nc_u32_e32 v0, v2, v0
	s_delay_alu instid0(VALU_DEP_1)
	v_mul_lo_u32 v0, v0, s2
	s_cbranch_vccnz .LBB173_102
; %bb.101:
	v_mul_hi_u32 v3, s12, v1
	s_delay_alu instid0(VALU_DEP_1) | instskip(NEXT) | instid1(VALU_DEP_1)
	v_add_nc_u32_e32 v3, v1, v3
	v_lshrrev_b32_e32 v3, s13, v3
	s_delay_alu instid0(VALU_DEP_1) | instskip(NEXT) | instid1(VALU_DEP_1)
	v_mul_lo_u32 v3, v3, s11
	v_sub_nc_u32_e32 v1, v1, v3
	s_delay_alu instid0(VALU_DEP_1) | instskip(NEXT) | instid1(VALU_DEP_1)
	v_mad_u64_u32 v[3:4], null, v1, s3, v[0:1]
	v_mov_b32_e32 v0, v3
.LBB173_102:
	s_waitcnt lgkmcnt(0)
	v_dual_mov_b32 v3, s6 :: v_dual_mov_b32 v4, s7
	v_add_nc_u32_e32 v2, 0x80, v2
	global_store_b64 v0, v[3:4], s[4:5]
	s_or_b32 exec_lo, exec_lo, s28
	s_delay_alu instid0(SALU_CYCLE_1)
	s_mov_b32 s18, exec_lo
	v_cmpx_gt_i32_e64 s25, v2
	s_cbranch_execz .LBB173_93
.LBB173_103:
	s_and_not1_b32 vcc_lo, exec_lo, s22
	s_cbranch_vccnz .LBB173_108
; %bb.104:
	v_mov_b32_e32 v0, 0
	s_and_not1_b32 vcc_lo, exec_lo, s27
	s_cbranch_vccnz .LBB173_113
; %bb.105:
	s_add_i32 s26, s26, 1
	s_cmp_eq_u32 s21, 2
	s_mov_b32 s19, 0
	s_cbranch_scc1 .LBB173_109
; %bb.106:
	v_dual_mov_b32 v0, 0 :: v_dual_mov_b32 v1, v2
	s_and_b32 s19, s26, 28
	s_mov_b32 s25, 0
	s_mov_b64 s[16:17], s[0:1]
.LBB173_107:                            ; =>This Inner Loop Header: Depth=1
	s_clause 0x1
	s_load_b256 s[36:43], s[16:17], 0x4
	s_load_b128 s[28:31], s[16:17], 0x24
	s_load_b128 s[44:47], s[14:15], 0x0
	s_add_u32 s16, s16, 48
	s_addc_u32 s17, s17, 0
	s_add_i32 s25, s25, 4
	s_add_u32 s14, s14, 16
	s_addc_u32 s15, s15, 0
	s_cmp_eq_u32 s19, s25
	s_waitcnt lgkmcnt(0)
	v_mul_hi_u32 v3, s37, v1
	s_delay_alu instid0(VALU_DEP_1) | instskip(NEXT) | instid1(VALU_DEP_1)
	v_add_nc_u32_e32 v3, v1, v3
	v_lshrrev_b32_e32 v3, s38, v3
	s_delay_alu instid0(VALU_DEP_1) | instskip(SKIP_1) | instid1(VALU_DEP_2)
	v_mul_hi_u32 v4, s40, v3
	v_mul_lo_u32 v7, v3, s36
	v_add_nc_u32_e32 v4, v3, v4
	s_delay_alu instid0(VALU_DEP_2) | instskip(NEXT) | instid1(VALU_DEP_2)
	v_sub_nc_u32_e32 v7, v1, v7
	v_lshrrev_b32_e32 v4, s41, v4
	s_delay_alu instid0(VALU_DEP_2) | instskip(NEXT) | instid1(VALU_DEP_2)
	v_mul_lo_u32 v7, v7, s44
	v_mul_hi_u32 v5, s43, v4
	v_mul_lo_u32 v8, v4, s39
	s_delay_alu instid0(VALU_DEP_2) | instskip(NEXT) | instid1(VALU_DEP_2)
	v_add_nc_u32_e32 v5, v4, v5
	v_sub_nc_u32_e32 v3, v3, v8
	s_delay_alu instid0(VALU_DEP_2) | instskip(NEXT) | instid1(VALU_DEP_2)
	v_lshrrev_b32_e32 v5, s28, v5
	v_mul_lo_u32 v3, v3, s45
	s_delay_alu instid0(VALU_DEP_2) | instskip(NEXT) | instid1(VALU_DEP_2)
	v_mul_hi_u32 v6, s30, v5
	v_add3_u32 v0, v7, v0, v3
	s_delay_alu instid0(VALU_DEP_2) | instskip(NEXT) | instid1(VALU_DEP_1)
	v_add_nc_u32_e32 v6, v5, v6
	v_lshrrev_b32_e32 v1, s31, v6
	v_mul_lo_u32 v6, v5, s42
	s_delay_alu instid0(VALU_DEP_2) | instskip(NEXT) | instid1(VALU_DEP_2)
	v_mul_lo_u32 v9, v1, s29
	v_sub_nc_u32_e32 v4, v4, v6
	s_delay_alu instid0(VALU_DEP_2) | instskip(NEXT) | instid1(VALU_DEP_2)
	v_sub_nc_u32_e32 v5, v5, v9
	v_mul_lo_u32 v4, v4, s46
	s_delay_alu instid0(VALU_DEP_2) | instskip(NEXT) | instid1(VALU_DEP_1)
	v_mul_lo_u32 v5, v5, s47
	v_add3_u32 v0, v4, v0, v5
	s_cbranch_scc0 .LBB173_107
	s_branch .LBB173_110
.LBB173_108:
                                        ; implicit-def: $vgpr0
	s_branch .LBB173_114
.LBB173_109:
	v_mov_b32_e32 v1, v2
.LBB173_110:
	s_and_b32 s25, s26, 3
	s_delay_alu instid0(SALU_CYCLE_1)
	s_cmp_eq_u32 s25, 0
	s_cbranch_scc1 .LBB173_113
; %bb.111:
	s_lshl_b32 s14, s19, 2
	s_mul_i32 s16, s19, 12
	s_add_u32 s14, s14, s0
	s_addc_u32 s15, s1, 0
	s_add_u32 s14, s14, 0xc4
	s_addc_u32 s15, s15, 0
	;; [unrolled: 2-line block ×3, first 2 shown]
	.p2align	6
.LBB173_112:                            ; =>This Inner Loop Header: Depth=1
	s_clause 0x1
	s_load_b64 s[26:27], s[16:17], 0x4
	s_load_b32 s19, s[16:17], 0xc
	s_add_u32 s16, s16, 12
	s_addc_u32 s17, s17, 0
	s_waitcnt lgkmcnt(0)
	v_mul_hi_u32 v3, s27, v1
	s_load_b32 s27, s[14:15], 0x0
	s_add_u32 s14, s14, 4
	s_addc_u32 s15, s15, 0
	s_add_i32 s25, s25, -1
	s_delay_alu instid0(SALU_CYCLE_1) | instskip(NEXT) | instid1(VALU_DEP_1)
	s_cmp_lg_u32 s25, 0
	v_add_nc_u32_e32 v3, v1, v3
	s_delay_alu instid0(VALU_DEP_1) | instskip(NEXT) | instid1(VALU_DEP_1)
	v_lshrrev_b32_e32 v5, s19, v3
	v_mul_lo_u32 v3, v5, s26
	s_delay_alu instid0(VALU_DEP_1) | instskip(SKIP_1) | instid1(VALU_DEP_1)
	v_sub_nc_u32_e32 v1, v1, v3
	s_waitcnt lgkmcnt(0)
	v_mad_u64_u32 v[3:4], null, v1, s27, v[0:1]
	s_delay_alu instid0(VALU_DEP_1)
	v_dual_mov_b32 v1, v5 :: v_dual_mov_b32 v0, v3
	s_cbranch_scc1 .LBB173_112
.LBB173_113:
	s_cbranch_execnz .LBB173_116
.LBB173_114:
	s_waitcnt lgkmcnt(0)
	v_mul_hi_u32 v0, s9, v2
	s_and_not1_b32 vcc_lo, exec_lo, s24
	s_delay_alu instid0(VALU_DEP_1) | instskip(NEXT) | instid1(VALU_DEP_1)
	v_add_nc_u32_e32 v0, v2, v0
	v_lshrrev_b32_e32 v1, s10, v0
	s_delay_alu instid0(VALU_DEP_1) | instskip(NEXT) | instid1(VALU_DEP_1)
	v_mul_lo_u32 v0, v1, s8
	v_sub_nc_u32_e32 v0, v2, v0
	s_delay_alu instid0(VALU_DEP_1)
	v_mul_lo_u32 v0, v0, s2
	s_cbranch_vccnz .LBB173_116
; %bb.115:
	v_mul_hi_u32 v2, s12, v1
	s_delay_alu instid0(VALU_DEP_1) | instskip(NEXT) | instid1(VALU_DEP_1)
	v_add_nc_u32_e32 v2, v1, v2
	v_lshrrev_b32_e32 v2, s13, v2
	s_delay_alu instid0(VALU_DEP_1) | instskip(NEXT) | instid1(VALU_DEP_1)
	v_mul_lo_u32 v2, v2, s11
	v_sub_nc_u32_e32 v3, v1, v2
	s_delay_alu instid0(VALU_DEP_1) | instskip(NEXT) | instid1(VALU_DEP_1)
	v_mad_u64_u32 v[1:2], null, v3, s3, v[0:1]
	v_mov_b32_e32 v0, v1
.LBB173_116:
	s_waitcnt lgkmcnt(0)
	v_dual_mov_b32 v1, s6 :: v_dual_mov_b32 v2, s7
	global_store_b64 v0, v[1:2], s[4:5]
	s_or_b32 exec_lo, exec_lo, s18
                                        ; implicit-def: $vgpr4
                                        ; implicit-def: $vgpr2
	s_and_not1_saveexec_b32 s2, s23
	s_cbranch_execz .LBB173_94
	s_branch .LBB173_8
	.section	.rodata,"a",@progbits
	.p2align	6, 0x0
	.amdhsa_kernel _ZN2at6native32elementwise_kernel_manual_unrollILi128ELi4EZNS0_22gpu_kernel_impl_nocastINS0_11FillFunctorImEEEEvRNS_18TensorIteratorBaseERKT_EUlibE_EEviT1_
		.amdhsa_group_segment_fixed_size 0
		.amdhsa_private_segment_fixed_size 0
		.amdhsa_kernarg_size 288
		.amdhsa_user_sgpr_count 15
		.amdhsa_user_sgpr_dispatch_ptr 0
		.amdhsa_user_sgpr_queue_ptr 0
		.amdhsa_user_sgpr_kernarg_segment_ptr 1
		.amdhsa_user_sgpr_dispatch_id 0
		.amdhsa_user_sgpr_private_segment_size 0
		.amdhsa_wavefront_size32 1
		.amdhsa_uses_dynamic_stack 0
		.amdhsa_enable_private_segment 0
		.amdhsa_system_sgpr_workgroup_id_x 1
		.amdhsa_system_sgpr_workgroup_id_y 0
		.amdhsa_system_sgpr_workgroup_id_z 0
		.amdhsa_system_sgpr_workgroup_info 0
		.amdhsa_system_vgpr_workitem_id 0
		.amdhsa_next_free_vgpr 14
		.amdhsa_next_free_sgpr 52
		.amdhsa_reserve_vcc 1
		.amdhsa_float_round_mode_32 0
		.amdhsa_float_round_mode_16_64 0
		.amdhsa_float_denorm_mode_32 3
		.amdhsa_float_denorm_mode_16_64 3
		.amdhsa_dx10_clamp 1
		.amdhsa_ieee_mode 1
		.amdhsa_fp16_overflow 0
		.amdhsa_workgroup_processor_mode 1
		.amdhsa_memory_ordered 1
		.amdhsa_forward_progress 0
		.amdhsa_shared_vgpr_count 0
		.amdhsa_exception_fp_ieee_invalid_op 0
		.amdhsa_exception_fp_denorm_src 0
		.amdhsa_exception_fp_ieee_div_zero 0
		.amdhsa_exception_fp_ieee_overflow 0
		.amdhsa_exception_fp_ieee_underflow 0
		.amdhsa_exception_fp_ieee_inexact 0
		.amdhsa_exception_int_div_zero 0
	.end_amdhsa_kernel
	.section	.text._ZN2at6native32elementwise_kernel_manual_unrollILi128ELi4EZNS0_22gpu_kernel_impl_nocastINS0_11FillFunctorImEEEEvRNS_18TensorIteratorBaseERKT_EUlibE_EEviT1_,"axG",@progbits,_ZN2at6native32elementwise_kernel_manual_unrollILi128ELi4EZNS0_22gpu_kernel_impl_nocastINS0_11FillFunctorImEEEEvRNS_18TensorIteratorBaseERKT_EUlibE_EEviT1_,comdat
.Lfunc_end173:
	.size	_ZN2at6native32elementwise_kernel_manual_unrollILi128ELi4EZNS0_22gpu_kernel_impl_nocastINS0_11FillFunctorImEEEEvRNS_18TensorIteratorBaseERKT_EUlibE_EEviT1_, .Lfunc_end173-_ZN2at6native32elementwise_kernel_manual_unrollILi128ELi4EZNS0_22gpu_kernel_impl_nocastINS0_11FillFunctorImEEEEvRNS_18TensorIteratorBaseERKT_EUlibE_EEviT1_
                                        ; -- End function
	.section	.AMDGPU.csdata,"",@progbits
; Kernel info:
; codeLenInByte = 5916
; NumSgprs: 54
; NumVgprs: 14
; ScratchSize: 0
; MemoryBound: 0
; FloatMode: 240
; IeeeMode: 1
; LDSByteSize: 0 bytes/workgroup (compile time only)
; SGPRBlocks: 6
; VGPRBlocks: 1
; NumSGPRsForWavesPerEU: 54
; NumVGPRsForWavesPerEU: 14
; Occupancy: 16
; WaveLimiterHint : 1
; COMPUTE_PGM_RSRC2:SCRATCH_EN: 0
; COMPUTE_PGM_RSRC2:USER_SGPR: 15
; COMPUTE_PGM_RSRC2:TRAP_HANDLER: 0
; COMPUTE_PGM_RSRC2:TGID_X_EN: 1
; COMPUTE_PGM_RSRC2:TGID_Y_EN: 0
; COMPUTE_PGM_RSRC2:TGID_Z_EN: 0
; COMPUTE_PGM_RSRC2:TIDIG_COMP_CNT: 0
	.section	.text._ZN2at6native32elementwise_kernel_manual_unrollILi128ELi4EZNS0_15gpu_kernel_implINS0_11FillFunctorImEEEEvRNS_18TensorIteratorBaseERKT_EUlibE_EEviT1_,"axG",@progbits,_ZN2at6native32elementwise_kernel_manual_unrollILi128ELi4EZNS0_15gpu_kernel_implINS0_11FillFunctorImEEEEvRNS_18TensorIteratorBaseERKT_EUlibE_EEviT1_,comdat
	.protected	_ZN2at6native32elementwise_kernel_manual_unrollILi128ELi4EZNS0_15gpu_kernel_implINS0_11FillFunctorImEEEEvRNS_18TensorIteratorBaseERKT_EUlibE_EEviT1_ ; -- Begin function _ZN2at6native32elementwise_kernel_manual_unrollILi128ELi4EZNS0_15gpu_kernel_implINS0_11FillFunctorImEEEEvRNS_18TensorIteratorBaseERKT_EUlibE_EEviT1_
	.globl	_ZN2at6native32elementwise_kernel_manual_unrollILi128ELi4EZNS0_15gpu_kernel_implINS0_11FillFunctorImEEEEvRNS_18TensorIteratorBaseERKT_EUlibE_EEviT1_
	.p2align	8
	.type	_ZN2at6native32elementwise_kernel_manual_unrollILi128ELi4EZNS0_15gpu_kernel_implINS0_11FillFunctorImEEEEvRNS_18TensorIteratorBaseERKT_EUlibE_EEviT1_,@function
_ZN2at6native32elementwise_kernel_manual_unrollILi128ELi4EZNS0_15gpu_kernel_implINS0_11FillFunctorImEEEEvRNS_18TensorIteratorBaseERKT_EUlibE_EEviT1_: ; @_ZN2at6native32elementwise_kernel_manual_unrollILi128ELi4EZNS0_15gpu_kernel_implINS0_11FillFunctorImEEEEvRNS_18TensorIteratorBaseERKT_EUlibE_EEviT1_
; %bb.0:
	s_clause 0x4
	s_load_b32 s20, s[0:1], 0x0
	s_load_b64 s[12:13], s[0:1], 0x8
	s_load_b32 s14, s[0:1], 0x10
	s_load_b64 s[10:11], s[0:1], 0x18
	s_load_b32 s16, s[0:1], 0x20
	v_lshl_or_b32 v22, s15, 9, v0
	s_mov_b32 s15, 0
	s_mov_b32 s1, 0
	s_mov_b32 s0, exec_lo
	s_delay_alu instid0(VALU_DEP_1) | instskip(SKIP_1) | instid1(VALU_DEP_1)
	v_or_b32_e32 v0, 0x180, v22
	s_waitcnt lgkmcnt(0)
	v_cmpx_le_i32_e64 s20, v0
	s_xor_b32 s17, exec_lo, s0
	s_cbranch_execz .LBB174_151
; %bb.1:
	v_cvt_f64_u32_e32 v[0:1], s11
	s_clz_i32_u32 s0, s11
	s_mov_b32 s23, 0
	s_min_u32 s2, s0, 32
	s_mov_b32 s24, -1
	s_lshl_b64 s[0:1], s[10:11], s2
	s_mov_b32 s21, 0
	s_min_u32 s0, s0, 1
	s_mov_b32 s22, exec_lo
	s_or_b32 s0, s1, s0
	s_delay_alu instid0(SALU_CYCLE_1)
	v_cvt_f32_u32_e32 v2, s0
	s_sub_i32 s0, 32, s2
	s_delay_alu instid0(VALU_DEP_1) | instid1(SALU_CYCLE_1)
	v_ldexp_f32 v4, v2, s0
	v_cvt_f64_u32_e32 v[2:3], s10
	s_delay_alu instid0(VALU_DEP_2)
	v_lshrrev_b32_e32 v5, 23, v4
	v_and_b32_e32 v6, 0x3fffff, v4
	v_and_b32_e32 v7, 0x400000, v4
	v_cvt_f16_f32_e32 v8, v4
	v_cmp_gt_u32_e64 s7, 0x43800000, v4
	v_cmp_eq_u32_e64 s8, 0xff, v5
	v_or_b32_e32 v6, v5, v6
	v_cmp_ne_u32_e32 vcc_lo, 0, v7
	v_cmp_lt_u32_e64 s6, 0x3bffffff, v4
	v_cmp_gt_u32_e64 s5, 0x47800000, v4
	v_cmp_lt_u32_e64 s4, 0x37ffffff, v4
	v_cmp_ne_u32_e64 s0, 0, v6
	v_bfe_u32 v6, v4, 20, 1
	v_cmp_lt_u32_e64 s2, 0x43efffff, v4
	v_add_f32_e32 v15, 0x42800000, v4
	v_cmp_gt_u32_e64 s3, 0x3c800000, v4
	s_and_b32 s0, vcc_lo, s0
	v_ldexp_f64 v[0:1], v[0:1], 32
	v_cndmask_b32_e64 v7, 0, 1, s0
	v_add_nc_u32_e32 v6, v4, v6
	v_add_f32_e32 v20, 0x46000000, v4
	v_readfirstlane_b32 s1, v15
	v_add_f32_e32 v17, 0x46800000, v4
	v_add_nc_u32_e32 v23, v5, v7
	v_add_nc_u32_e32 v5, 0x487ffff, v6
	v_bfe_u32 v7, v4, 21, 1
	v_readfirstlane_b32 s0, v20
	v_add_f32_e32 v13, 0x43000000, v4
	v_and_b32_e32 v9, 0xffff, v8
	v_lshrrev_b32_e32 v21, 20, v5
	v_add_nc_u32_e32 v5, v4, v7
	s_and_b32 s0, s0, 0xff
	s_delay_alu instid0(SALU_CYCLE_1) | instskip(SKIP_3) | instid1(SALU_CYCLE_1)
	s_cmp_lg_u32 s0, 0
	v_cmp_lt_u32_e64 s0, 0x477fffff, v4
	s_cselect_b32 s19, -1, 0
	s_and_b32 s1, s1, 0xff
	s_cmp_lg_u32 s1, 0
	v_cmp_gt_u32_e64 s1, 0x38800000, v4
	s_cselect_b32 s18, -1, 0
	s_cmp_lg_u64 s[10:11], 0
	s_cselect_b32 s9, -1, 0
	s_delay_alu instid0(SALU_CYCLE_1) | instskip(SKIP_4) | instid1(VALU_DEP_3)
	v_cndmask_b32_e64 v10, 0, 1, s9
	v_add_f64 v[0:1], v[0:1], v[2:3]
	v_add_nc_u32_e32 v2, 0x88fffff, v5
	v_add_nc_u32_e32 v3, 0x407ffff, v6
	v_bfe_u32 v6, v4, 16, 1
	v_lshrrev_b32_e32 v19, 21, v2
	s_delay_alu instid0(VALU_DEP_3) | instskip(SKIP_1) | instid1(VALU_DEP_2)
	v_and_b32_e32 v2, 0xff00000, v3
	v_lshrrev_b32_e32 v3, 20, v3
	v_cmp_ne_u32_e32 vcc_lo, 0x7f00000, v2
	v_add_nc_u32_e32 v2, 0x80fffff, v5
	s_delay_alu instid0(VALU_DEP_3) | instskip(SKIP_2) | instid1(VALU_DEP_4)
	v_dual_cndmask_b32 v16, 0x7e, v3 :: v_dual_add_nc_u32 v5, v4, v6
	v_mov_b32_e32 v3, 0x7f
	v_cmp_lt_u32_e32 vcc_lo, 0x7f800000, v4
	v_lshrrev_b32_e32 v12, 21, v2
	s_delay_alu instid0(VALU_DEP_4) | instskip(NEXT) | instid1(VALU_DEP_4)
	v_add_nc_u32_e32 v2, 0x7fff, v5
	v_cndmask_b32_e32 v18, 0x7e, v3, vcc_lo
	v_cndmask_b32_e32 v14, 0x7c, v3, vcc_lo
	s_delay_alu instid0(VALU_DEP_3)
	v_lshrrev_b32_e32 v11, 16, v2
	v_cmpx_gt_i32_e64 s20, v22
	s_cbranch_execz .LBB174_100
; %bb.2:
	v_mul_lo_u32 v2, v22, s14
	v_and_b32_e64 v24, 0xff, s16
	s_delay_alu instid0(VALU_DEP_1) | instskip(NEXT) | instid1(VALU_DEP_3)
	v_cmp_gt_i16_e32 vcc_lo, 11, v24
	v_ashrrev_i32_e32 v3, 31, v2
	v_add_co_u32 v6, s9, s12, v2
	s_delay_alu instid0(VALU_DEP_1)
	v_add_co_ci_u32_e64 v7, s9, s13, v3, s9
	s_cbranch_vccnz .LBB174_9
; %bb.3:
	v_cmp_lt_i16_e32 vcc_lo, 25, v24
	s_cbranch_vccz .LBB174_12
; %bb.4:
	v_cmp_lt_i16_e32 vcc_lo, 28, v24
	s_cbranch_vccz .LBB174_13
; %bb.5:
	v_cmp_lt_i16_e32 vcc_lo, 43, v24
	s_cbranch_vccz .LBB174_14
; %bb.6:
	v_cmp_lt_i16_e32 vcc_lo, 45, v24
	s_cbranch_vccz .LBB174_15
; %bb.7:
	v_cmp_eq_u16_e32 vcc_lo, 46, v24
	s_mov_b32 s24, 0
	s_mov_b32 s9, -1
	s_cbranch_vccz .LBB174_16
; %bb.8:
	s_mov_b32 s21, -1
	s_mov_b32 s9, 0
	global_store_b32 v[6:7], v11, off
	s_branch .LBB174_16
.LBB174_9:
	s_mov_b32 s9, 0
	s_and_b32 vcc_lo, exec_lo, s24
	s_cbranch_vccnz .LBB174_60
.LBB174_10:
	s_and_not1_b32 vcc_lo, exec_lo, s21
	s_cbranch_vccnz .LBB174_98
.LBB174_11:
	v_add_nc_u32_e32 v22, 0x80, v22
	s_mov_b32 s24, -1
	s_branch .LBB174_99
.LBB174_12:
	s_mov_b32 s9, 0
	s_and_b32 vcc_lo, exec_lo, s24
	s_cbranch_vccnz .LBB174_38
	s_branch .LBB174_59
.LBB174_13:
	s_mov_b32 s9, 0
	s_branch .LBB174_24
.LBB174_14:
	s_mov_b32 s9, 0
	s_branch .LBB174_20
.LBB174_15:
	s_mov_b32 s9, 0
.LBB174_16:
	s_and_b32 vcc_lo, exec_lo, s24
	s_cbranch_vccz .LBB174_19
; %bb.17:
	v_cmp_eq_u16_e32 vcc_lo, 44, v24
	s_mov_b32 s9, -1
	s_cbranch_vccz .LBB174_19
; %bb.18:
	v_cndmask_b32_e64 v2, v23, 0xff, s8
	s_mov_b32 s21, -1
	s_mov_b32 s9, 0
	s_mov_b32 s24, 0
	global_store_b8 v[6:7], v2, off
	s_branch .LBB174_20
.LBB174_19:
	s_mov_b32 s24, 0
.LBB174_20:
	s_delay_alu instid0(SALU_CYCLE_1)
	s_and_b32 vcc_lo, exec_lo, s24
	s_cbranch_vccz .LBB174_23
; %bb.21:
	v_cmp_eq_u16_e32 vcc_lo, 29, v24
	s_mov_b32 s9, -1
	s_cbranch_vccz .LBB174_23
; %bb.22:
	v_dual_mov_b32 v2, s10 :: v_dual_mov_b32 v3, s11
	s_mov_b32 s21, -1
	s_mov_b32 s9, 0
	s_mov_b32 s24, 0
	global_store_b64 v[6:7], v[2:3], off
	s_branch .LBB174_24
.LBB174_23:
	s_mov_b32 s24, 0
.LBB174_24:
	s_delay_alu instid0(SALU_CYCLE_1)
	s_and_b32 vcc_lo, exec_lo, s24
	s_cbranch_vccz .LBB174_37
; %bb.25:
	v_cmp_gt_i16_e32 vcc_lo, 27, v24
	s_mov_b32 s21, -1
	s_cbranch_vccnz .LBB174_31
; %bb.26:
	v_cmp_lt_i16_e32 vcc_lo, 27, v24
	s_cbranch_vccz .LBB174_28
; %bb.27:
	v_mov_b32_e32 v2, s10
	s_mov_b32 s21, 0
	global_store_b32 v[6:7], v2, off
.LBB174_28:
	s_and_not1_b32 vcc_lo, exec_lo, s21
	s_cbranch_vccnz .LBB174_30
; %bb.29:
	v_mov_b32_e32 v2, s10
	global_store_b16 v[6:7], v2, off
.LBB174_30:
	s_mov_b32 s21, 0
.LBB174_31:
	s_delay_alu instid0(SALU_CYCLE_1)
	s_and_not1_b32 vcc_lo, exec_lo, s21
	s_cbranch_vccnz .LBB174_36
; %bb.32:
	v_mov_b32_e32 v2, 0x80
	s_and_not1_b32 vcc_lo, exec_lo, s7
	s_cbranch_vccnz .LBB174_35
; %bb.33:
	v_mov_b32_e32 v2, 0
	s_or_b32 s21, s6, s19
	s_delay_alu instid0(SALU_CYCLE_1)
	s_and_not1_b32 vcc_lo, exec_lo, s21
	s_cbranch_vccnz .LBB174_35
; %bb.34:
	v_cndmask_b32_e64 v2, v20, v21, s6
.LBB174_35:
	global_store_b8 v[6:7], v2, off
.LBB174_36:
	s_mov_b32 s21, -1
.LBB174_37:
	s_branch .LBB174_59
.LBB174_38:
	v_cmp_lt_i16_e32 vcc_lo, 22, v24
	s_mov_b32 s24, -1
	s_cbranch_vccz .LBB174_51
; %bb.39:
	v_cmp_gt_i16_e32 vcc_lo, 24, v24
	s_mov_b32 s21, -1
	s_cbranch_vccnz .LBB174_48
; %bb.40:
	v_cmp_lt_i16_e32 vcc_lo, 24, v24
	s_cbranch_vccz .LBB174_45
; %bb.41:
	v_mov_b32_e32 v2, 0x80
	s_and_not1_b32 vcc_lo, exec_lo, s5
	s_cbranch_vccnz .LBB174_44
; %bb.42:
	v_mov_b32_e32 v2, 0
	s_or_b32 s21, s4, s18
	s_delay_alu instid0(SALU_CYCLE_1)
	s_and_not1_b32 vcc_lo, exec_lo, s21
	s_cbranch_vccnz .LBB174_44
; %bb.43:
	v_cndmask_b32_e64 v2, v15, v19, s4
.LBB174_44:
	s_mov_b32 s21, 0
	global_store_b8 v[6:7], v2, off
.LBB174_45:
	s_and_b32 vcc_lo, exec_lo, s21
	s_cbranch_vccz .LBB174_47
; %bb.46:
	v_cndmask_b32_e64 v2, v16, v17, s3
	s_delay_alu instid0(VALU_DEP_1)
	v_cndmask_b32_e64 v2, v2, v18, s2
	global_store_b8 v[6:7], v2, off
.LBB174_47:
	s_mov_b32 s21, 0
.LBB174_48:
	s_delay_alu instid0(SALU_CYCLE_1)
	s_and_not1_b32 vcc_lo, exec_lo, s21
	s_cbranch_vccnz .LBB174_50
; %bb.49:
	v_cndmask_b32_e64 v2, v12, v13, s1
	s_delay_alu instid0(VALU_DEP_1)
	v_cndmask_b32_e64 v2, v2, v14, s0
	global_store_b8 v[6:7], v2, off
.LBB174_50:
	s_mov_b32 s24, 0
	s_mov_b32 s21, -1
.LBB174_51:
	s_and_not1_b32 vcc_lo, exec_lo, s24
	s_cbranch_vccnz .LBB174_59
; %bb.52:
	v_cmp_lt_i16_e32 vcc_lo, 14, v24
	s_mov_b32 s24, -1
	s_cbranch_vccz .LBB174_56
; %bb.53:
	v_cmp_eq_u16_e32 vcc_lo, 15, v24
	s_mov_b32 s9, -1
	s_cbranch_vccz .LBB174_55
; %bb.54:
	s_mov_b32 s21, -1
	s_mov_b32 s9, 0
	global_store_b16 v[6:7], v11, off
.LBB174_55:
	s_mov_b32 s24, 0
.LBB174_56:
	s_delay_alu instid0(SALU_CYCLE_1)
	s_and_b32 vcc_lo, exec_lo, s24
	s_cbranch_vccz .LBB174_59
; %bb.57:
	v_cmp_eq_u16_e32 vcc_lo, 11, v24
	s_mov_b32 s9, -1
	s_cbranch_vccz .LBB174_59
; %bb.58:
	s_mov_b32 s21, -1
	s_mov_b32 s9, 0
	global_store_b8 v[6:7], v10, off
.LBB174_59:
	s_branch .LBB174_10
.LBB174_60:
	v_cmp_gt_i16_e32 vcc_lo, 5, v24
	s_mov_b32 s21, -1
	s_cbranch_vccnz .LBB174_81
; %bb.61:
	v_cmp_gt_i16_e32 vcc_lo, 8, v24
	s_cbranch_vccnz .LBB174_71
; %bb.62:
	v_cmp_gt_i16_e32 vcc_lo, 9, v24
	s_cbranch_vccnz .LBB174_68
; %bb.63:
	v_cmp_lt_i16_e32 vcc_lo, 9, v24
	s_cbranch_vccz .LBB174_65
; %bb.64:
	v_mov_b32_e32 v2, 0
	s_mov_b32 s21, 0
	s_delay_alu instid0(VALU_DEP_1)
	v_mov_b32_e32 v3, v2
	global_store_b128 v[6:7], v[0:3], off
.LBB174_65:
	s_and_not1_b32 vcc_lo, exec_lo, s21
	s_cbranch_vccnz .LBB174_67
; %bb.66:
	v_mov_b32_e32 v5, 0
	global_store_b64 v[6:7], v[4:5], off
.LBB174_67:
	s_mov_b32 s21, 0
.LBB174_68:
	s_delay_alu instid0(SALU_CYCLE_1)
	s_and_not1_b32 vcc_lo, exec_lo, s21
	s_cbranch_vccnz .LBB174_70
; %bb.69:
	global_store_b32 v[6:7], v9, off
.LBB174_70:
	s_mov_b32 s21, 0
.LBB174_71:
	s_delay_alu instid0(SALU_CYCLE_1)
	s_and_not1_b32 vcc_lo, exec_lo, s21
	s_cbranch_vccnz .LBB174_80
; %bb.72:
	v_cmp_gt_i16_e32 vcc_lo, 6, v24
	s_mov_b32 s21, -1
	s_cbranch_vccnz .LBB174_78
; %bb.73:
	v_cmp_lt_i16_e32 vcc_lo, 6, v24
	s_cbranch_vccz .LBB174_75
; %bb.74:
	s_mov_b32 s21, 0
	global_store_b64 v[6:7], v[0:1], off
.LBB174_75:
	s_and_not1_b32 vcc_lo, exec_lo, s21
	s_cbranch_vccnz .LBB174_77
; %bb.76:
	global_store_b32 v[6:7], v4, off
.LBB174_77:
	s_mov_b32 s21, 0
.LBB174_78:
	s_delay_alu instid0(SALU_CYCLE_1)
	s_and_not1_b32 vcc_lo, exec_lo, s21
	s_cbranch_vccnz .LBB174_80
; %bb.79:
	global_store_b16 v[6:7], v8, off
.LBB174_80:
	s_mov_b32 s21, 0
.LBB174_81:
	s_delay_alu instid0(SALU_CYCLE_1)
	s_and_not1_b32 vcc_lo, exec_lo, s21
	s_cbranch_vccnz .LBB174_97
; %bb.82:
	v_cmp_gt_i16_e32 vcc_lo, 2, v24
	s_mov_b32 s21, -1
	s_cbranch_vccnz .LBB174_92
; %bb.83:
	v_cmp_gt_i16_e32 vcc_lo, 3, v24
	s_cbranch_vccnz .LBB174_89
; %bb.84:
	v_cmp_lt_i16_e32 vcc_lo, 3, v24
	s_cbranch_vccz .LBB174_86
; %bb.85:
	v_dual_mov_b32 v2, s10 :: v_dual_mov_b32 v3, s11
	s_mov_b32 s21, 0
	global_store_b64 v[6:7], v[2:3], off
.LBB174_86:
	s_and_not1_b32 vcc_lo, exec_lo, s21
	s_cbranch_vccnz .LBB174_88
; %bb.87:
	v_mov_b32_e32 v2, s10
	global_store_b32 v[6:7], v2, off
.LBB174_88:
	s_mov_b32 s21, 0
.LBB174_89:
	s_delay_alu instid0(SALU_CYCLE_1)
	s_and_not1_b32 vcc_lo, exec_lo, s21
	s_cbranch_vccnz .LBB174_91
; %bb.90:
	v_mov_b32_e32 v2, s10
	global_store_b16 v[6:7], v2, off
.LBB174_91:
	s_mov_b32 s21, 0
.LBB174_92:
	s_delay_alu instid0(SALU_CYCLE_1)
	s_and_not1_b32 vcc_lo, exec_lo, s21
	s_cbranch_vccnz .LBB174_97
; %bb.93:
	v_cmp_lt_i16_e32 vcc_lo, 0, v24
	s_mov_b32 s21, -1
	s_cbranch_vccz .LBB174_95
; %bb.94:
	v_mov_b32_e32 v2, s10
	s_mov_b32 s21, 0
	global_store_b8 v[6:7], v2, off
.LBB174_95:
	s_and_not1_b32 vcc_lo, exec_lo, s21
	s_cbranch_vccnz .LBB174_97
; %bb.96:
	v_mov_b32_e32 v2, s10
	global_store_b8 v[6:7], v2, off
.LBB174_97:
	s_branch .LBB174_11
.LBB174_98:
	s_mov_b32 s24, 0
                                        ; implicit-def: $vgpr22
.LBB174_99:
	s_and_b32 s21, s9, exec_lo
	s_or_not1_b32 s24, s24, exec_lo
.LBB174_100:
	s_or_b32 exec_lo, exec_lo, s22
	s_mov_b32 s9, 0
                                        ; implicit-def: $vgpr24
                                        ; implicit-def: $vgpr6_vgpr7
	s_and_saveexec_b32 s22, s24
	s_cbranch_execz .LBB174_109
; %bb.101:
	s_mov_b32 s9, -1
	s_mov_b32 s23, s21
	s_mov_b32 s24, exec_lo
	v_cmpx_gt_i32_e64 s20, v22
	s_cbranch_execz .LBB174_326
; %bb.102:
	v_mul_lo_u32 v2, v22, s14
	v_and_b32_e64 v24, 0xff, s16
	s_delay_alu instid0(VALU_DEP_1) | instskip(NEXT) | instid1(VALU_DEP_3)
	v_cmp_gt_i16_e32 vcc_lo, 11, v24
	v_ashrrev_i32_e32 v3, 31, v2
	v_add_co_u32 v6, s9, s12, v2
	s_delay_alu instid0(VALU_DEP_1)
	v_add_co_ci_u32_e64 v7, s9, s13, v3, s9
	s_cbranch_vccnz .LBB174_219
; %bb.103:
	v_cmp_lt_i16_e32 vcc_lo, 25, v24
	s_cbranch_vccz .LBB174_222
; %bb.104:
	v_cmp_lt_i16_e32 vcc_lo, 28, v24
	s_cbranch_vccz .LBB174_223
	;; [unrolled: 3-line block ×4, first 2 shown]
; %bb.107:
	v_cmp_eq_u16_e32 vcc_lo, 46, v24
	s_mov_b32 s25, 0
	s_mov_b32 s9, -1
	s_mov_b32 s23, 0
	s_cbranch_vccz .LBB174_241
; %bb.108:
	s_mov_b32 s23, -1
	s_mov_b32 s9, 0
	global_store_b32 v[6:7], v11, off
	s_branch .LBB174_241
.LBB174_109:
	s_or_b32 exec_lo, exec_lo, s22
	s_mov_b32 s0, 0
	s_and_saveexec_b32 s1, s21
	s_cbranch_execnz .LBB174_791
.LBB174_110:
	s_or_b32 exec_lo, exec_lo, s1
	s_and_saveexec_b32 s1, s23
	s_delay_alu instid0(SALU_CYCLE_1)
	s_xor_b32 s1, exec_lo, s1
	s_cbranch_execz .LBB174_112
.LBB174_111:
	global_store_b8 v[6:7], v10, off
.LBB174_112:
	s_or_b32 exec_lo, exec_lo, s1
	s_and_saveexec_b32 s1, s9
	s_delay_alu instid0(SALU_CYCLE_1)
	s_xor_b32 s1, exec_lo, s1
	s_cbranch_execz .LBB174_150
; %bb.113:
	v_cmp_gt_i16_e32 vcc_lo, 5, v24
	s_mov_b32 s2, -1
	s_cbranch_vccnz .LBB174_134
; %bb.114:
	v_cmp_gt_i16_e32 vcc_lo, 8, v24
	s_cbranch_vccnz .LBB174_124
; %bb.115:
	v_cmp_gt_i16_e32 vcc_lo, 9, v24
	s_cbranch_vccnz .LBB174_121
; %bb.116:
	v_cmp_lt_i16_e32 vcc_lo, 9, v24
	s_cbranch_vccz .LBB174_118
; %bb.117:
	v_mov_b32_e32 v2, 0
	s_mov_b32 s2, 0
	s_delay_alu instid0(VALU_DEP_1)
	v_mov_b32_e32 v3, v2
	global_store_b128 v[6:7], v[0:3], off
.LBB174_118:
	s_and_not1_b32 vcc_lo, exec_lo, s2
	s_cbranch_vccnz .LBB174_120
; %bb.119:
	v_mov_b32_e32 v5, 0
	global_store_b64 v[6:7], v[4:5], off
.LBB174_120:
	s_mov_b32 s2, 0
.LBB174_121:
	s_delay_alu instid0(SALU_CYCLE_1)
	s_and_not1_b32 vcc_lo, exec_lo, s2
	s_cbranch_vccnz .LBB174_123
; %bb.122:
	global_store_b32 v[6:7], v9, off
.LBB174_123:
	s_mov_b32 s2, 0
.LBB174_124:
	s_delay_alu instid0(SALU_CYCLE_1)
	s_and_not1_b32 vcc_lo, exec_lo, s2
	s_cbranch_vccnz .LBB174_133
; %bb.125:
	v_cmp_gt_i16_e32 vcc_lo, 6, v24
	s_mov_b32 s2, -1
	s_cbranch_vccnz .LBB174_131
; %bb.126:
	v_cmp_lt_i16_e32 vcc_lo, 6, v24
	s_cbranch_vccz .LBB174_128
; %bb.127:
	s_mov_b32 s2, 0
	global_store_b64 v[6:7], v[0:1], off
.LBB174_128:
	s_and_not1_b32 vcc_lo, exec_lo, s2
	s_cbranch_vccnz .LBB174_130
; %bb.129:
	global_store_b32 v[6:7], v4, off
.LBB174_130:
	s_mov_b32 s2, 0
.LBB174_131:
	s_delay_alu instid0(SALU_CYCLE_1)
	s_and_not1_b32 vcc_lo, exec_lo, s2
	s_cbranch_vccnz .LBB174_133
; %bb.132:
	global_store_b16 v[6:7], v8, off
.LBB174_133:
	s_mov_b32 s2, 0
.LBB174_134:
	s_delay_alu instid0(SALU_CYCLE_1)
	s_and_not1_b32 vcc_lo, exec_lo, s2
	s_cbranch_vccnz .LBB174_150
; %bb.135:
	v_cmp_gt_i16_e32 vcc_lo, 2, v24
	s_mov_b32 s2, -1
	s_cbranch_vccnz .LBB174_145
; %bb.136:
	v_cmp_gt_i16_e32 vcc_lo, 3, v24
	s_cbranch_vccnz .LBB174_142
; %bb.137:
	v_cmp_lt_i16_e32 vcc_lo, 3, v24
	s_cbranch_vccz .LBB174_139
; %bb.138:
	v_dual_mov_b32 v0, s10 :: v_dual_mov_b32 v1, s11
	s_mov_b32 s2, 0
	global_store_b64 v[6:7], v[0:1], off
.LBB174_139:
	s_and_not1_b32 vcc_lo, exec_lo, s2
	s_cbranch_vccnz .LBB174_141
; %bb.140:
	v_mov_b32_e32 v0, s10
	global_store_b32 v[6:7], v0, off
.LBB174_141:
	s_mov_b32 s2, 0
.LBB174_142:
	s_delay_alu instid0(SALU_CYCLE_1)
	s_and_not1_b32 vcc_lo, exec_lo, s2
	s_cbranch_vccnz .LBB174_144
; %bb.143:
	v_mov_b32_e32 v0, s10
	global_store_b16 v[6:7], v0, off
.LBB174_144:
	s_mov_b32 s2, 0
.LBB174_145:
	s_delay_alu instid0(SALU_CYCLE_1)
	s_and_not1_b32 vcc_lo, exec_lo, s2
	s_cbranch_vccnz .LBB174_150
; %bb.146:
	v_cmp_lt_i16_e32 vcc_lo, 0, v24
	s_mov_b32 s2, -1
	s_cbranch_vccz .LBB174_148
; %bb.147:
	v_mov_b32_e32 v0, s10
	s_mov_b32 s2, 0
	global_store_b8 v[6:7], v0, off
.LBB174_148:
	s_and_not1_b32 vcc_lo, exec_lo, s2
	s_cbranch_vccnz .LBB174_150
; %bb.149:
	v_mov_b32_e32 v0, s10
	global_store_b8 v[6:7], v0, off
.LBB174_150:
	s_or_b32 exec_lo, exec_lo, s1
	s_delay_alu instid0(SALU_CYCLE_1)
	s_and_b32 s1, s0, exec_lo
                                        ; implicit-def: $vgpr22
.LBB174_151:
	s_or_saveexec_b32 s2, s17
	s_mov_b32 s0, 0
                                        ; implicit-def: $vgpr2
                                        ; implicit-def: $vgpr0_vgpr1
	s_xor_b32 exec_lo, exec_lo, s2
	s_cbranch_execz .LBB174_685
; %bb.152:
	v_mul_lo_u32 v3, s14, v22
	v_and_b32_e64 v2, 0xff, s16
	s_delay_alu instid0(VALU_DEP_1) | instskip(NEXT) | instid1(VALU_DEP_3)
	v_cmp_gt_i16_e32 vcc_lo, 11, v2
	v_ashrrev_i32_e32 v1, 31, v3
	v_add_co_u32 v0, s0, s12, v3
	s_delay_alu instid0(VALU_DEP_1)
	v_add_co_ci_u32_e64 v1, s0, s13, v1, s0
	s_cbranch_vccnz .LBB174_180
; %bb.153:
	v_cmp_lt_i16_e32 vcc_lo, 25, v2
	s_mov_b32 s3, -1
	s_mov_b32 s4, 0
	s_mov_b32 s5, 0
	;; [unrolled: 1-line block ×3, first 2 shown]
	s_cbranch_vccz .LBB174_233
; %bb.154:
	v_cmp_lt_i16_e32 vcc_lo, 28, v2
	s_cbranch_vccz .LBB174_169
; %bb.155:
	v_cmp_lt_i16_e32 vcc_lo, 43, v2
	;; [unrolled: 3-line block ×3, first 2 shown]
	s_cbranch_vccz .LBB174_159
; %bb.157:
	v_cmp_eq_u16_e32 vcc_lo, 46, v2
	s_mov_b32 s0, -1
	s_mov_b32 s3, 0
	s_cbranch_vccz .LBB174_159
; %bb.158:
	s_clz_i32_u32 s0, s11
	s_delay_alu instid0(SALU_CYCLE_1) | instskip(NEXT) | instid1(SALU_CYCLE_1)
	s_min_u32 s0, s0, 32
	s_lshl_b64 s[6:7], s[10:11], s0
	s_sub_i32 s0, 32, s0
	s_min_u32 s5, s6, 1
	s_delay_alu instid0(SALU_CYCLE_1) | instskip(NEXT) | instid1(SALU_CYCLE_1)
	s_or_b32 s5, s7, s5
	v_cvt_f32_u32_e32 v4, s5
	s_mov_b32 s5, -1
	s_delay_alu instid0(VALU_DEP_1) | instskip(SKIP_1) | instid1(VALU_DEP_1)
	v_ldexp_f32 v4, v4, s0
	s_mov_b32 s0, 0
	v_bfe_u32 v5, v4, 16, 1
	s_delay_alu instid0(VALU_DEP_1) | instskip(NEXT) | instid1(VALU_DEP_1)
	v_add_nc_u32_e32 v4, v4, v5
	v_add_nc_u32_e32 v4, 0x7fff, v4
	s_delay_alu instid0(VALU_DEP_1)
	v_lshrrev_b32_e32 v4, 16, v4
	global_store_b32 v[0:1], v4, off
.LBB174_159:
	s_and_b32 vcc_lo, exec_lo, s3
	s_cbranch_vccz .LBB174_164
; %bb.160:
	v_cmp_eq_u16_e32 vcc_lo, 44, v2
	s_mov_b32 s0, -1
	s_cbranch_vccz .LBB174_164
; %bb.161:
	s_clz_i32_u32 s0, s11
	s_delay_alu instid0(SALU_CYCLE_1) | instskip(NEXT) | instid1(SALU_CYCLE_1)
	s_min_u32 s0, s0, 32
	s_lshl_b64 s[6:7], s[10:11], s0
	s_sub_i32 s0, 32, s0
	s_min_u32 s3, s6, 1
	s_delay_alu instid0(SALU_CYCLE_1) | instskip(NEXT) | instid1(SALU_CYCLE_1)
	s_or_b32 s3, s7, s3
	v_cvt_f32_u32_e32 v4, s3
	s_delay_alu instid0(VALU_DEP_1) | instskip(NEXT) | instid1(VALU_DEP_1)
	v_ldexp_f32 v4, v4, s0
	v_readfirstlane_b32 s3, v4
	v_mov_b32_e32 v4, 0xff
	s_delay_alu instid0(VALU_DEP_2) | instskip(NEXT) | instid1(SALU_CYCLE_1)
	s_lshr_b32 s0, s3, 23
	s_cmpk_eq_i32 s0, 0xff
	s_cbranch_scc1 .LBB174_163
; %bb.162:
	s_bitcmp1_b32 s3, 22
	s_cselect_b32 s5, -1, 0
	s_and_b32 s3, s3, 0x3fffff
	s_delay_alu instid0(SALU_CYCLE_1) | instskip(NEXT) | instid1(SALU_CYCLE_1)
	s_or_b32 s3, s0, s3
	s_cmp_lg_u32 s3, 0
	s_cselect_b32 s3, -1, 0
	s_delay_alu instid0(SALU_CYCLE_1) | instskip(NEXT) | instid1(SALU_CYCLE_1)
	s_and_b32 s3, s5, s3
	v_cndmask_b32_e64 v4, 0, 1, s3
	s_delay_alu instid0(VALU_DEP_1)
	v_add_nc_u32_e32 v4, s0, v4
.LBB174_163:
	s_mov_b32 s0, 0
	s_mov_b32 s5, -1
	global_store_b8 v[0:1], v4, off
.LBB174_164:
	s_mov_b32 s3, 0
.LBB174_165:
	s_delay_alu instid0(SALU_CYCLE_1)
	s_and_b32 vcc_lo, exec_lo, s3
	s_cbranch_vccz .LBB174_168
; %bb.166:
	v_cmp_eq_u16_e32 vcc_lo, 29, v2
	s_mov_b32 s0, -1
	s_cbranch_vccz .LBB174_168
; %bb.167:
	v_dual_mov_b32 v4, s10 :: v_dual_mov_b32 v5, s11
	s_mov_b32 s0, 0
	s_mov_b32 s5, -1
	global_store_b64 v[0:1], v[4:5], off
.LBB174_168:
	s_mov_b32 s3, 0
.LBB174_169:
	s_delay_alu instid0(SALU_CYCLE_1)
	s_and_b32 vcc_lo, exec_lo, s3
	s_cbranch_vccz .LBB174_232
; %bb.170:
	v_cmp_gt_i16_e32 vcc_lo, 27, v2
	s_mov_b32 s3, -1
	s_cbranch_vccnz .LBB174_176
; %bb.171:
	v_cmp_lt_i16_e32 vcc_lo, 27, v2
	s_cbranch_vccz .LBB174_173
; %bb.172:
	v_mov_b32_e32 v4, s10
	s_mov_b32 s3, 0
	global_store_b32 v[0:1], v4, off
.LBB174_173:
	s_and_not1_b32 vcc_lo, exec_lo, s3
	s_cbranch_vccnz .LBB174_175
; %bb.174:
	v_mov_b32_e32 v4, s10
	global_store_b16 v[0:1], v4, off
.LBB174_175:
	s_mov_b32 s3, 0
.LBB174_176:
	s_delay_alu instid0(SALU_CYCLE_1)
	s_and_not1_b32 vcc_lo, exec_lo, s3
	s_cbranch_vccnz .LBB174_231
; %bb.177:
	s_clz_i32_u32 s3, s11
	v_mov_b32_e32 v6, 0x80
	s_min_u32 s3, s3, 32
	s_delay_alu instid0(SALU_CYCLE_1) | instskip(SKIP_2) | instid1(SALU_CYCLE_1)
	s_lshl_b64 s[6:7], s[10:11], s3
	s_sub_i32 s3, 32, s3
	s_min_u32 s5, s6, 1
	s_or_b32 s5, s7, s5
	s_delay_alu instid0(SALU_CYCLE_1) | instskip(NEXT) | instid1(VALU_DEP_1)
	v_cvt_f32_u32_e32 v4, s5
	v_ldexp_f32 v4, v4, s3
	s_delay_alu instid0(VALU_DEP_1)
	v_cmp_lt_u32_e32 vcc_lo, 0x437fffff, v4
	v_readfirstlane_b32 s3, v4
	s_cbranch_vccnz .LBB174_230
; %bb.178:
	s_delay_alu instid0(VALU_DEP_1)
	s_cmp_gt_u32 s3, 0x3bffffff
	s_cbranch_scc0 .LBB174_225
; %bb.179:
	s_bfe_u32 s5, s3, 0x10014
	s_delay_alu instid0(SALU_CYCLE_1) | instskip(SKIP_2) | instid1(SALU_CYCLE_1)
	s_add_i32 s3, s3, s5
	s_mov_b32 s5, 0
	s_add_i32 s3, s3, 0x487ffff
	s_lshr_b32 s6, s3, 20
	s_mov_b32 s3, -1
	s_branch .LBB174_226
.LBB174_180:
	s_mov_b32 s5, 0
	s_mov_b32 s3, s1
	s_cbranch_execz .LBB174_382
; %bb.181:
	v_cmp_gt_i16_e32 vcc_lo, 5, v2
	s_mov_b32 s0, -1
	s_cbranch_vccnz .LBB174_202
; %bb.182:
	v_cmp_gt_i16_e32 vcc_lo, 8, v2
	s_cbranch_vccnz .LBB174_192
; %bb.183:
	v_cmp_gt_i16_e32 vcc_lo, 9, v2
	s_cbranch_vccnz .LBB174_189
; %bb.184:
	v_cmp_lt_i16_e32 vcc_lo, 9, v2
	s_cbranch_vccz .LBB174_186
; %bb.185:
	v_cvt_f64_u32_e32 v[4:5], s11
	v_cvt_f64_u32_e32 v[6:7], s10
	s_mov_b32 s0, 0
	s_delay_alu instid0(VALU_DEP_2) | instskip(NEXT) | instid1(VALU_DEP_1)
	v_ldexp_f64 v[4:5], v[4:5], 32
	v_add_f64 v[4:5], v[4:5], v[6:7]
	v_mov_b32_e32 v6, 0
	s_delay_alu instid0(VALU_DEP_1)
	v_mov_b32_e32 v7, v6
	global_store_b128 v[0:1], v[4:7], off
.LBB174_186:
	s_and_not1_b32 vcc_lo, exec_lo, s0
	s_cbranch_vccnz .LBB174_188
; %bb.187:
	s_clz_i32_u32 s0, s11
	v_mov_b32_e32 v5, 0
	s_min_u32 s0, s0, 32
	s_delay_alu instid0(SALU_CYCLE_1) | instskip(SKIP_2) | instid1(SALU_CYCLE_1)
	s_lshl_b64 s[4:5], s[10:11], s0
	s_sub_i32 s0, 32, s0
	s_min_u32 s4, s4, 1
	s_or_b32 s4, s5, s4
	s_delay_alu instid0(SALU_CYCLE_1) | instskip(NEXT) | instid1(VALU_DEP_1)
	v_cvt_f32_u32_e32 v4, s4
	v_ldexp_f32 v4, v4, s0
	global_store_b64 v[0:1], v[4:5], off
.LBB174_188:
	s_mov_b32 s0, 0
.LBB174_189:
	s_delay_alu instid0(SALU_CYCLE_1)
	s_and_not1_b32 vcc_lo, exec_lo, s0
	s_cbranch_vccnz .LBB174_191
; %bb.190:
	s_clz_i32_u32 s0, s11
	s_delay_alu instid0(SALU_CYCLE_1) | instskip(NEXT) | instid1(SALU_CYCLE_1)
	s_min_u32 s0, s0, 32
	s_lshl_b64 s[4:5], s[10:11], s0
	s_sub_i32 s0, 32, s0
	s_min_u32 s4, s4, 1
	s_delay_alu instid0(SALU_CYCLE_1) | instskip(NEXT) | instid1(SALU_CYCLE_1)
	s_or_b32 s4, s5, s4
	v_cvt_f32_u32_e32 v4, s4
	s_delay_alu instid0(VALU_DEP_1) | instskip(NEXT) | instid1(VALU_DEP_1)
	v_ldexp_f32 v4, v4, s0
	v_cvt_f16_f32_e32 v4, v4
	s_delay_alu instid0(VALU_DEP_1)
	v_and_b32_e32 v4, 0xffff, v4
	global_store_b32 v[0:1], v4, off
.LBB174_191:
	s_mov_b32 s0, 0
.LBB174_192:
	s_delay_alu instid0(SALU_CYCLE_1)
	s_and_not1_b32 vcc_lo, exec_lo, s0
	s_cbranch_vccnz .LBB174_201
; %bb.193:
	v_cmp_gt_i16_e32 vcc_lo, 6, v2
	s_mov_b32 s0, -1
	s_cbranch_vccnz .LBB174_199
; %bb.194:
	v_cmp_lt_i16_e32 vcc_lo, 6, v2
	s_cbranch_vccz .LBB174_196
; %bb.195:
	v_cvt_f64_u32_e32 v[4:5], s11
	v_cvt_f64_u32_e32 v[6:7], s10
	s_mov_b32 s0, 0
	s_delay_alu instid0(VALU_DEP_2) | instskip(NEXT) | instid1(VALU_DEP_1)
	v_ldexp_f64 v[4:5], v[4:5], 32
	v_add_f64 v[4:5], v[4:5], v[6:7]
	global_store_b64 v[0:1], v[4:5], off
.LBB174_196:
	s_and_not1_b32 vcc_lo, exec_lo, s0
	s_cbranch_vccnz .LBB174_198
; %bb.197:
	s_clz_i32_u32 s0, s11
	s_delay_alu instid0(SALU_CYCLE_1) | instskip(NEXT) | instid1(SALU_CYCLE_1)
	s_min_u32 s0, s0, 32
	s_lshl_b64 s[4:5], s[10:11], s0
	s_sub_i32 s0, 32, s0
	s_min_u32 s4, s4, 1
	s_delay_alu instid0(SALU_CYCLE_1) | instskip(NEXT) | instid1(SALU_CYCLE_1)
	s_or_b32 s4, s5, s4
	v_cvt_f32_u32_e32 v4, s4
	s_delay_alu instid0(VALU_DEP_1)
	v_ldexp_f32 v4, v4, s0
	global_store_b32 v[0:1], v4, off
.LBB174_198:
	s_mov_b32 s0, 0
.LBB174_199:
	s_delay_alu instid0(SALU_CYCLE_1)
	s_and_not1_b32 vcc_lo, exec_lo, s0
	s_cbranch_vccnz .LBB174_201
; %bb.200:
	s_clz_i32_u32 s0, s11
	s_delay_alu instid0(SALU_CYCLE_1) | instskip(NEXT) | instid1(SALU_CYCLE_1)
	s_min_u32 s0, s0, 32
	s_lshl_b64 s[4:5], s[10:11], s0
	s_sub_i32 s0, 32, s0
	s_min_u32 s4, s4, 1
	s_delay_alu instid0(SALU_CYCLE_1) | instskip(NEXT) | instid1(SALU_CYCLE_1)
	s_or_b32 s4, s5, s4
	v_cvt_f32_u32_e32 v4, s4
	s_delay_alu instid0(VALU_DEP_1) | instskip(NEXT) | instid1(VALU_DEP_1)
	v_ldexp_f32 v4, v4, s0
	v_cvt_f16_f32_e32 v4, v4
	global_store_b16 v[0:1], v4, off
.LBB174_201:
	s_mov_b32 s0, 0
.LBB174_202:
	s_delay_alu instid0(SALU_CYCLE_1)
	s_and_not1_b32 vcc_lo, exec_lo, s0
	s_cbranch_vccnz .LBB174_218
; %bb.203:
	v_cmp_gt_i16_e32 vcc_lo, 2, v2
	s_mov_b32 s0, -1
	s_cbranch_vccnz .LBB174_213
; %bb.204:
	v_cmp_gt_i16_e32 vcc_lo, 3, v2
	s_cbranch_vccnz .LBB174_210
; %bb.205:
	v_cmp_lt_i16_e32 vcc_lo, 3, v2
	s_cbranch_vccz .LBB174_207
; %bb.206:
	v_dual_mov_b32 v4, s10 :: v_dual_mov_b32 v5, s11
	s_mov_b32 s0, 0
	global_store_b64 v[0:1], v[4:5], off
.LBB174_207:
	s_and_not1_b32 vcc_lo, exec_lo, s0
	s_cbranch_vccnz .LBB174_209
; %bb.208:
	v_mov_b32_e32 v4, s10
	global_store_b32 v[0:1], v4, off
.LBB174_209:
	s_mov_b32 s0, 0
.LBB174_210:
	s_delay_alu instid0(SALU_CYCLE_1)
	s_and_not1_b32 vcc_lo, exec_lo, s0
	s_cbranch_vccnz .LBB174_212
; %bb.211:
	v_mov_b32_e32 v4, s10
	global_store_b16 v[0:1], v4, off
.LBB174_212:
	s_mov_b32 s0, 0
.LBB174_213:
	s_delay_alu instid0(SALU_CYCLE_1)
	s_and_not1_b32 vcc_lo, exec_lo, s0
	s_cbranch_vccnz .LBB174_218
; %bb.214:
	v_cmp_lt_i16_e32 vcc_lo, 0, v2
	s_mov_b32 s0, -1
	s_cbranch_vccz .LBB174_216
; %bb.215:
	v_mov_b32_e32 v4, s10
	s_mov_b32 s0, 0
	global_store_b8 v[0:1], v4, off
.LBB174_216:
	s_and_not1_b32 vcc_lo, exec_lo, s0
	s_cbranch_vccnz .LBB174_218
; %bb.217:
	v_mov_b32_e32 v4, s10
	global_store_b8 v[0:1], v4, off
.LBB174_218:
	s_branch .LBB174_383
.LBB174_219:
	s_mov_b32 s23, 0
	s_mov_b32 s9, s21
	s_cbranch_execnz .LBB174_286
.LBB174_220:
	s_and_not1_b32 vcc_lo, exec_lo, s23
	s_cbranch_vccnz .LBB174_324
.LBB174_221:
	v_add_nc_u32_e32 v22, 0x80, v22
	s_mov_b32 s25, -1
	s_branch .LBB174_325
.LBB174_222:
	s_mov_b32 s25, -1
	s_mov_b32 s23, 0
	s_mov_b32 s9, s21
	s_branch .LBB174_263
.LBB174_223:
	s_mov_b32 s25, -1
	s_mov_b32 s23, 0
	s_mov_b32 s9, s21
	s_branch .LBB174_249
.LBB174_224:
	s_mov_b32 s25, -1
	s_mov_b32 s23, 0
	s_mov_b32 s9, s21
	s_branch .LBB174_245
.LBB174_225:
	s_mov_b32 s5, -1
	s_mov_b32 s3, 0
                                        ; implicit-def: $sgpr6
.LBB174_226:
	v_mov_b32_e32 v5, s6
	s_and_not1_b32 vcc_lo, exec_lo, s5
                                        ; implicit-def: $sgpr5
	s_cbranch_vccnz .LBB174_228
; %bb.227:
	v_add_f32_e32 v4, 0x46000000, v4
	s_mov_b32 s5, 0
	s_delay_alu instid0(VALU_DEP_1) | instskip(NEXT) | instid1(VALU_DEP_1)
	v_and_b32_e32 v5, 0xff, v4
	v_cmp_ne_u32_e64 s3, 0, v5
.LBB174_228:
	v_mov_b32_e32 v6, s5
	s_delay_alu instid0(VALU_DEP_2)
	s_and_not1_b32 vcc_lo, exec_lo, s3
	s_cbranch_vccnz .LBB174_230
; %bb.229:
	v_mov_b32_e32 v6, v5
.LBB174_230:
	global_store_b8 v[0:1], v6, off
.LBB174_231:
	s_mov_b32 s5, -1
.LBB174_232:
	s_mov_b32 s3, 0
.LBB174_233:
	s_delay_alu instid0(SALU_CYCLE_1)
	s_and_b32 vcc_lo, exec_lo, s3
	s_cbranch_vccz .LBB174_378
; %bb.234:
	v_cmp_lt_i16_e32 vcc_lo, 22, v2
	s_mov_b32 s3, -1
	s_cbranch_vccz .LBB174_371
; %bb.235:
	v_cmp_gt_i16_e32 vcc_lo, 24, v2
	s_cbranch_vccnz .LBB174_358
; %bb.236:
	v_cmp_lt_i16_e32 vcc_lo, 24, v2
	s_cbranch_vccz .LBB174_345
; %bb.237:
	s_clz_i32_u32 s3, s11
	v_mov_b32_e32 v6, 0x80
	s_min_u32 s3, s3, 32
	s_delay_alu instid0(SALU_CYCLE_1) | instskip(SKIP_2) | instid1(SALU_CYCLE_1)
	s_lshl_b64 s[4:5], s[10:11], s3
	s_sub_i32 s3, 32, s3
	s_min_u32 s4, s4, 1
	s_or_b32 s4, s5, s4
	s_delay_alu instid0(SALU_CYCLE_1) | instskip(NEXT) | instid1(VALU_DEP_1)
	v_cvt_f32_u32_e32 v4, s4
	v_ldexp_f32 v4, v4, s3
	s_delay_alu instid0(VALU_DEP_1)
	v_cmp_lt_u32_e32 vcc_lo, 0x477fffff, v4
	v_readfirstlane_b32 s3, v4
	s_cbranch_vccnz .LBB174_344
; %bb.238:
	s_delay_alu instid0(VALU_DEP_1)
	s_cmp_gt_u32 s3, 0x37ffffff
	s_cbranch_scc0 .LBB174_339
; %bb.239:
	s_bfe_u32 s4, s3, 0x10015
	s_delay_alu instid0(SALU_CYCLE_1) | instskip(SKIP_2) | instid1(SALU_CYCLE_1)
	s_add_i32 s3, s3, s4
	s_mov_b32 s4, 0
	s_add_i32 s3, s3, 0x88fffff
	s_lshr_b32 s5, s3, 21
	s_mov_b32 s3, -1
	s_branch .LBB174_340
.LBB174_240:
	s_mov_b32 s25, -1
	s_mov_b32 s23, 0
	s_mov_b32 s9, s21
.LBB174_241:
	s_and_b32 vcc_lo, exec_lo, s25
	s_cbranch_vccz .LBB174_244
; %bb.242:
	v_cmp_eq_u16_e32 vcc_lo, 44, v24
	s_mov_b32 s9, -1
	s_cbranch_vccz .LBB174_244
; %bb.243:
	v_cndmask_b32_e64 v2, v23, 0xff, s8
	s_mov_b32 s23, -1
	s_mov_b32 s9, 0
	global_store_b8 v[6:7], v2, off
.LBB174_244:
	s_mov_b32 s25, 0
.LBB174_245:
	s_delay_alu instid0(SALU_CYCLE_1)
	s_and_b32 vcc_lo, exec_lo, s25
	s_cbranch_vccz .LBB174_248
; %bb.246:
	v_cmp_eq_u16_e32 vcc_lo, 29, v24
	s_mov_b32 s9, -1
	s_cbranch_vccz .LBB174_248
; %bb.247:
	v_dual_mov_b32 v2, s10 :: v_dual_mov_b32 v3, s11
	s_mov_b32 s23, -1
	s_mov_b32 s9, 0
	s_mov_b32 s25, 0
	global_store_b64 v[6:7], v[2:3], off
	s_branch .LBB174_249
.LBB174_248:
	s_mov_b32 s25, 0
.LBB174_249:
	s_delay_alu instid0(SALU_CYCLE_1)
	s_and_b32 vcc_lo, exec_lo, s25
	s_cbranch_vccz .LBB174_262
; %bb.250:
	v_cmp_gt_i16_e32 vcc_lo, 27, v24
	s_mov_b32 s23, -1
	s_cbranch_vccnz .LBB174_256
; %bb.251:
	v_cmp_lt_i16_e32 vcc_lo, 27, v24
	s_cbranch_vccz .LBB174_253
; %bb.252:
	v_mov_b32_e32 v2, s10
	s_mov_b32 s23, 0
	global_store_b32 v[6:7], v2, off
.LBB174_253:
	s_and_not1_b32 vcc_lo, exec_lo, s23
	s_cbranch_vccnz .LBB174_255
; %bb.254:
	v_mov_b32_e32 v2, s10
	global_store_b16 v[6:7], v2, off
.LBB174_255:
	s_mov_b32 s23, 0
.LBB174_256:
	s_delay_alu instid0(SALU_CYCLE_1)
	s_and_not1_b32 vcc_lo, exec_lo, s23
	s_cbranch_vccnz .LBB174_261
; %bb.257:
	v_mov_b32_e32 v2, 0x80
	s_and_not1_b32 vcc_lo, exec_lo, s7
	s_cbranch_vccnz .LBB174_260
; %bb.258:
	v_mov_b32_e32 v2, 0
	s_or_b32 s23, s6, s19
	s_delay_alu instid0(SALU_CYCLE_1)
	s_and_not1_b32 vcc_lo, exec_lo, s23
	s_cbranch_vccnz .LBB174_260
; %bb.259:
	v_cndmask_b32_e64 v2, v20, v21, s6
.LBB174_260:
	global_store_b8 v[6:7], v2, off
.LBB174_261:
	s_mov_b32 s23, -1
.LBB174_262:
	s_mov_b32 s25, 0
.LBB174_263:
	s_delay_alu instid0(SALU_CYCLE_1)
	s_and_b32 vcc_lo, exec_lo, s25
	s_cbranch_vccz .LBB174_285
; %bb.264:
	v_cmp_lt_i16_e32 vcc_lo, 22, v24
	s_mov_b32 s25, -1
	s_cbranch_vccz .LBB174_277
; %bb.265:
	v_cmp_gt_i16_e32 vcc_lo, 24, v24
	s_mov_b32 s23, -1
	s_cbranch_vccnz .LBB174_274
; %bb.266:
	v_cmp_lt_i16_e32 vcc_lo, 24, v24
	s_cbranch_vccz .LBB174_271
; %bb.267:
	v_mov_b32_e32 v2, 0x80
	s_and_not1_b32 vcc_lo, exec_lo, s5
	s_cbranch_vccnz .LBB174_270
; %bb.268:
	v_mov_b32_e32 v2, 0
	s_or_b32 s23, s4, s18
	s_delay_alu instid0(SALU_CYCLE_1)
	s_and_not1_b32 vcc_lo, exec_lo, s23
	s_cbranch_vccnz .LBB174_270
; %bb.269:
	v_cndmask_b32_e64 v2, v15, v19, s4
.LBB174_270:
	s_mov_b32 s23, 0
	global_store_b8 v[6:7], v2, off
.LBB174_271:
	s_and_b32 vcc_lo, exec_lo, s23
	s_cbranch_vccz .LBB174_273
; %bb.272:
	v_cndmask_b32_e64 v2, v16, v17, s3
	s_delay_alu instid0(VALU_DEP_1)
	v_cndmask_b32_e64 v2, v2, v18, s2
	global_store_b8 v[6:7], v2, off
.LBB174_273:
	s_mov_b32 s23, 0
.LBB174_274:
	s_delay_alu instid0(SALU_CYCLE_1)
	s_and_not1_b32 vcc_lo, exec_lo, s23
	s_cbranch_vccnz .LBB174_276
; %bb.275:
	v_cndmask_b32_e64 v2, v12, v13, s1
	s_delay_alu instid0(VALU_DEP_1)
	v_cndmask_b32_e64 v2, v2, v14, s0
	global_store_b8 v[6:7], v2, off
.LBB174_276:
	s_mov_b32 s25, 0
	s_mov_b32 s23, -1
.LBB174_277:
	s_and_not1_b32 vcc_lo, exec_lo, s25
	s_cbranch_vccnz .LBB174_285
; %bb.278:
	v_cmp_lt_i16_e32 vcc_lo, 14, v24
	s_mov_b32 s25, -1
	s_cbranch_vccz .LBB174_282
; %bb.279:
	v_cmp_eq_u16_e32 vcc_lo, 15, v24
	s_mov_b32 s9, -1
	s_cbranch_vccz .LBB174_281
; %bb.280:
	s_mov_b32 s23, -1
	s_mov_b32 s9, 0
	global_store_b16 v[6:7], v11, off
.LBB174_281:
	s_mov_b32 s25, 0
.LBB174_282:
	s_delay_alu instid0(SALU_CYCLE_1)
	s_and_b32 vcc_lo, exec_lo, s25
	s_cbranch_vccz .LBB174_285
; %bb.283:
	v_cmp_eq_u16_e32 vcc_lo, 11, v24
	s_mov_b32 s9, -1
	s_cbranch_vccz .LBB174_285
; %bb.284:
	s_mov_b32 s23, -1
	s_mov_b32 s9, 0
	global_store_b8 v[6:7], v10, off
.LBB174_285:
	s_branch .LBB174_220
.LBB174_286:
	v_cmp_gt_i16_e32 vcc_lo, 5, v24
	s_mov_b32 s23, -1
	s_cbranch_vccnz .LBB174_307
; %bb.287:
	v_cmp_gt_i16_e32 vcc_lo, 8, v24
	s_cbranch_vccnz .LBB174_297
; %bb.288:
	v_cmp_gt_i16_e32 vcc_lo, 9, v24
	s_cbranch_vccnz .LBB174_294
; %bb.289:
	v_cmp_lt_i16_e32 vcc_lo, 9, v24
	s_cbranch_vccz .LBB174_291
; %bb.290:
	v_mov_b32_e32 v2, 0
	s_mov_b32 s23, 0
	s_delay_alu instid0(VALU_DEP_1)
	v_mov_b32_e32 v3, v2
	global_store_b128 v[6:7], v[0:3], off
.LBB174_291:
	s_and_not1_b32 vcc_lo, exec_lo, s23
	s_cbranch_vccnz .LBB174_293
; %bb.292:
	v_mov_b32_e32 v5, 0
	global_store_b64 v[6:7], v[4:5], off
.LBB174_293:
	s_mov_b32 s23, 0
.LBB174_294:
	s_delay_alu instid0(SALU_CYCLE_1)
	s_and_not1_b32 vcc_lo, exec_lo, s23
	s_cbranch_vccnz .LBB174_296
; %bb.295:
	global_store_b32 v[6:7], v9, off
.LBB174_296:
	s_mov_b32 s23, 0
.LBB174_297:
	s_delay_alu instid0(SALU_CYCLE_1)
	s_and_not1_b32 vcc_lo, exec_lo, s23
	s_cbranch_vccnz .LBB174_306
; %bb.298:
	v_cmp_gt_i16_e32 vcc_lo, 6, v24
	s_mov_b32 s23, -1
	s_cbranch_vccnz .LBB174_304
; %bb.299:
	v_cmp_lt_i16_e32 vcc_lo, 6, v24
	s_cbranch_vccz .LBB174_301
; %bb.300:
	s_mov_b32 s23, 0
	global_store_b64 v[6:7], v[0:1], off
.LBB174_301:
	s_and_not1_b32 vcc_lo, exec_lo, s23
	s_cbranch_vccnz .LBB174_303
; %bb.302:
	global_store_b32 v[6:7], v4, off
.LBB174_303:
	s_mov_b32 s23, 0
.LBB174_304:
	s_delay_alu instid0(SALU_CYCLE_1)
	s_and_not1_b32 vcc_lo, exec_lo, s23
	s_cbranch_vccnz .LBB174_306
; %bb.305:
	global_store_b16 v[6:7], v8, off
.LBB174_306:
	s_mov_b32 s23, 0
.LBB174_307:
	s_delay_alu instid0(SALU_CYCLE_1)
	s_and_not1_b32 vcc_lo, exec_lo, s23
	s_cbranch_vccnz .LBB174_323
; %bb.308:
	v_cmp_gt_i16_e32 vcc_lo, 2, v24
	s_mov_b32 s23, -1
	s_cbranch_vccnz .LBB174_318
; %bb.309:
	v_cmp_gt_i16_e32 vcc_lo, 3, v24
	s_cbranch_vccnz .LBB174_315
; %bb.310:
	v_cmp_lt_i16_e32 vcc_lo, 3, v24
	s_cbranch_vccz .LBB174_312
; %bb.311:
	v_dual_mov_b32 v2, s10 :: v_dual_mov_b32 v3, s11
	s_mov_b32 s23, 0
	global_store_b64 v[6:7], v[2:3], off
.LBB174_312:
	s_and_not1_b32 vcc_lo, exec_lo, s23
	s_cbranch_vccnz .LBB174_314
; %bb.313:
	v_mov_b32_e32 v2, s10
	global_store_b32 v[6:7], v2, off
.LBB174_314:
	s_mov_b32 s23, 0
.LBB174_315:
	s_delay_alu instid0(SALU_CYCLE_1)
	s_and_not1_b32 vcc_lo, exec_lo, s23
	s_cbranch_vccnz .LBB174_317
; %bb.316:
	v_mov_b32_e32 v2, s10
	global_store_b16 v[6:7], v2, off
.LBB174_317:
	s_mov_b32 s23, 0
.LBB174_318:
	s_delay_alu instid0(SALU_CYCLE_1)
	s_and_not1_b32 vcc_lo, exec_lo, s23
	s_cbranch_vccnz .LBB174_323
; %bb.319:
	v_cmp_lt_i16_e32 vcc_lo, 0, v24
	s_mov_b32 s23, -1
	s_cbranch_vccz .LBB174_321
; %bb.320:
	v_mov_b32_e32 v2, s10
	s_mov_b32 s23, 0
	global_store_b8 v[6:7], v2, off
.LBB174_321:
	s_and_not1_b32 vcc_lo, exec_lo, s23
	s_cbranch_vccnz .LBB174_323
; %bb.322:
	v_mov_b32_e32 v2, s10
	global_store_b8 v[6:7], v2, off
.LBB174_323:
	s_branch .LBB174_221
.LBB174_324:
	s_mov_b32 s25, 0
                                        ; implicit-def: $vgpr22
.LBB174_325:
	s_and_not1_b32 s23, s21, exec_lo
	s_and_b32 s9, s9, exec_lo
	s_delay_alu instid0(SALU_CYCLE_1)
	s_or_b32 s23, s23, s9
	s_or_not1_b32 s9, s25, exec_lo
.LBB174_326:
	s_or_b32 exec_lo, exec_lo, s24
	s_mov_b32 s25, 0
	s_mov_b32 s27, 0
                                        ; implicit-def: $vgpr24
                                        ; implicit-def: $vgpr6_vgpr7
	s_and_saveexec_b32 s24, s9
	s_cbranch_execz .LBB174_790
; %bb.327:
	s_mov_b32 s28, -1
	s_mov_b32 s26, s23
	s_mov_b32 s25, exec_lo
	v_cmpx_gt_i32_e64 s20, v22
	s_cbranch_execz .LBB174_558
; %bb.328:
	v_mul_lo_u32 v2, v22, s14
	v_and_b32_e64 v24, 0xff, s16
	s_delay_alu instid0(VALU_DEP_1) | instskip(NEXT) | instid1(VALU_DEP_3)
	v_cmp_gt_i16_e32 vcc_lo, 11, v24
	v_ashrrev_i32_e32 v3, 31, v2
	v_add_co_u32 v6, s9, s12, v2
	s_delay_alu instid0(VALU_DEP_1)
	v_add_co_ci_u32_e64 v7, s9, s13, v3, s9
	s_cbranch_vccnz .LBB174_335
; %bb.329:
	v_cmp_lt_i16_e32 vcc_lo, 25, v24
	s_cbranch_vccz .LBB174_336
; %bb.330:
	v_cmp_lt_i16_e32 vcc_lo, 28, v24
	s_cbranch_vccz .LBB174_337
; %bb.331:
	v_cmp_lt_i16_e32 vcc_lo, 43, v24
	s_cbranch_vccz .LBB174_338
; %bb.332:
	v_cmp_lt_i16_e32 vcc_lo, 45, v24
	s_cbranch_vccz .LBB174_469
; %bb.333:
	v_cmp_eq_u16_e32 vcc_lo, 46, v24
	s_mov_b32 s9, -1
	s_mov_b32 s26, 0
	s_cbranch_vccz .LBB174_470
; %bb.334:
	s_mov_b32 s26, -1
	s_mov_b32 s9, 0
	global_store_b32 v[6:7], v11, off
	s_branch .LBB174_470
.LBB174_335:
	s_mov_b32 s27, -1
	s_mov_b32 s26, 0
	s_mov_b32 s9, s23
	s_branch .LBB174_515
.LBB174_336:
	s_mov_b32 s27, -1
	s_mov_b32 s26, 0
	s_mov_b32 s9, s23
	s_branch .LBB174_492
.LBB174_337:
	s_mov_b32 s27, -1
	s_mov_b32 s26, 0
	s_mov_b32 s9, s23
	s_branch .LBB174_478
.LBB174_338:
	s_mov_b32 s27, -1
	s_mov_b32 s26, 0
	s_mov_b32 s9, s23
	s_branch .LBB174_474
.LBB174_339:
	s_mov_b32 s4, -1
	s_mov_b32 s3, 0
                                        ; implicit-def: $sgpr5
.LBB174_340:
	v_mov_b32_e32 v5, s5
	s_and_not1_b32 vcc_lo, exec_lo, s4
                                        ; implicit-def: $sgpr4
	s_cbranch_vccnz .LBB174_342
; %bb.341:
	v_add_f32_e32 v4, 0x42800000, v4
	s_mov_b32 s4, 0
	s_delay_alu instid0(VALU_DEP_1) | instskip(NEXT) | instid1(VALU_DEP_1)
	v_and_b32_e32 v5, 0xff, v4
	v_cmp_ne_u32_e64 s3, 0, v5
.LBB174_342:
	v_mov_b32_e32 v6, s4
	s_delay_alu instid0(VALU_DEP_2)
	s_and_not1_b32 vcc_lo, exec_lo, s3
	s_cbranch_vccnz .LBB174_344
; %bb.343:
	v_mov_b32_e32 v6, v5
.LBB174_344:
	s_mov_b32 s3, 0
	global_store_b8 v[0:1], v6, off
.LBB174_345:
	s_and_b32 vcc_lo, exec_lo, s3
	s_cbranch_vccz .LBB174_357
; %bb.346:
	s_clz_i32_u32 s3, s11
	s_delay_alu instid0(SALU_CYCLE_1) | instskip(NEXT) | instid1(SALU_CYCLE_1)
	s_min_u32 s3, s3, 32
	s_lshl_b64 s[4:5], s[10:11], s3
	s_sub_i32 s3, 32, s3
	s_min_u32 s4, s4, 1
	s_delay_alu instid0(SALU_CYCLE_1) | instskip(NEXT) | instid1(SALU_CYCLE_1)
	s_or_b32 s4, s5, s4
	v_cvt_f32_u32_e32 v4, s4
	s_delay_alu instid0(VALU_DEP_1) | instskip(NEXT) | instid1(VALU_DEP_1)
	v_ldexp_f32 v4, v4, s3
	v_cmp_gt_u32_e32 vcc_lo, 0x43f00000, v4
	v_readfirstlane_b32 s3, v4
	s_cbranch_vccz .LBB174_349
; %bb.347:
	s_delay_alu instid0(VALU_DEP_1)
	s_cmp_gt_u32 s3, 0x3c7fffff
	s_cbranch_scc0 .LBB174_350
; %bb.348:
	s_bfe_u32 s4, s3, 0x10014
	s_delay_alu instid0(SALU_CYCLE_1) | instskip(NEXT) | instid1(SALU_CYCLE_1)
	s_add_i32 s4, s3, s4
	s_add_i32 s4, s4, 0x407ffff
	s_delay_alu instid0(SALU_CYCLE_1)
	s_and_b32 s5, s4, 0xff00000
	s_lshr_b32 s4, s4, 20
	s_cmp_lg_u32 s5, 0x7f00000
	s_cselect_b32 s5, s4, 0x7e
	s_mov_b32 s4, 0
	s_branch .LBB174_351
.LBB174_349:
	s_mov_b32 s4, -1
                                        ; implicit-def: $vgpr5
	s_branch .LBB174_354
.LBB174_350:
	s_mov_b32 s4, -1
                                        ; implicit-def: $sgpr5
.LBB174_351:
	v_mov_b32_e32 v5, s5
	s_and_not1_b32 vcc_lo, exec_lo, s4
	s_cbranch_vccnz .LBB174_353
; %bb.352:
	v_add_f32_e32 v5, 0x46800000, v4
.LBB174_353:
	s_mov_b32 s4, 0
.LBB174_354:
	s_delay_alu instid0(SALU_CYCLE_1)
	s_and_not1_b32 vcc_lo, exec_lo, s4
	s_cbranch_vccnz .LBB174_356
; %bb.355:
	s_cmp_gt_u32 s3, 0x7f800000
	s_movk_i32 s3, 0x7f
	s_delay_alu instid0(SALU_CYCLE_1) | instskip(NEXT) | instid1(SALU_CYCLE_1)
	s_cselect_b32 s3, s3, 0x7e
	v_mov_b32_e32 v5, s3
.LBB174_356:
	global_store_b8 v[0:1], v5, off
.LBB174_357:
	s_mov_b32 s3, 0
.LBB174_358:
	s_delay_alu instid0(SALU_CYCLE_1)
	s_and_not1_b32 vcc_lo, exec_lo, s3
	s_cbranch_vccnz .LBB174_370
; %bb.359:
	s_clz_i32_u32 s3, s11
	s_delay_alu instid0(SALU_CYCLE_1) | instskip(NEXT) | instid1(SALU_CYCLE_1)
	s_min_u32 s3, s3, 32
	s_lshl_b64 s[4:5], s[10:11], s3
	s_sub_i32 s3, 32, s3
	s_min_u32 s4, s4, 1
	s_delay_alu instid0(SALU_CYCLE_1) | instskip(NEXT) | instid1(SALU_CYCLE_1)
	s_or_b32 s4, s5, s4
	v_cvt_f32_u32_e32 v4, s4
	s_delay_alu instid0(VALU_DEP_1) | instskip(NEXT) | instid1(VALU_DEP_1)
	v_ldexp_f32 v4, v4, s3
	v_cmp_gt_u32_e32 vcc_lo, 0x47800000, v4
	v_readfirstlane_b32 s3, v4
	s_cbranch_vccz .LBB174_362
; %bb.360:
	s_delay_alu instid0(VALU_DEP_1)
	s_cmp_gt_u32 s3, 0x387fffff
	s_cbranch_scc0 .LBB174_363
; %bb.361:
	s_bfe_u32 s4, s3, 0x10015
	s_delay_alu instid0(SALU_CYCLE_1) | instskip(NEXT) | instid1(SALU_CYCLE_1)
	s_add_i32 s4, s3, s4
	s_add_i32 s4, s4, 0x80fffff
	s_delay_alu instid0(SALU_CYCLE_1)
	s_lshr_b32 s5, s4, 21
	s_mov_b32 s4, 0
	s_branch .LBB174_364
.LBB174_362:
	s_mov_b32 s4, -1
                                        ; implicit-def: $vgpr5
	s_branch .LBB174_367
.LBB174_363:
	s_mov_b32 s4, -1
                                        ; implicit-def: $sgpr5
.LBB174_364:
	v_mov_b32_e32 v5, s5
	s_and_not1_b32 vcc_lo, exec_lo, s4
	s_cbranch_vccnz .LBB174_366
; %bb.365:
	v_add_f32_e32 v5, 0x43000000, v4
.LBB174_366:
	s_mov_b32 s4, 0
.LBB174_367:
	s_delay_alu instid0(SALU_CYCLE_1)
	s_and_not1_b32 vcc_lo, exec_lo, s4
	s_cbranch_vccnz .LBB174_369
; %bb.368:
	s_cmp_gt_u32 s3, 0x7f800000
	s_movk_i32 s3, 0x7f
	s_delay_alu instid0(SALU_CYCLE_1) | instskip(NEXT) | instid1(SALU_CYCLE_1)
	s_cselect_b32 s3, s3, 0x7c
	v_mov_b32_e32 v5, s3
.LBB174_369:
	global_store_b8 v[0:1], v5, off
.LBB174_370:
	s_mov_b32 s3, 0
	s_mov_b32 s5, -1
.LBB174_371:
	s_and_not1_b32 vcc_lo, exec_lo, s3
	s_mov_b32 s4, 0
	s_cbranch_vccnz .LBB174_378
; %bb.372:
	v_cmp_lt_i16_e32 vcc_lo, 14, v2
	s_mov_b32 s3, -1
	s_cbranch_vccz .LBB174_376
; %bb.373:
	v_cmp_eq_u16_e32 vcc_lo, 15, v2
	s_mov_b32 s0, -1
	s_cbranch_vccz .LBB174_375
; %bb.374:
	s_clz_i32_u32 s0, s11
	s_delay_alu instid0(SALU_CYCLE_1) | instskip(NEXT) | instid1(SALU_CYCLE_1)
	s_min_u32 s0, s0, 32
	s_lshl_b64 s[4:5], s[10:11], s0
	s_sub_i32 s0, 32, s0
	s_min_u32 s3, s4, 1
	s_delay_alu instid0(SALU_CYCLE_1) | instskip(SKIP_2) | instid1(VALU_DEP_1)
	s_or_b32 s3, s5, s3
	s_mov_b32 s5, -1
	v_cvt_f32_u32_e32 v4, s3
	v_ldexp_f32 v4, v4, s0
	s_mov_b32 s0, 0
	s_delay_alu instid0(VALU_DEP_1) | instskip(NEXT) | instid1(VALU_DEP_1)
	v_bfe_u32 v5, v4, 16, 1
	v_add_nc_u32_e32 v4, v4, v5
	s_delay_alu instid0(VALU_DEP_1)
	v_add_nc_u32_e32 v4, 0x7fff, v4
	global_store_d16_hi_b16 v[0:1], v4, off
.LBB174_375:
	s_mov_b32 s3, 0
.LBB174_376:
	s_delay_alu instid0(SALU_CYCLE_1)
	s_and_b32 vcc_lo, exec_lo, s3
	s_mov_b32 s4, 0
	s_cbranch_vccz .LBB174_378
; %bb.377:
	v_cmp_ne_u16_e64 s0, 11, v2
	s_mov_b32 s4, -1
.LBB174_378:
	s_delay_alu instid0(VALU_DEP_1)
	s_and_b32 vcc_lo, exec_lo, s0
	s_mov_b32 s3, s1
	s_cbranch_vccnz .LBB174_450
; %bb.379:
	s_and_not1_b32 vcc_lo, exec_lo, s4
	s_cbranch_vccnz .LBB174_381
.LBB174_380:
	s_cmp_lg_u64 s[10:11], 0
	s_mov_b32 s5, -1
	s_cselect_b32 s0, -1, 0
	s_delay_alu instid0(SALU_CYCLE_1)
	v_cndmask_b32_e64 v4, 0, 1, s0
	global_store_b8 v[0:1], v4, off
.LBB174_381:
.LBB174_382:
	s_and_not1_b32 vcc_lo, exec_lo, s5
	s_cbranch_vccnz .LBB174_683
.LBB174_383:
	s_lshl_b32 s4, s14, 7
	v_cmp_gt_i16_e32 vcc_lo, 11, v2
	v_add_nc_u32_e32 v3, s4, v3
	s_delay_alu instid0(VALU_DEP_1) | instskip(SKIP_1) | instid1(VALU_DEP_1)
	v_ashrrev_i32_e32 v1, 31, v3
	v_add_co_u32 v0, s0, s12, v3
	v_add_co_ci_u32_e64 v1, s0, s13, v1, s0
	s_cbranch_vccnz .LBB174_411
; %bb.384:
	v_cmp_lt_i16_e32 vcc_lo, 25, v2
	s_mov_b32 s7, -1
	s_mov_b32 s5, 0
	s_mov_b32 s6, 0
	;; [unrolled: 1-line block ×3, first 2 shown]
	s_cbranch_vccz .LBB174_462
; %bb.385:
	v_cmp_lt_i16_e32 vcc_lo, 28, v2
	s_cbranch_vccz .LBB174_400
; %bb.386:
	v_cmp_lt_i16_e32 vcc_lo, 43, v2
	;; [unrolled: 3-line block ×3, first 2 shown]
	s_cbranch_vccz .LBB174_390
; %bb.388:
	v_cmp_eq_u16_e32 vcc_lo, 46, v2
	s_mov_b32 s0, -1
	s_mov_b32 s7, 0
	s_cbranch_vccz .LBB174_390
; %bb.389:
	s_clz_i32_u32 s0, s11
	s_delay_alu instid0(SALU_CYCLE_1) | instskip(NEXT) | instid1(SALU_CYCLE_1)
	s_min_u32 s0, s0, 32
	s_lshl_b64 s[8:9], s[10:11], s0
	s_sub_i32 s0, 32, s0
	s_min_u32 s6, s8, 1
	s_delay_alu instid0(SALU_CYCLE_1) | instskip(NEXT) | instid1(SALU_CYCLE_1)
	s_or_b32 s6, s9, s6
	v_cvt_f32_u32_e32 v4, s6
	s_mov_b32 s6, -1
	s_delay_alu instid0(VALU_DEP_1) | instskip(SKIP_1) | instid1(VALU_DEP_1)
	v_ldexp_f32 v4, v4, s0
	s_mov_b32 s0, 0
	v_bfe_u32 v5, v4, 16, 1
	s_delay_alu instid0(VALU_DEP_1) | instskip(NEXT) | instid1(VALU_DEP_1)
	v_add_nc_u32_e32 v4, v4, v5
	v_add_nc_u32_e32 v4, 0x7fff, v4
	s_delay_alu instid0(VALU_DEP_1)
	v_lshrrev_b32_e32 v4, 16, v4
	global_store_b32 v[0:1], v4, off
.LBB174_390:
	s_and_b32 vcc_lo, exec_lo, s7
	s_cbranch_vccz .LBB174_395
; %bb.391:
	v_cmp_eq_u16_e32 vcc_lo, 44, v2
	s_mov_b32 s0, -1
	s_cbranch_vccz .LBB174_395
; %bb.392:
	s_clz_i32_u32 s0, s11
	s_delay_alu instid0(SALU_CYCLE_1) | instskip(NEXT) | instid1(SALU_CYCLE_1)
	s_min_u32 s0, s0, 32
	s_lshl_b64 s[6:7], s[10:11], s0
	s_sub_i32 s0, 32, s0
	s_min_u32 s6, s6, 1
	s_delay_alu instid0(SALU_CYCLE_1) | instskip(NEXT) | instid1(SALU_CYCLE_1)
	s_or_b32 s6, s7, s6
	v_cvt_f32_u32_e32 v4, s6
	s_delay_alu instid0(VALU_DEP_1) | instskip(NEXT) | instid1(VALU_DEP_1)
	v_ldexp_f32 v4, v4, s0
	v_readfirstlane_b32 s6, v4
	v_mov_b32_e32 v4, 0xff
	s_delay_alu instid0(VALU_DEP_2) | instskip(NEXT) | instid1(SALU_CYCLE_1)
	s_lshr_b32 s0, s6, 23
	s_cmpk_eq_i32 s0, 0xff
	s_cbranch_scc1 .LBB174_394
; %bb.393:
	s_bitcmp1_b32 s6, 22
	s_cselect_b32 s7, -1, 0
	s_and_b32 s6, s6, 0x3fffff
	s_delay_alu instid0(SALU_CYCLE_1) | instskip(NEXT) | instid1(SALU_CYCLE_1)
	s_or_b32 s6, s0, s6
	s_cmp_lg_u32 s6, 0
	s_cselect_b32 s6, -1, 0
	s_delay_alu instid0(SALU_CYCLE_1) | instskip(NEXT) | instid1(SALU_CYCLE_1)
	s_and_b32 s6, s7, s6
	v_cndmask_b32_e64 v4, 0, 1, s6
	s_delay_alu instid0(VALU_DEP_1)
	v_add_nc_u32_e32 v4, s0, v4
.LBB174_394:
	s_mov_b32 s0, 0
	s_mov_b32 s6, -1
	global_store_b8 v[0:1], v4, off
.LBB174_395:
	s_mov_b32 s7, 0
.LBB174_396:
	s_delay_alu instid0(SALU_CYCLE_1)
	s_and_b32 vcc_lo, exec_lo, s7
	s_cbranch_vccz .LBB174_399
; %bb.397:
	v_cmp_eq_u16_e32 vcc_lo, 29, v2
	s_mov_b32 s0, -1
	s_cbranch_vccz .LBB174_399
; %bb.398:
	v_dual_mov_b32 v4, s10 :: v_dual_mov_b32 v5, s11
	s_mov_b32 s0, 0
	s_mov_b32 s6, -1
	global_store_b64 v[0:1], v[4:5], off
.LBB174_399:
	s_mov_b32 s7, 0
.LBB174_400:
	s_delay_alu instid0(SALU_CYCLE_1)
	s_and_b32 vcc_lo, exec_lo, s7
	s_cbranch_vccz .LBB174_461
; %bb.401:
	v_cmp_gt_i16_e32 vcc_lo, 27, v2
	s_mov_b32 s6, -1
	s_cbranch_vccnz .LBB174_407
; %bb.402:
	v_cmp_lt_i16_e32 vcc_lo, 27, v2
	s_cbranch_vccz .LBB174_404
; %bb.403:
	v_mov_b32_e32 v4, s10
	s_mov_b32 s6, 0
	global_store_b32 v[0:1], v4, off
.LBB174_404:
	s_and_not1_b32 vcc_lo, exec_lo, s6
	s_cbranch_vccnz .LBB174_406
; %bb.405:
	v_mov_b32_e32 v4, s10
	global_store_b16 v[0:1], v4, off
.LBB174_406:
	s_mov_b32 s6, 0
.LBB174_407:
	s_delay_alu instid0(SALU_CYCLE_1)
	s_and_not1_b32 vcc_lo, exec_lo, s6
	s_cbranch_vccnz .LBB174_460
; %bb.408:
	s_clz_i32_u32 s6, s11
	v_mov_b32_e32 v6, 0x80
	s_min_u32 s8, s6, 32
	s_delay_alu instid0(SALU_CYCLE_1) | instskip(NEXT) | instid1(SALU_CYCLE_1)
	s_lshl_b64 s[6:7], s[10:11], s8
	s_min_u32 s6, s6, 1
	s_delay_alu instid0(SALU_CYCLE_1) | instskip(NEXT) | instid1(SALU_CYCLE_1)
	s_or_b32 s6, s7, s6
	v_cvt_f32_u32_e32 v4, s6
	s_sub_i32 s6, 32, s8
	s_delay_alu instid0(VALU_DEP_1) | instid1(SALU_CYCLE_1)
	v_ldexp_f32 v4, v4, s6
	s_delay_alu instid0(VALU_DEP_1)
	v_cmp_lt_u32_e32 vcc_lo, 0x437fffff, v4
	v_readfirstlane_b32 s6, v4
	s_cbranch_vccnz .LBB174_459
; %bb.409:
	s_delay_alu instid0(VALU_DEP_1)
	s_cmp_gt_u32 s6, 0x3bffffff
	s_cbranch_scc0 .LBB174_454
; %bb.410:
	s_bfe_u32 s7, s6, 0x10014
	s_delay_alu instid0(SALU_CYCLE_1) | instskip(SKIP_2) | instid1(SALU_CYCLE_1)
	s_add_i32 s6, s6, s7
	s_mov_b32 s7, 0
	s_add_i32 s6, s6, 0x487ffff
	s_lshr_b32 s8, s6, 20
	s_mov_b32 s6, -1
	s_branch .LBB174_455
.LBB174_411:
	s_mov_b32 s6, 0
	s_cbranch_execz .LBB174_615
; %bb.412:
	v_cmp_gt_i16_e32 vcc_lo, 5, v2
	s_mov_b32 s0, -1
	s_cbranch_vccnz .LBB174_433
; %bb.413:
	v_cmp_gt_i16_e32 vcc_lo, 8, v2
	s_cbranch_vccnz .LBB174_423
; %bb.414:
	v_cmp_gt_i16_e32 vcc_lo, 9, v2
	s_cbranch_vccnz .LBB174_420
; %bb.415:
	v_cmp_lt_i16_e32 vcc_lo, 9, v2
	s_cbranch_vccz .LBB174_417
; %bb.416:
	v_cvt_f64_u32_e32 v[4:5], s11
	v_cvt_f64_u32_e32 v[6:7], s10
	s_mov_b32 s0, 0
	s_delay_alu instid0(VALU_DEP_2) | instskip(NEXT) | instid1(VALU_DEP_1)
	v_ldexp_f64 v[4:5], v[4:5], 32
	v_add_f64 v[4:5], v[4:5], v[6:7]
	v_mov_b32_e32 v6, 0
	s_delay_alu instid0(VALU_DEP_1)
	v_mov_b32_e32 v7, v6
	global_store_b128 v[0:1], v[4:7], off
.LBB174_417:
	s_and_not1_b32 vcc_lo, exec_lo, s0
	s_cbranch_vccnz .LBB174_419
; %bb.418:
	s_clz_i32_u32 s0, s11
	v_mov_b32_e32 v5, 0
	s_min_u32 s0, s0, 32
	s_delay_alu instid0(SALU_CYCLE_1) | instskip(SKIP_2) | instid1(SALU_CYCLE_1)
	s_lshl_b64 s[6:7], s[10:11], s0
	s_sub_i32 s0, 32, s0
	s_min_u32 s5, s6, 1
	s_or_b32 s5, s7, s5
	s_delay_alu instid0(SALU_CYCLE_1) | instskip(NEXT) | instid1(VALU_DEP_1)
	v_cvt_f32_u32_e32 v4, s5
	v_ldexp_f32 v4, v4, s0
	global_store_b64 v[0:1], v[4:5], off
.LBB174_419:
	s_mov_b32 s0, 0
.LBB174_420:
	s_delay_alu instid0(SALU_CYCLE_1)
	s_and_not1_b32 vcc_lo, exec_lo, s0
	s_cbranch_vccnz .LBB174_422
; %bb.421:
	s_clz_i32_u32 s0, s11
	s_delay_alu instid0(SALU_CYCLE_1) | instskip(NEXT) | instid1(SALU_CYCLE_1)
	s_min_u32 s0, s0, 32
	s_lshl_b64 s[6:7], s[10:11], s0
	s_sub_i32 s0, 32, s0
	s_min_u32 s5, s6, 1
	s_delay_alu instid0(SALU_CYCLE_1) | instskip(NEXT) | instid1(SALU_CYCLE_1)
	s_or_b32 s5, s7, s5
	v_cvt_f32_u32_e32 v4, s5
	s_delay_alu instid0(VALU_DEP_1) | instskip(NEXT) | instid1(VALU_DEP_1)
	v_ldexp_f32 v4, v4, s0
	v_cvt_f16_f32_e32 v4, v4
	s_delay_alu instid0(VALU_DEP_1)
	v_and_b32_e32 v4, 0xffff, v4
	global_store_b32 v[0:1], v4, off
.LBB174_422:
	s_mov_b32 s0, 0
.LBB174_423:
	s_delay_alu instid0(SALU_CYCLE_1)
	s_and_not1_b32 vcc_lo, exec_lo, s0
	s_cbranch_vccnz .LBB174_432
; %bb.424:
	v_cmp_gt_i16_e32 vcc_lo, 6, v2
	s_mov_b32 s0, -1
	s_cbranch_vccnz .LBB174_430
; %bb.425:
	v_cmp_lt_i16_e32 vcc_lo, 6, v2
	s_cbranch_vccz .LBB174_427
; %bb.426:
	v_cvt_f64_u32_e32 v[4:5], s11
	v_cvt_f64_u32_e32 v[6:7], s10
	s_mov_b32 s0, 0
	s_delay_alu instid0(VALU_DEP_2) | instskip(NEXT) | instid1(VALU_DEP_1)
	v_ldexp_f64 v[4:5], v[4:5], 32
	v_add_f64 v[4:5], v[4:5], v[6:7]
	global_store_b64 v[0:1], v[4:5], off
.LBB174_427:
	s_and_not1_b32 vcc_lo, exec_lo, s0
	s_cbranch_vccnz .LBB174_429
; %bb.428:
	s_clz_i32_u32 s0, s11
	s_delay_alu instid0(SALU_CYCLE_1) | instskip(NEXT) | instid1(SALU_CYCLE_1)
	s_min_u32 s0, s0, 32
	s_lshl_b64 s[6:7], s[10:11], s0
	s_sub_i32 s0, 32, s0
	s_min_u32 s5, s6, 1
	s_delay_alu instid0(SALU_CYCLE_1) | instskip(NEXT) | instid1(SALU_CYCLE_1)
	s_or_b32 s5, s7, s5
	v_cvt_f32_u32_e32 v4, s5
	s_delay_alu instid0(VALU_DEP_1)
	v_ldexp_f32 v4, v4, s0
	global_store_b32 v[0:1], v4, off
.LBB174_429:
	s_mov_b32 s0, 0
.LBB174_430:
	s_delay_alu instid0(SALU_CYCLE_1)
	s_and_not1_b32 vcc_lo, exec_lo, s0
	s_cbranch_vccnz .LBB174_432
; %bb.431:
	s_clz_i32_u32 s0, s11
	s_delay_alu instid0(SALU_CYCLE_1) | instskip(NEXT) | instid1(SALU_CYCLE_1)
	s_min_u32 s0, s0, 32
	s_lshl_b64 s[6:7], s[10:11], s0
	s_sub_i32 s0, 32, s0
	s_min_u32 s5, s6, 1
	s_delay_alu instid0(SALU_CYCLE_1) | instskip(NEXT) | instid1(SALU_CYCLE_1)
	s_or_b32 s5, s7, s5
	v_cvt_f32_u32_e32 v4, s5
	s_delay_alu instid0(VALU_DEP_1) | instskip(NEXT) | instid1(VALU_DEP_1)
	v_ldexp_f32 v4, v4, s0
	v_cvt_f16_f32_e32 v4, v4
	global_store_b16 v[0:1], v4, off
.LBB174_432:
	s_mov_b32 s0, 0
.LBB174_433:
	s_delay_alu instid0(SALU_CYCLE_1)
	s_and_not1_b32 vcc_lo, exec_lo, s0
	s_cbranch_vccnz .LBB174_449
; %bb.434:
	v_cmp_gt_i16_e32 vcc_lo, 2, v2
	s_mov_b32 s0, -1
	s_cbranch_vccnz .LBB174_444
; %bb.435:
	v_cmp_gt_i16_e32 vcc_lo, 3, v2
	s_cbranch_vccnz .LBB174_441
; %bb.436:
	v_cmp_lt_i16_e32 vcc_lo, 3, v2
	s_cbranch_vccz .LBB174_438
; %bb.437:
	v_dual_mov_b32 v4, s10 :: v_dual_mov_b32 v5, s11
	s_mov_b32 s0, 0
	global_store_b64 v[0:1], v[4:5], off
.LBB174_438:
	s_and_not1_b32 vcc_lo, exec_lo, s0
	s_cbranch_vccnz .LBB174_440
; %bb.439:
	v_mov_b32_e32 v4, s10
	global_store_b32 v[0:1], v4, off
.LBB174_440:
	s_mov_b32 s0, 0
.LBB174_441:
	s_delay_alu instid0(SALU_CYCLE_1)
	s_and_not1_b32 vcc_lo, exec_lo, s0
	s_cbranch_vccnz .LBB174_443
; %bb.442:
	v_mov_b32_e32 v4, s10
	global_store_b16 v[0:1], v4, off
.LBB174_443:
	s_mov_b32 s0, 0
.LBB174_444:
	s_delay_alu instid0(SALU_CYCLE_1)
	s_and_not1_b32 vcc_lo, exec_lo, s0
	s_cbranch_vccnz .LBB174_449
; %bb.445:
	v_cmp_lt_i16_e32 vcc_lo, 0, v2
	s_mov_b32 s0, -1
	s_cbranch_vccz .LBB174_447
; %bb.446:
	v_mov_b32_e32 v4, s10
	s_mov_b32 s0, 0
	global_store_b8 v[0:1], v4, off
.LBB174_447:
	s_and_not1_b32 vcc_lo, exec_lo, s0
	s_cbranch_vccnz .LBB174_449
; %bb.448:
	v_mov_b32_e32 v4, s10
	global_store_b8 v[0:1], v4, off
.LBB174_449:
	s_branch .LBB174_616
.LBB174_450:
	s_cbranch_execnz .LBB174_452
; %bb.451:
	s_or_b32 s3, s1, exec_lo
	s_cbranch_execz .LBB174_380
	s_branch .LBB174_381
.LBB174_452:
	s_trap 2
	s_sendmsg_rtn_b32 s0, sendmsg(MSG_RTN_GET_DOORBELL)
	s_mov_b32 ttmp2, m0
	s_waitcnt lgkmcnt(0)
	s_and_b32 s0, s0, 0x3ff
	s_delay_alu instid0(SALU_CYCLE_1) | instskip(NEXT) | instid1(SALU_CYCLE_1)
	s_bitset1_b32 s0, 10
	s_mov_b32 m0, s0
	s_sendmsg sendmsg(MSG_INTERRUPT)
	s_mov_b32 m0, ttmp2
.LBB174_453:                            ; =>This Inner Loop Header: Depth=1
	s_sethalt 5
	s_branch .LBB174_453
.LBB174_454:
	s_mov_b32 s7, -1
	s_mov_b32 s6, 0
                                        ; implicit-def: $sgpr8
.LBB174_455:
	v_mov_b32_e32 v5, s8
	s_and_not1_b32 vcc_lo, exec_lo, s7
                                        ; implicit-def: $sgpr7
	s_cbranch_vccnz .LBB174_457
; %bb.456:
	v_add_f32_e32 v4, 0x46000000, v4
	s_mov_b32 s7, 0
	s_delay_alu instid0(VALU_DEP_1) | instskip(NEXT) | instid1(VALU_DEP_1)
	v_and_b32_e32 v5, 0xff, v4
	v_cmp_ne_u32_e64 s6, 0, v5
.LBB174_457:
	v_mov_b32_e32 v6, s7
	s_delay_alu instid0(VALU_DEP_2)
	s_and_not1_b32 vcc_lo, exec_lo, s6
	s_cbranch_vccnz .LBB174_459
; %bb.458:
	v_mov_b32_e32 v6, v5
.LBB174_459:
	global_store_b8 v[0:1], v6, off
.LBB174_460:
	s_mov_b32 s6, -1
.LBB174_461:
	s_mov_b32 s7, 0
.LBB174_462:
	s_delay_alu instid0(SALU_CYCLE_1)
	s_and_b32 vcc_lo, exec_lo, s7
	s_cbranch_vccz .LBB174_611
; %bb.463:
	v_cmp_lt_i16_e32 vcc_lo, 22, v2
	s_mov_b32 s5, -1
	s_cbranch_vccz .LBB174_604
; %bb.464:
	v_cmp_gt_i16_e32 vcc_lo, 24, v2
	s_cbranch_vccnz .LBB174_591
; %bb.465:
	v_cmp_lt_i16_e32 vcc_lo, 24, v2
	s_cbranch_vccz .LBB174_578
; %bb.466:
	s_clz_i32_u32 s5, s11
	v_mov_b32_e32 v6, 0x80
	s_min_u32 s5, s5, 32
	s_delay_alu instid0(SALU_CYCLE_1) | instskip(SKIP_2) | instid1(SALU_CYCLE_1)
	s_lshl_b64 s[6:7], s[10:11], s5
	s_sub_i32 s5, 32, s5
	s_min_u32 s6, s6, 1
	s_or_b32 s6, s7, s6
	s_delay_alu instid0(SALU_CYCLE_1) | instskip(NEXT) | instid1(VALU_DEP_1)
	v_cvt_f32_u32_e32 v4, s6
	v_ldexp_f32 v4, v4, s5
	s_delay_alu instid0(VALU_DEP_1)
	v_cmp_lt_u32_e32 vcc_lo, 0x477fffff, v4
	v_readfirstlane_b32 s5, v4
	s_cbranch_vccnz .LBB174_577
; %bb.467:
	s_delay_alu instid0(VALU_DEP_1)
	s_cmp_gt_u32 s5, 0x37ffffff
	s_cbranch_scc0 .LBB174_572
; %bb.468:
	s_bfe_u32 s6, s5, 0x10015
	s_delay_alu instid0(SALU_CYCLE_1) | instskip(SKIP_2) | instid1(SALU_CYCLE_1)
	s_add_i32 s5, s5, s6
	s_mov_b32 s6, 0
	s_add_i32 s5, s5, 0x88fffff
	s_lshr_b32 s7, s5, 21
	s_mov_b32 s5, -1
	s_branch .LBB174_573
.LBB174_469:
	s_mov_b32 s27, -1
	s_mov_b32 s26, 0
	s_mov_b32 s9, s23
.LBB174_470:
	s_and_b32 vcc_lo, exec_lo, s27
	s_cbranch_vccz .LBB174_473
; %bb.471:
	v_cmp_eq_u16_e32 vcc_lo, 44, v24
	s_mov_b32 s9, -1
	s_cbranch_vccz .LBB174_473
; %bb.472:
	v_cndmask_b32_e64 v2, v23, 0xff, s8
	s_mov_b32 s26, -1
	s_mov_b32 s9, 0
	global_store_b8 v[6:7], v2, off
.LBB174_473:
	s_mov_b32 s27, 0
.LBB174_474:
	s_delay_alu instid0(SALU_CYCLE_1)
	s_and_b32 vcc_lo, exec_lo, s27
	s_cbranch_vccz .LBB174_477
; %bb.475:
	v_cmp_eq_u16_e32 vcc_lo, 29, v24
	s_mov_b32 s9, -1
	s_cbranch_vccz .LBB174_477
; %bb.476:
	v_dual_mov_b32 v2, s10 :: v_dual_mov_b32 v3, s11
	s_mov_b32 s26, -1
	s_mov_b32 s9, 0
	s_mov_b32 s27, 0
	global_store_b64 v[6:7], v[2:3], off
	s_branch .LBB174_478
.LBB174_477:
	s_mov_b32 s27, 0
.LBB174_478:
	s_delay_alu instid0(SALU_CYCLE_1)
	s_and_b32 vcc_lo, exec_lo, s27
	s_cbranch_vccz .LBB174_491
; %bb.479:
	v_cmp_gt_i16_e32 vcc_lo, 27, v24
	s_mov_b32 s26, -1
	s_cbranch_vccnz .LBB174_485
; %bb.480:
	v_cmp_lt_i16_e32 vcc_lo, 27, v24
	s_cbranch_vccz .LBB174_482
; %bb.481:
	v_mov_b32_e32 v2, s10
	s_mov_b32 s26, 0
	global_store_b32 v[6:7], v2, off
.LBB174_482:
	s_and_not1_b32 vcc_lo, exec_lo, s26
	s_cbranch_vccnz .LBB174_484
; %bb.483:
	v_mov_b32_e32 v2, s10
	global_store_b16 v[6:7], v2, off
.LBB174_484:
	s_mov_b32 s26, 0
.LBB174_485:
	s_delay_alu instid0(SALU_CYCLE_1)
	s_and_not1_b32 vcc_lo, exec_lo, s26
	s_cbranch_vccnz .LBB174_490
; %bb.486:
	v_mov_b32_e32 v2, 0x80
	s_and_not1_b32 vcc_lo, exec_lo, s7
	s_cbranch_vccnz .LBB174_489
; %bb.487:
	v_mov_b32_e32 v2, 0
	s_or_b32 s26, s6, s19
	s_delay_alu instid0(SALU_CYCLE_1)
	s_and_not1_b32 vcc_lo, exec_lo, s26
	s_cbranch_vccnz .LBB174_489
; %bb.488:
	v_cndmask_b32_e64 v2, v20, v21, s6
.LBB174_489:
	global_store_b8 v[6:7], v2, off
.LBB174_490:
	s_mov_b32 s26, -1
.LBB174_491:
	s_mov_b32 s27, 0
.LBB174_492:
	s_delay_alu instid0(SALU_CYCLE_1)
	s_and_b32 vcc_lo, exec_lo, s27
	s_cbranch_vccz .LBB174_514
; %bb.493:
	v_cmp_lt_i16_e32 vcc_lo, 22, v24
	s_mov_b32 s27, -1
	s_cbranch_vccz .LBB174_506
; %bb.494:
	v_cmp_gt_i16_e32 vcc_lo, 24, v24
	s_mov_b32 s26, -1
	s_cbranch_vccnz .LBB174_503
; %bb.495:
	v_cmp_lt_i16_e32 vcc_lo, 24, v24
	s_cbranch_vccz .LBB174_500
; %bb.496:
	v_mov_b32_e32 v2, 0x80
	s_and_not1_b32 vcc_lo, exec_lo, s5
	s_cbranch_vccnz .LBB174_499
; %bb.497:
	v_mov_b32_e32 v2, 0
	s_or_b32 s26, s4, s18
	s_delay_alu instid0(SALU_CYCLE_1)
	s_and_not1_b32 vcc_lo, exec_lo, s26
	s_cbranch_vccnz .LBB174_499
; %bb.498:
	v_cndmask_b32_e64 v2, v15, v19, s4
.LBB174_499:
	s_mov_b32 s26, 0
	global_store_b8 v[6:7], v2, off
.LBB174_500:
	s_and_b32 vcc_lo, exec_lo, s26
	s_cbranch_vccz .LBB174_502
; %bb.501:
	v_cndmask_b32_e64 v2, v16, v17, s3
	s_delay_alu instid0(VALU_DEP_1)
	v_cndmask_b32_e64 v2, v2, v18, s2
	global_store_b8 v[6:7], v2, off
.LBB174_502:
	s_mov_b32 s26, 0
.LBB174_503:
	s_delay_alu instid0(SALU_CYCLE_1)
	s_and_not1_b32 vcc_lo, exec_lo, s26
	s_cbranch_vccnz .LBB174_505
; %bb.504:
	v_cndmask_b32_e64 v2, v12, v13, s1
	s_delay_alu instid0(VALU_DEP_1)
	v_cndmask_b32_e64 v2, v2, v14, s0
	global_store_b8 v[6:7], v2, off
.LBB174_505:
	s_mov_b32 s27, 0
	s_mov_b32 s26, -1
.LBB174_506:
	s_and_not1_b32 vcc_lo, exec_lo, s27
	s_cbranch_vccnz .LBB174_514
; %bb.507:
	v_cmp_lt_i16_e32 vcc_lo, 14, v24
	s_mov_b32 s27, -1
	s_cbranch_vccz .LBB174_511
; %bb.508:
	v_cmp_eq_u16_e32 vcc_lo, 15, v24
	s_mov_b32 s9, -1
	s_cbranch_vccz .LBB174_510
; %bb.509:
	s_mov_b32 s26, -1
	s_mov_b32 s9, 0
	global_store_b16 v[6:7], v11, off
.LBB174_510:
	s_mov_b32 s27, 0
.LBB174_511:
	s_delay_alu instid0(SALU_CYCLE_1)
	s_and_b32 vcc_lo, exec_lo, s27
	s_cbranch_vccz .LBB174_514
; %bb.512:
	v_cmp_eq_u16_e32 vcc_lo, 11, v24
	s_mov_b32 s9, -1
	s_cbranch_vccz .LBB174_514
; %bb.513:
	s_mov_b32 s26, -1
	s_mov_b32 s9, 0
	global_store_b8 v[6:7], v10, off
.LBB174_514:
	s_mov_b32 s27, 0
.LBB174_515:
	s_delay_alu instid0(SALU_CYCLE_1)
	s_and_b32 vcc_lo, exec_lo, s27
	s_cbranch_vccz .LBB174_554
; %bb.516:
	v_cmp_gt_i16_e32 vcc_lo, 5, v24
	s_mov_b32 s26, -1
	s_cbranch_vccnz .LBB174_537
; %bb.517:
	v_cmp_gt_i16_e32 vcc_lo, 8, v24
	s_cbranch_vccnz .LBB174_527
; %bb.518:
	v_cmp_gt_i16_e32 vcc_lo, 9, v24
	s_cbranch_vccnz .LBB174_524
; %bb.519:
	v_cmp_lt_i16_e32 vcc_lo, 9, v24
	s_cbranch_vccz .LBB174_521
; %bb.520:
	v_mov_b32_e32 v2, 0
	s_mov_b32 s26, 0
	s_delay_alu instid0(VALU_DEP_1)
	v_mov_b32_e32 v3, v2
	global_store_b128 v[6:7], v[0:3], off
.LBB174_521:
	s_and_not1_b32 vcc_lo, exec_lo, s26
	s_cbranch_vccnz .LBB174_523
; %bb.522:
	v_mov_b32_e32 v5, 0
	global_store_b64 v[6:7], v[4:5], off
.LBB174_523:
	s_mov_b32 s26, 0
.LBB174_524:
	s_delay_alu instid0(SALU_CYCLE_1)
	s_and_not1_b32 vcc_lo, exec_lo, s26
	s_cbranch_vccnz .LBB174_526
; %bb.525:
	global_store_b32 v[6:7], v9, off
.LBB174_526:
	s_mov_b32 s26, 0
.LBB174_527:
	s_delay_alu instid0(SALU_CYCLE_1)
	s_and_not1_b32 vcc_lo, exec_lo, s26
	s_cbranch_vccnz .LBB174_536
; %bb.528:
	v_cmp_gt_i16_e32 vcc_lo, 6, v24
	s_mov_b32 s26, -1
	s_cbranch_vccnz .LBB174_534
; %bb.529:
	v_cmp_lt_i16_e32 vcc_lo, 6, v24
	s_cbranch_vccz .LBB174_531
; %bb.530:
	s_mov_b32 s26, 0
	global_store_b64 v[6:7], v[0:1], off
.LBB174_531:
	s_and_not1_b32 vcc_lo, exec_lo, s26
	s_cbranch_vccnz .LBB174_533
; %bb.532:
	global_store_b32 v[6:7], v4, off
.LBB174_533:
	s_mov_b32 s26, 0
.LBB174_534:
	s_delay_alu instid0(SALU_CYCLE_1)
	s_and_not1_b32 vcc_lo, exec_lo, s26
	s_cbranch_vccnz .LBB174_536
; %bb.535:
	global_store_b16 v[6:7], v8, off
.LBB174_536:
	s_mov_b32 s26, 0
.LBB174_537:
	s_delay_alu instid0(SALU_CYCLE_1)
	s_and_not1_b32 vcc_lo, exec_lo, s26
	s_cbranch_vccnz .LBB174_553
; %bb.538:
	v_cmp_gt_i16_e32 vcc_lo, 2, v24
	s_mov_b32 s26, -1
	s_cbranch_vccnz .LBB174_548
; %bb.539:
	v_cmp_gt_i16_e32 vcc_lo, 3, v24
	s_cbranch_vccnz .LBB174_545
; %bb.540:
	v_cmp_lt_i16_e32 vcc_lo, 3, v24
	s_cbranch_vccz .LBB174_542
; %bb.541:
	v_dual_mov_b32 v2, s10 :: v_dual_mov_b32 v3, s11
	s_mov_b32 s26, 0
	global_store_b64 v[6:7], v[2:3], off
.LBB174_542:
	s_and_not1_b32 vcc_lo, exec_lo, s26
	s_cbranch_vccnz .LBB174_544
; %bb.543:
	v_mov_b32_e32 v2, s10
	global_store_b32 v[6:7], v2, off
.LBB174_544:
	s_mov_b32 s26, 0
.LBB174_545:
	s_delay_alu instid0(SALU_CYCLE_1)
	s_and_not1_b32 vcc_lo, exec_lo, s26
	s_cbranch_vccnz .LBB174_547
; %bb.546:
	v_mov_b32_e32 v2, s10
	global_store_b16 v[6:7], v2, off
.LBB174_547:
	s_mov_b32 s26, 0
.LBB174_548:
	s_delay_alu instid0(SALU_CYCLE_1)
	s_and_not1_b32 vcc_lo, exec_lo, s26
	s_cbranch_vccnz .LBB174_553
; %bb.549:
	v_cmp_lt_i16_e32 vcc_lo, 0, v24
	s_mov_b32 s26, -1
	s_cbranch_vccz .LBB174_551
; %bb.550:
	v_mov_b32_e32 v2, s10
	s_mov_b32 s26, 0
	global_store_b8 v[6:7], v2, off
.LBB174_551:
	s_and_not1_b32 vcc_lo, exec_lo, s26
	s_cbranch_vccnz .LBB174_553
; %bb.552:
	v_mov_b32_e32 v2, s10
	global_store_b8 v[6:7], v2, off
.LBB174_553:
	s_mov_b32 s26, -1
.LBB174_554:
	s_delay_alu instid0(SALU_CYCLE_1)
	s_and_not1_b32 vcc_lo, exec_lo, s26
	s_cbranch_vccnz .LBB174_556
; %bb.555:
	v_add_nc_u32_e32 v22, 0x80, v22
	s_mov_b32 s27, -1
	s_branch .LBB174_557
.LBB174_556:
	s_mov_b32 s27, 0
                                        ; implicit-def: $vgpr22
.LBB174_557:
	s_and_not1_b32 s26, s23, exec_lo
	s_and_b32 s9, s9, exec_lo
	s_or_not1_b32 s28, s27, exec_lo
	s_or_b32 s26, s26, s9
.LBB174_558:
	s_or_b32 exec_lo, exec_lo, s25
	s_mov_b32 s9, 0
	s_mov_b32 s27, 0
                                        ; implicit-def: $vgpr24
                                        ; implicit-def: $vgpr6_vgpr7
	s_and_saveexec_b32 s25, s28
	s_cbranch_execz .LBB174_789
; %bb.559:
	v_cmp_gt_i32_e32 vcc_lo, s20, v22
	s_mov_b32 s28, s26
                                        ; implicit-def: $vgpr24
                                        ; implicit-def: $vgpr6_vgpr7
	s_and_saveexec_b32 s20, vcc_lo
	s_cbranch_execz .LBB174_788
; %bb.560:
	v_mul_lo_u32 v2, v22, s14
	v_and_b32_e64 v24, 0xff, s16
	s_delay_alu instid0(VALU_DEP_1) | instskip(NEXT) | instid1(VALU_DEP_3)
	v_cmp_gt_i16_e32 vcc_lo, 11, v24
	v_ashrrev_i32_e32 v3, 31, v2
	v_add_co_u32 v6, s9, s12, v2
	s_delay_alu instid0(VALU_DEP_1)
	v_add_co_ci_u32_e64 v7, s9, s13, v3, s9
	s_cbranch_vccnz .LBB174_571
; %bb.561:
	v_cmp_lt_i16_e32 vcc_lo, 25, v24
	s_mov_b32 s27, -1
	s_mov_b32 s9, s26
	s_cbranch_vccz .LBB174_765
; %bb.562:
	v_cmp_lt_i16_e32 vcc_lo, 28, v24
	s_mov_b32 s9, s26
	s_cbranch_vccz .LBB174_752
; %bb.563:
	v_cmp_lt_i16_e32 vcc_lo, 43, v24
	s_mov_b32 s9, s26
	s_cbranch_vccz .LBB174_748
; %bb.564:
	v_cmp_lt_i16_e32 vcc_lo, 45, v24
	s_mov_b32 s9, s26
	s_cbranch_vccz .LBB174_568
; %bb.565:
	v_cmp_eq_u16_e32 vcc_lo, 46, v24
	s_mov_b32 s9, -1
	s_cbranch_vccz .LBB174_567
; %bb.566:
	s_mov_b32 s9, 0
	global_store_b32 v[6:7], v11, off
.LBB174_567:
	s_mov_b32 s27, 0
.LBB174_568:
	s_delay_alu instid0(SALU_CYCLE_1)
	s_and_b32 vcc_lo, exec_lo, s27
	s_cbranch_vccz .LBB174_747
; %bb.569:
	v_cmp_eq_u16_e32 vcc_lo, 44, v24
	s_mov_b32 s9, -1
	s_cbranch_vccz .LBB174_747
; %bb.570:
	v_cndmask_b32_e64 v2, v23, 0xff, s8
	s_mov_b32 s9, 0
	s_mov_b32 s27, 0
	global_store_b8 v[6:7], v2, off
	s_branch .LBB174_748
.LBB174_571:
	s_mov_b32 s0, 0
	s_mov_b32 s6, -1
	s_mov_b32 s9, s26
	s_branch .LBB174_787
.LBB174_572:
	s_mov_b32 s6, -1
	s_mov_b32 s5, 0
                                        ; implicit-def: $sgpr7
.LBB174_573:
	v_mov_b32_e32 v5, s7
	s_and_not1_b32 vcc_lo, exec_lo, s6
                                        ; implicit-def: $sgpr6
	s_cbranch_vccnz .LBB174_575
; %bb.574:
	v_add_f32_e32 v4, 0x42800000, v4
	s_mov_b32 s6, 0
	s_delay_alu instid0(VALU_DEP_1) | instskip(NEXT) | instid1(VALU_DEP_1)
	v_and_b32_e32 v5, 0xff, v4
	v_cmp_ne_u32_e64 s5, 0, v5
.LBB174_575:
	v_mov_b32_e32 v6, s6
	s_delay_alu instid0(VALU_DEP_2)
	s_and_not1_b32 vcc_lo, exec_lo, s5
	s_cbranch_vccnz .LBB174_577
; %bb.576:
	v_mov_b32_e32 v6, v5
.LBB174_577:
	s_mov_b32 s5, 0
	global_store_b8 v[0:1], v6, off
.LBB174_578:
	s_and_b32 vcc_lo, exec_lo, s5
	s_cbranch_vccz .LBB174_590
; %bb.579:
	s_clz_i32_u32 s5, s11
	s_delay_alu instid0(SALU_CYCLE_1) | instskip(NEXT) | instid1(SALU_CYCLE_1)
	s_min_u32 s5, s5, 32
	s_lshl_b64 s[6:7], s[10:11], s5
	s_sub_i32 s5, 32, s5
	s_min_u32 s6, s6, 1
	s_delay_alu instid0(SALU_CYCLE_1) | instskip(NEXT) | instid1(SALU_CYCLE_1)
	s_or_b32 s6, s7, s6
	v_cvt_f32_u32_e32 v4, s6
	s_delay_alu instid0(VALU_DEP_1) | instskip(NEXT) | instid1(VALU_DEP_1)
	v_ldexp_f32 v4, v4, s5
	v_cmp_gt_u32_e32 vcc_lo, 0x43f00000, v4
	v_readfirstlane_b32 s5, v4
	s_cbranch_vccz .LBB174_582
; %bb.580:
	s_delay_alu instid0(VALU_DEP_1)
	s_cmp_gt_u32 s5, 0x3c7fffff
	s_cbranch_scc0 .LBB174_583
; %bb.581:
	s_bfe_u32 s6, s5, 0x10014
	s_delay_alu instid0(SALU_CYCLE_1) | instskip(NEXT) | instid1(SALU_CYCLE_1)
	s_add_i32 s6, s5, s6
	s_add_i32 s6, s6, 0x407ffff
	s_delay_alu instid0(SALU_CYCLE_1)
	s_and_b32 s7, s6, 0xff00000
	s_lshr_b32 s6, s6, 20
	s_cmp_lg_u32 s7, 0x7f00000
	s_cselect_b32 s7, s6, 0x7e
	s_mov_b32 s6, 0
	s_branch .LBB174_584
.LBB174_582:
	s_mov_b32 s6, -1
                                        ; implicit-def: $vgpr5
	s_branch .LBB174_587
.LBB174_583:
	s_mov_b32 s6, -1
                                        ; implicit-def: $sgpr7
.LBB174_584:
	v_mov_b32_e32 v5, s7
	s_and_not1_b32 vcc_lo, exec_lo, s6
	s_cbranch_vccnz .LBB174_586
; %bb.585:
	v_add_f32_e32 v5, 0x46800000, v4
.LBB174_586:
	s_mov_b32 s6, 0
.LBB174_587:
	s_delay_alu instid0(SALU_CYCLE_1)
	s_and_not1_b32 vcc_lo, exec_lo, s6
	s_cbranch_vccnz .LBB174_589
; %bb.588:
	s_cmp_gt_u32 s5, 0x7f800000
	s_movk_i32 s5, 0x7f
	s_delay_alu instid0(SALU_CYCLE_1) | instskip(NEXT) | instid1(SALU_CYCLE_1)
	s_cselect_b32 s5, s5, 0x7e
	v_mov_b32_e32 v5, s5
.LBB174_589:
	global_store_b8 v[0:1], v5, off
.LBB174_590:
	s_mov_b32 s5, 0
.LBB174_591:
	s_delay_alu instid0(SALU_CYCLE_1)
	s_and_not1_b32 vcc_lo, exec_lo, s5
	s_cbranch_vccnz .LBB174_603
; %bb.592:
	s_clz_i32_u32 s5, s11
	s_delay_alu instid0(SALU_CYCLE_1) | instskip(NEXT) | instid1(SALU_CYCLE_1)
	s_min_u32 s5, s5, 32
	s_lshl_b64 s[6:7], s[10:11], s5
	s_sub_i32 s5, 32, s5
	s_min_u32 s6, s6, 1
	s_delay_alu instid0(SALU_CYCLE_1) | instskip(NEXT) | instid1(SALU_CYCLE_1)
	s_or_b32 s6, s7, s6
	v_cvt_f32_u32_e32 v4, s6
	s_delay_alu instid0(VALU_DEP_1) | instskip(NEXT) | instid1(VALU_DEP_1)
	v_ldexp_f32 v4, v4, s5
	v_cmp_gt_u32_e32 vcc_lo, 0x47800000, v4
	v_readfirstlane_b32 s5, v4
	s_cbranch_vccz .LBB174_595
; %bb.593:
	s_delay_alu instid0(VALU_DEP_1)
	s_cmp_gt_u32 s5, 0x387fffff
	s_cbranch_scc0 .LBB174_596
; %bb.594:
	s_bfe_u32 s6, s5, 0x10015
	s_delay_alu instid0(SALU_CYCLE_1) | instskip(NEXT) | instid1(SALU_CYCLE_1)
	s_add_i32 s6, s5, s6
	s_add_i32 s6, s6, 0x80fffff
	s_delay_alu instid0(SALU_CYCLE_1)
	s_lshr_b32 s7, s6, 21
	s_mov_b32 s6, 0
	s_branch .LBB174_597
.LBB174_595:
	s_mov_b32 s6, -1
                                        ; implicit-def: $vgpr5
	s_branch .LBB174_600
.LBB174_596:
	s_mov_b32 s6, -1
                                        ; implicit-def: $sgpr7
.LBB174_597:
	v_mov_b32_e32 v5, s7
	s_and_not1_b32 vcc_lo, exec_lo, s6
	s_cbranch_vccnz .LBB174_599
; %bb.598:
	v_add_f32_e32 v5, 0x43000000, v4
.LBB174_599:
	s_mov_b32 s6, 0
.LBB174_600:
	s_delay_alu instid0(SALU_CYCLE_1)
	s_and_not1_b32 vcc_lo, exec_lo, s6
	s_cbranch_vccnz .LBB174_602
; %bb.601:
	s_cmp_gt_u32 s5, 0x7f800000
	s_movk_i32 s5, 0x7f
	s_delay_alu instid0(SALU_CYCLE_1) | instskip(NEXT) | instid1(SALU_CYCLE_1)
	s_cselect_b32 s5, s5, 0x7c
	v_mov_b32_e32 v5, s5
.LBB174_602:
	global_store_b8 v[0:1], v5, off
.LBB174_603:
	s_mov_b32 s5, 0
	s_mov_b32 s6, -1
.LBB174_604:
	s_and_not1_b32 vcc_lo, exec_lo, s5
	s_mov_b32 s5, 0
	s_cbranch_vccnz .LBB174_611
; %bb.605:
	v_cmp_lt_i16_e32 vcc_lo, 14, v2
	s_mov_b32 s5, -1
	s_cbranch_vccz .LBB174_609
; %bb.606:
	v_cmp_eq_u16_e32 vcc_lo, 15, v2
	s_mov_b32 s0, -1
	s_cbranch_vccz .LBB174_608
; %bb.607:
	s_clz_i32_u32 s0, s11
	s_delay_alu instid0(SALU_CYCLE_1) | instskip(NEXT) | instid1(SALU_CYCLE_1)
	s_min_u32 s0, s0, 32
	s_lshl_b64 s[6:7], s[10:11], s0
	s_sub_i32 s0, 32, s0
	s_min_u32 s5, s6, 1
	s_mov_b32 s6, -1
	s_or_b32 s5, s7, s5
	s_delay_alu instid0(SALU_CYCLE_1) | instskip(NEXT) | instid1(VALU_DEP_1)
	v_cvt_f32_u32_e32 v4, s5
	v_ldexp_f32 v4, v4, s0
	s_mov_b32 s0, 0
	s_delay_alu instid0(VALU_DEP_1) | instskip(NEXT) | instid1(VALU_DEP_1)
	v_bfe_u32 v5, v4, 16, 1
	v_add_nc_u32_e32 v4, v4, v5
	s_delay_alu instid0(VALU_DEP_1)
	v_add_nc_u32_e32 v4, 0x7fff, v4
	global_store_d16_hi_b16 v[0:1], v4, off
.LBB174_608:
	s_mov_b32 s5, 0
.LBB174_609:
	s_delay_alu instid0(SALU_CYCLE_1)
	s_and_b32 vcc_lo, exec_lo, s5
	s_mov_b32 s5, 0
	s_cbranch_vccz .LBB174_611
; %bb.610:
	v_cmp_ne_u16_e64 s0, 11, v2
	s_mov_b32 s5, -1
.LBB174_611:
	s_delay_alu instid0(VALU_DEP_1)
	s_and_b32 vcc_lo, exec_lo, s0
	s_cbranch_vccnz .LBB174_728
; %bb.612:
	s_and_not1_b32 vcc_lo, exec_lo, s5
	s_cbranch_vccnz .LBB174_614
.LBB174_613:
	s_cmp_lg_u64 s[10:11], 0
	s_mov_b32 s6, -1
	s_cselect_b32 s0, -1, 0
	s_delay_alu instid0(SALU_CYCLE_1)
	v_cndmask_b32_e64 v4, 0, 1, s0
	global_store_b8 v[0:1], v4, off
.LBB174_614:
.LBB174_615:
	s_and_not1_b32 vcc_lo, exec_lo, s6
	s_cbranch_vccnz .LBB174_683
.LBB174_616:
	v_add_nc_u32_e32 v3, s4, v3
	v_cmp_gt_i16_e32 vcc_lo, 11, v2
	s_delay_alu instid0(VALU_DEP_2) | instskip(SKIP_1) | instid1(VALU_DEP_1)
	v_ashrrev_i32_e32 v1, 31, v3
	v_add_co_u32 v0, s0, s12, v3
	v_add_co_ci_u32_e64 v1, s0, s13, v1, s0
	s_cbranch_vccnz .LBB174_644
; %bb.617:
	v_cmp_lt_i16_e32 vcc_lo, 25, v2
	s_mov_b32 s7, -1
	s_mov_b32 s5, 0
	s_mov_b32 s6, 0
	;; [unrolled: 1-line block ×3, first 2 shown]
	s_cbranch_vccz .LBB174_740
; %bb.618:
	v_cmp_lt_i16_e32 vcc_lo, 28, v2
	s_cbranch_vccz .LBB174_633
; %bb.619:
	v_cmp_lt_i16_e32 vcc_lo, 43, v2
	;; [unrolled: 3-line block ×3, first 2 shown]
	s_cbranch_vccz .LBB174_623
; %bb.621:
	v_cmp_eq_u16_e32 vcc_lo, 46, v2
	s_mov_b32 s0, -1
	s_mov_b32 s7, 0
	s_cbranch_vccz .LBB174_623
; %bb.622:
	s_clz_i32_u32 s0, s11
	s_delay_alu instid0(SALU_CYCLE_1) | instskip(NEXT) | instid1(SALU_CYCLE_1)
	s_min_u32 s0, s0, 32
	s_lshl_b64 s[8:9], s[10:11], s0
	s_sub_i32 s0, 32, s0
	s_min_u32 s6, s8, 1
	s_delay_alu instid0(SALU_CYCLE_1) | instskip(NEXT) | instid1(SALU_CYCLE_1)
	s_or_b32 s6, s9, s6
	v_cvt_f32_u32_e32 v4, s6
	s_mov_b32 s6, -1
	s_delay_alu instid0(VALU_DEP_1) | instskip(SKIP_1) | instid1(VALU_DEP_1)
	v_ldexp_f32 v4, v4, s0
	s_mov_b32 s0, 0
	v_bfe_u32 v5, v4, 16, 1
	s_delay_alu instid0(VALU_DEP_1) | instskip(NEXT) | instid1(VALU_DEP_1)
	v_add_nc_u32_e32 v4, v4, v5
	v_add_nc_u32_e32 v4, 0x7fff, v4
	s_delay_alu instid0(VALU_DEP_1)
	v_lshrrev_b32_e32 v4, 16, v4
	global_store_b32 v[0:1], v4, off
.LBB174_623:
	s_and_b32 vcc_lo, exec_lo, s7
	s_cbranch_vccz .LBB174_628
; %bb.624:
	v_cmp_eq_u16_e32 vcc_lo, 44, v2
	s_mov_b32 s0, -1
	s_cbranch_vccz .LBB174_628
; %bb.625:
	s_clz_i32_u32 s0, s11
	s_delay_alu instid0(SALU_CYCLE_1) | instskip(NEXT) | instid1(SALU_CYCLE_1)
	s_min_u32 s0, s0, 32
	s_lshl_b64 s[6:7], s[10:11], s0
	s_sub_i32 s0, 32, s0
	s_min_u32 s6, s6, 1
	s_delay_alu instid0(SALU_CYCLE_1) | instskip(NEXT) | instid1(SALU_CYCLE_1)
	s_or_b32 s6, s7, s6
	v_cvt_f32_u32_e32 v4, s6
	s_delay_alu instid0(VALU_DEP_1) | instskip(NEXT) | instid1(VALU_DEP_1)
	v_ldexp_f32 v4, v4, s0
	v_readfirstlane_b32 s6, v4
	v_mov_b32_e32 v4, 0xff
	s_delay_alu instid0(VALU_DEP_2) | instskip(NEXT) | instid1(SALU_CYCLE_1)
	s_lshr_b32 s0, s6, 23
	s_cmpk_eq_i32 s0, 0xff
	s_cbranch_scc1 .LBB174_627
; %bb.626:
	s_bitcmp1_b32 s6, 22
	s_cselect_b32 s7, -1, 0
	s_and_b32 s6, s6, 0x3fffff
	s_delay_alu instid0(SALU_CYCLE_1) | instskip(NEXT) | instid1(SALU_CYCLE_1)
	s_or_b32 s6, s0, s6
	s_cmp_lg_u32 s6, 0
	s_cselect_b32 s6, -1, 0
	s_delay_alu instid0(SALU_CYCLE_1) | instskip(NEXT) | instid1(SALU_CYCLE_1)
	s_and_b32 s6, s7, s6
	v_cndmask_b32_e64 v4, 0, 1, s6
	s_delay_alu instid0(VALU_DEP_1)
	v_add_nc_u32_e32 v4, s0, v4
.LBB174_627:
	s_mov_b32 s0, 0
	s_mov_b32 s6, -1
	global_store_b8 v[0:1], v4, off
.LBB174_628:
	s_mov_b32 s7, 0
.LBB174_629:
	s_delay_alu instid0(SALU_CYCLE_1)
	s_and_b32 vcc_lo, exec_lo, s7
	s_cbranch_vccz .LBB174_632
; %bb.630:
	v_cmp_eq_u16_e32 vcc_lo, 29, v2
	s_mov_b32 s0, -1
	s_cbranch_vccz .LBB174_632
; %bb.631:
	v_dual_mov_b32 v4, s10 :: v_dual_mov_b32 v5, s11
	s_mov_b32 s0, 0
	s_mov_b32 s6, -1
	global_store_b64 v[0:1], v[4:5], off
.LBB174_632:
	s_mov_b32 s7, 0
.LBB174_633:
	s_delay_alu instid0(SALU_CYCLE_1)
	s_and_b32 vcc_lo, exec_lo, s7
	s_cbranch_vccz .LBB174_739
; %bb.634:
	v_cmp_gt_i16_e32 vcc_lo, 27, v2
	s_mov_b32 s6, -1
	s_cbranch_vccnz .LBB174_640
; %bb.635:
	v_cmp_lt_i16_e32 vcc_lo, 27, v2
	s_cbranch_vccz .LBB174_637
; %bb.636:
	v_mov_b32_e32 v4, s10
	s_mov_b32 s6, 0
	global_store_b32 v[0:1], v4, off
.LBB174_637:
	s_and_not1_b32 vcc_lo, exec_lo, s6
	s_cbranch_vccnz .LBB174_639
; %bb.638:
	v_mov_b32_e32 v4, s10
	global_store_b16 v[0:1], v4, off
.LBB174_639:
	s_mov_b32 s6, 0
.LBB174_640:
	s_delay_alu instid0(SALU_CYCLE_1)
	s_and_not1_b32 vcc_lo, exec_lo, s6
	s_cbranch_vccnz .LBB174_738
; %bb.641:
	s_clz_i32_u32 s6, s11
	v_mov_b32_e32 v6, 0x80
	s_min_u32 s8, s6, 32
	s_delay_alu instid0(SALU_CYCLE_1) | instskip(NEXT) | instid1(SALU_CYCLE_1)
	s_lshl_b64 s[6:7], s[10:11], s8
	s_min_u32 s6, s6, 1
	s_delay_alu instid0(SALU_CYCLE_1) | instskip(NEXT) | instid1(SALU_CYCLE_1)
	s_or_b32 s6, s7, s6
	v_cvt_f32_u32_e32 v4, s6
	s_sub_i32 s6, 32, s8
	s_delay_alu instid0(VALU_DEP_1) | instid1(SALU_CYCLE_1)
	v_ldexp_f32 v4, v4, s6
	s_delay_alu instid0(VALU_DEP_1)
	v_cmp_lt_u32_e32 vcc_lo, 0x437fffff, v4
	v_readfirstlane_b32 s6, v4
	s_cbranch_vccnz .LBB174_737
; %bb.642:
	s_delay_alu instid0(VALU_DEP_1)
	s_cmp_gt_u32 s6, 0x3bffffff
	s_cbranch_scc0 .LBB174_732
; %bb.643:
	s_bfe_u32 s7, s6, 0x10014
	s_delay_alu instid0(SALU_CYCLE_1) | instskip(SKIP_2) | instid1(SALU_CYCLE_1)
	s_add_i32 s6, s6, s7
	s_mov_b32 s7, 0
	s_add_i32 s6, s6, 0x487ffff
	s_lshr_b32 s8, s6, 20
	s_mov_b32 s6, -1
	s_branch .LBB174_733
.LBB174_644:
	s_mov_b32 s6, 0
	s_cbranch_execz .LBB174_838
; %bb.645:
	v_cmp_gt_i16_e32 vcc_lo, 5, v2
	s_mov_b32 s0, -1
	s_cbranch_vccnz .LBB174_666
; %bb.646:
	v_cmp_gt_i16_e32 vcc_lo, 8, v2
	s_cbranch_vccnz .LBB174_656
; %bb.647:
	v_cmp_gt_i16_e32 vcc_lo, 9, v2
	s_cbranch_vccnz .LBB174_653
; %bb.648:
	v_cmp_lt_i16_e32 vcc_lo, 9, v2
	s_cbranch_vccz .LBB174_650
; %bb.649:
	v_cvt_f64_u32_e32 v[4:5], s11
	v_cvt_f64_u32_e32 v[6:7], s10
	s_mov_b32 s0, 0
	s_delay_alu instid0(VALU_DEP_2) | instskip(NEXT) | instid1(VALU_DEP_1)
	v_ldexp_f64 v[4:5], v[4:5], 32
	v_add_f64 v[4:5], v[4:5], v[6:7]
	v_mov_b32_e32 v6, 0
	s_delay_alu instid0(VALU_DEP_1)
	v_mov_b32_e32 v7, v6
	global_store_b128 v[0:1], v[4:7], off
.LBB174_650:
	s_and_not1_b32 vcc_lo, exec_lo, s0
	s_cbranch_vccnz .LBB174_652
; %bb.651:
	s_clz_i32_u32 s0, s11
	v_mov_b32_e32 v5, 0
	s_min_u32 s0, s0, 32
	s_delay_alu instid0(SALU_CYCLE_1) | instskip(SKIP_2) | instid1(SALU_CYCLE_1)
	s_lshl_b64 s[6:7], s[10:11], s0
	s_sub_i32 s0, 32, s0
	s_min_u32 s5, s6, 1
	s_or_b32 s5, s7, s5
	s_delay_alu instid0(SALU_CYCLE_1) | instskip(NEXT) | instid1(VALU_DEP_1)
	v_cvt_f32_u32_e32 v4, s5
	v_ldexp_f32 v4, v4, s0
	global_store_b64 v[0:1], v[4:5], off
.LBB174_652:
	s_mov_b32 s0, 0
.LBB174_653:
	s_delay_alu instid0(SALU_CYCLE_1)
	s_and_not1_b32 vcc_lo, exec_lo, s0
	s_cbranch_vccnz .LBB174_655
; %bb.654:
	s_clz_i32_u32 s0, s11
	s_delay_alu instid0(SALU_CYCLE_1) | instskip(NEXT) | instid1(SALU_CYCLE_1)
	s_min_u32 s0, s0, 32
	s_lshl_b64 s[6:7], s[10:11], s0
	s_sub_i32 s0, 32, s0
	s_min_u32 s5, s6, 1
	s_delay_alu instid0(SALU_CYCLE_1) | instskip(NEXT) | instid1(SALU_CYCLE_1)
	s_or_b32 s5, s7, s5
	v_cvt_f32_u32_e32 v4, s5
	s_delay_alu instid0(VALU_DEP_1) | instskip(NEXT) | instid1(VALU_DEP_1)
	v_ldexp_f32 v4, v4, s0
	v_cvt_f16_f32_e32 v4, v4
	s_delay_alu instid0(VALU_DEP_1)
	v_and_b32_e32 v4, 0xffff, v4
	global_store_b32 v[0:1], v4, off
.LBB174_655:
	s_mov_b32 s0, 0
.LBB174_656:
	s_delay_alu instid0(SALU_CYCLE_1)
	s_and_not1_b32 vcc_lo, exec_lo, s0
	s_cbranch_vccnz .LBB174_665
; %bb.657:
	v_cmp_gt_i16_e32 vcc_lo, 6, v2
	s_mov_b32 s0, -1
	s_cbranch_vccnz .LBB174_663
; %bb.658:
	v_cmp_lt_i16_e32 vcc_lo, 6, v2
	s_cbranch_vccz .LBB174_660
; %bb.659:
	v_cvt_f64_u32_e32 v[4:5], s11
	v_cvt_f64_u32_e32 v[6:7], s10
	s_mov_b32 s0, 0
	s_delay_alu instid0(VALU_DEP_2) | instskip(NEXT) | instid1(VALU_DEP_1)
	v_ldexp_f64 v[4:5], v[4:5], 32
	v_add_f64 v[4:5], v[4:5], v[6:7]
	global_store_b64 v[0:1], v[4:5], off
.LBB174_660:
	s_and_not1_b32 vcc_lo, exec_lo, s0
	s_cbranch_vccnz .LBB174_662
; %bb.661:
	s_clz_i32_u32 s0, s11
	s_delay_alu instid0(SALU_CYCLE_1) | instskip(NEXT) | instid1(SALU_CYCLE_1)
	s_min_u32 s0, s0, 32
	s_lshl_b64 s[6:7], s[10:11], s0
	s_sub_i32 s0, 32, s0
	s_min_u32 s5, s6, 1
	s_delay_alu instid0(SALU_CYCLE_1) | instskip(NEXT) | instid1(SALU_CYCLE_1)
	s_or_b32 s5, s7, s5
	v_cvt_f32_u32_e32 v4, s5
	s_delay_alu instid0(VALU_DEP_1)
	v_ldexp_f32 v4, v4, s0
	global_store_b32 v[0:1], v4, off
.LBB174_662:
	s_mov_b32 s0, 0
.LBB174_663:
	s_delay_alu instid0(SALU_CYCLE_1)
	s_and_not1_b32 vcc_lo, exec_lo, s0
	s_cbranch_vccnz .LBB174_665
; %bb.664:
	s_clz_i32_u32 s0, s11
	s_delay_alu instid0(SALU_CYCLE_1) | instskip(NEXT) | instid1(SALU_CYCLE_1)
	s_min_u32 s0, s0, 32
	s_lshl_b64 s[6:7], s[10:11], s0
	s_sub_i32 s0, 32, s0
	s_min_u32 s5, s6, 1
	s_delay_alu instid0(SALU_CYCLE_1) | instskip(NEXT) | instid1(SALU_CYCLE_1)
	s_or_b32 s5, s7, s5
	v_cvt_f32_u32_e32 v4, s5
	s_delay_alu instid0(VALU_DEP_1) | instskip(NEXT) | instid1(VALU_DEP_1)
	v_ldexp_f32 v4, v4, s0
	v_cvt_f16_f32_e32 v4, v4
	global_store_b16 v[0:1], v4, off
.LBB174_665:
	s_mov_b32 s0, 0
.LBB174_666:
	s_delay_alu instid0(SALU_CYCLE_1)
	s_and_not1_b32 vcc_lo, exec_lo, s0
	s_cbranch_vccnz .LBB174_682
; %bb.667:
	v_cmp_gt_i16_e32 vcc_lo, 2, v2
	s_mov_b32 s0, -1
	s_cbranch_vccnz .LBB174_677
; %bb.668:
	v_cmp_gt_i16_e32 vcc_lo, 3, v2
	s_cbranch_vccnz .LBB174_674
; %bb.669:
	v_cmp_lt_i16_e32 vcc_lo, 3, v2
	s_cbranch_vccz .LBB174_671
; %bb.670:
	v_dual_mov_b32 v4, s10 :: v_dual_mov_b32 v5, s11
	s_mov_b32 s0, 0
	global_store_b64 v[0:1], v[4:5], off
.LBB174_671:
	s_and_not1_b32 vcc_lo, exec_lo, s0
	s_cbranch_vccnz .LBB174_673
; %bb.672:
	v_mov_b32_e32 v4, s10
	global_store_b32 v[0:1], v4, off
.LBB174_673:
	s_mov_b32 s0, 0
.LBB174_674:
	s_delay_alu instid0(SALU_CYCLE_1)
	s_and_not1_b32 vcc_lo, exec_lo, s0
	s_cbranch_vccnz .LBB174_676
; %bb.675:
	v_mov_b32_e32 v4, s10
	global_store_b16 v[0:1], v4, off
.LBB174_676:
	s_mov_b32 s0, 0
.LBB174_677:
	s_delay_alu instid0(SALU_CYCLE_1)
	s_and_not1_b32 vcc_lo, exec_lo, s0
	s_cbranch_vccnz .LBB174_682
; %bb.678:
	v_cmp_lt_i16_e32 vcc_lo, 0, v2
	s_mov_b32 s0, -1
	s_cbranch_vccz .LBB174_680
; %bb.679:
	v_mov_b32_e32 v4, s10
	s_mov_b32 s0, 0
	global_store_b8 v[0:1], v4, off
.LBB174_680:
	s_and_not1_b32 vcc_lo, exec_lo, s0
	s_cbranch_vccnz .LBB174_682
; %bb.681:
	v_mov_b32_e32 v4, s10
	global_store_b8 v[0:1], v4, off
.LBB174_682:
	s_branch .LBB174_839
.LBB174_683:
	s_mov_b32 s0, 0
	s_mov_b32 s4, 0
                                        ; implicit-def: $vgpr2
                                        ; implicit-def: $vgpr0_vgpr1
.LBB174_684:
	s_and_not1_b32 s1, s1, exec_lo
	s_and_b32 s3, s3, exec_lo
	s_and_b32 s0, s0, exec_lo
	;; [unrolled: 1-line block ×3, first 2 shown]
	s_or_b32 s1, s1, s3
.LBB174_685:
	s_or_b32 exec_lo, exec_lo, s2
	s_and_saveexec_b32 s2, s1
	s_cbranch_execz .LBB174_688
; %bb.686:
	; divergent unreachable
	s_or_b32 exec_lo, exec_lo, s2
	s_and_saveexec_b32 s1, s15
	s_delay_alu instid0(SALU_CYCLE_1)
	s_xor_b32 s1, exec_lo, s1
	s_cbranch_execnz .LBB174_689
.LBB174_687:
	s_or_b32 exec_lo, exec_lo, s1
	s_and_saveexec_b32 s1, s0
	s_cbranch_execnz .LBB174_690
	s_branch .LBB174_727
.LBB174_688:
	s_or_b32 exec_lo, exec_lo, s2
	s_and_saveexec_b32 s1, s15
	s_delay_alu instid0(SALU_CYCLE_1)
	s_xor_b32 s1, exec_lo, s1
	s_cbranch_execz .LBB174_687
.LBB174_689:
	s_cmp_lg_u64 s[10:11], 0
	s_cselect_b32 s2, -1, 0
	s_delay_alu instid0(SALU_CYCLE_1)
	v_cndmask_b32_e64 v3, 0, 1, s2
	global_store_b8 v[0:1], v3, off
	s_or_b32 exec_lo, exec_lo, s1
	s_and_saveexec_b32 s1, s0
	s_cbranch_execz .LBB174_727
.LBB174_690:
	v_cmp_gt_i16_e32 vcc_lo, 5, v2
	s_mov_b32 s0, -1
	s_cbranch_vccnz .LBB174_711
; %bb.691:
	v_cmp_gt_i16_e32 vcc_lo, 8, v2
	s_cbranch_vccnz .LBB174_701
; %bb.692:
	v_cmp_gt_i16_e32 vcc_lo, 9, v2
	s_cbranch_vccnz .LBB174_698
; %bb.693:
	v_cmp_lt_i16_e32 vcc_lo, 9, v2
	s_cbranch_vccz .LBB174_695
; %bb.694:
	v_cvt_f64_u32_e32 v[3:4], s11
	v_cvt_f64_u32_e32 v[5:6], s10
	s_mov_b32 s0, 0
	s_delay_alu instid0(VALU_DEP_2) | instskip(NEXT) | instid1(VALU_DEP_1)
	v_ldexp_f64 v[3:4], v[3:4], 32
	v_add_f64 v[3:4], v[3:4], v[5:6]
	v_mov_b32_e32 v5, 0
	s_delay_alu instid0(VALU_DEP_1)
	v_mov_b32_e32 v6, v5
	global_store_b128 v[0:1], v[3:6], off
.LBB174_695:
	s_and_not1_b32 vcc_lo, exec_lo, s0
	s_cbranch_vccnz .LBB174_697
; %bb.696:
	s_clz_i32_u32 s0, s11
	v_mov_b32_e32 v4, 0
	s_min_u32 s2, s0, 32
	s_delay_alu instid0(SALU_CYCLE_1) | instskip(NEXT) | instid1(SALU_CYCLE_1)
	s_lshl_b64 s[0:1], s[10:11], s2
	s_min_u32 s0, s0, 1
	s_delay_alu instid0(SALU_CYCLE_1) | instskip(NEXT) | instid1(SALU_CYCLE_1)
	s_or_b32 s0, s1, s0
	v_cvt_f32_u32_e32 v3, s0
	s_sub_i32 s0, 32, s2
	s_delay_alu instid0(VALU_DEP_1) | instid1(SALU_CYCLE_1)
	v_ldexp_f32 v3, v3, s0
	global_store_b64 v[0:1], v[3:4], off
.LBB174_697:
	s_mov_b32 s0, 0
.LBB174_698:
	s_delay_alu instid0(SALU_CYCLE_1)
	s_and_not1_b32 vcc_lo, exec_lo, s0
	s_cbranch_vccnz .LBB174_700
; %bb.699:
	s_clz_i32_u32 s0, s11
	s_delay_alu instid0(SALU_CYCLE_1) | instskip(NEXT) | instid1(SALU_CYCLE_1)
	s_min_u32 s2, s0, 32
	s_lshl_b64 s[0:1], s[10:11], s2
	s_delay_alu instid0(SALU_CYCLE_1) | instskip(NEXT) | instid1(SALU_CYCLE_1)
	s_min_u32 s0, s0, 1
	s_or_b32 s0, s1, s0
	s_delay_alu instid0(SALU_CYCLE_1)
	v_cvt_f32_u32_e32 v3, s0
	s_sub_i32 s0, 32, s2
	s_delay_alu instid0(VALU_DEP_1) | instid1(SALU_CYCLE_1)
	v_ldexp_f32 v3, v3, s0
	s_delay_alu instid0(VALU_DEP_1) | instskip(NEXT) | instid1(VALU_DEP_1)
	v_cvt_f16_f32_e32 v3, v3
	v_and_b32_e32 v3, 0xffff, v3
	global_store_b32 v[0:1], v3, off
.LBB174_700:
	s_mov_b32 s0, 0
.LBB174_701:
	s_delay_alu instid0(SALU_CYCLE_1)
	s_and_not1_b32 vcc_lo, exec_lo, s0
	s_cbranch_vccnz .LBB174_710
; %bb.702:
	v_cmp_gt_i16_e32 vcc_lo, 6, v2
	s_mov_b32 s0, -1
	s_cbranch_vccnz .LBB174_708
; %bb.703:
	v_cmp_lt_i16_e32 vcc_lo, 6, v2
	s_cbranch_vccz .LBB174_705
; %bb.704:
	v_cvt_f64_u32_e32 v[3:4], s11
	v_cvt_f64_u32_e32 v[5:6], s10
	s_mov_b32 s0, 0
	s_delay_alu instid0(VALU_DEP_2) | instskip(NEXT) | instid1(VALU_DEP_1)
	v_ldexp_f64 v[3:4], v[3:4], 32
	v_add_f64 v[3:4], v[3:4], v[5:6]
	global_store_b64 v[0:1], v[3:4], off
.LBB174_705:
	s_and_not1_b32 vcc_lo, exec_lo, s0
	s_cbranch_vccnz .LBB174_707
; %bb.706:
	s_clz_i32_u32 s0, s11
	s_delay_alu instid0(SALU_CYCLE_1) | instskip(NEXT) | instid1(SALU_CYCLE_1)
	s_min_u32 s2, s0, 32
	s_lshl_b64 s[0:1], s[10:11], s2
	s_delay_alu instid0(SALU_CYCLE_1) | instskip(NEXT) | instid1(SALU_CYCLE_1)
	s_min_u32 s0, s0, 1
	s_or_b32 s0, s1, s0
	s_delay_alu instid0(SALU_CYCLE_1)
	v_cvt_f32_u32_e32 v3, s0
	s_sub_i32 s0, 32, s2
	s_delay_alu instid0(VALU_DEP_1) | instid1(SALU_CYCLE_1)
	v_ldexp_f32 v3, v3, s0
	global_store_b32 v[0:1], v3, off
.LBB174_707:
	s_mov_b32 s0, 0
.LBB174_708:
	s_delay_alu instid0(SALU_CYCLE_1)
	s_and_not1_b32 vcc_lo, exec_lo, s0
	s_cbranch_vccnz .LBB174_710
; %bb.709:
	s_clz_i32_u32 s0, s11
	s_delay_alu instid0(SALU_CYCLE_1) | instskip(NEXT) | instid1(SALU_CYCLE_1)
	s_min_u32 s2, s0, 32
	s_lshl_b64 s[0:1], s[10:11], s2
	s_delay_alu instid0(SALU_CYCLE_1) | instskip(NEXT) | instid1(SALU_CYCLE_1)
	s_min_u32 s0, s0, 1
	s_or_b32 s0, s1, s0
	s_delay_alu instid0(SALU_CYCLE_1)
	v_cvt_f32_u32_e32 v3, s0
	s_sub_i32 s0, 32, s2
	s_delay_alu instid0(VALU_DEP_1) | instid1(SALU_CYCLE_1)
	v_ldexp_f32 v3, v3, s0
	s_delay_alu instid0(VALU_DEP_1)
	v_cvt_f16_f32_e32 v3, v3
	global_store_b16 v[0:1], v3, off
.LBB174_710:
	s_mov_b32 s0, 0
.LBB174_711:
	s_delay_alu instid0(SALU_CYCLE_1)
	s_and_not1_b32 vcc_lo, exec_lo, s0
	s_cbranch_vccnz .LBB174_727
; %bb.712:
	v_cmp_gt_i16_e32 vcc_lo, 2, v2
	s_mov_b32 s0, -1
	s_cbranch_vccnz .LBB174_722
; %bb.713:
	v_cmp_gt_i16_e32 vcc_lo, 3, v2
	s_cbranch_vccnz .LBB174_719
; %bb.714:
	v_cmp_lt_i16_e32 vcc_lo, 3, v2
	s_cbranch_vccz .LBB174_716
; %bb.715:
	v_dual_mov_b32 v3, s10 :: v_dual_mov_b32 v4, s11
	s_mov_b32 s0, 0
	global_store_b64 v[0:1], v[3:4], off
.LBB174_716:
	s_and_not1_b32 vcc_lo, exec_lo, s0
	s_cbranch_vccnz .LBB174_718
; %bb.717:
	v_mov_b32_e32 v3, s10
	global_store_b32 v[0:1], v3, off
.LBB174_718:
	s_mov_b32 s0, 0
.LBB174_719:
	s_delay_alu instid0(SALU_CYCLE_1)
	s_and_not1_b32 vcc_lo, exec_lo, s0
	s_cbranch_vccnz .LBB174_721
; %bb.720:
	v_mov_b32_e32 v3, s10
	global_store_b16 v[0:1], v3, off
.LBB174_721:
	s_mov_b32 s0, 0
.LBB174_722:
	s_delay_alu instid0(SALU_CYCLE_1)
	s_and_not1_b32 vcc_lo, exec_lo, s0
	s_cbranch_vccnz .LBB174_727
; %bb.723:
	v_cmp_lt_i16_e32 vcc_lo, 0, v2
	s_mov_b32 s0, -1
	s_cbranch_vccz .LBB174_725
; %bb.724:
	v_mov_b32_e32 v2, s10
	s_mov_b32 s0, 0
	global_store_b8 v[0:1], v2, off
.LBB174_725:
	s_and_not1_b32 vcc_lo, exec_lo, s0
	s_cbranch_vccnz .LBB174_727
; %bb.726:
	v_mov_b32_e32 v2, s10
	global_store_b8 v[0:1], v2, off
	s_nop 0
	s_sendmsg sendmsg(MSG_DEALLOC_VGPRS)
	s_endpgm
.LBB174_727:
	s_nop 0
	s_sendmsg sendmsg(MSG_DEALLOC_VGPRS)
	s_endpgm
.LBB174_728:
	s_cbranch_execnz .LBB174_730
; %bb.729:
	s_or_b32 s3, s3, exec_lo
	s_cbranch_execz .LBB174_613
	s_branch .LBB174_614
.LBB174_730:
	s_trap 2
	s_sendmsg_rtn_b32 s0, sendmsg(MSG_RTN_GET_DOORBELL)
	s_mov_b32 ttmp2, m0
	s_waitcnt lgkmcnt(0)
	s_and_b32 s0, s0, 0x3ff
	s_delay_alu instid0(SALU_CYCLE_1) | instskip(NEXT) | instid1(SALU_CYCLE_1)
	s_bitset1_b32 s0, 10
	s_mov_b32 m0, s0
	s_sendmsg sendmsg(MSG_INTERRUPT)
	s_mov_b32 m0, ttmp2
.LBB174_731:                            ; =>This Inner Loop Header: Depth=1
	s_sethalt 5
	s_branch .LBB174_731
.LBB174_732:
	s_mov_b32 s7, -1
	s_mov_b32 s6, 0
                                        ; implicit-def: $sgpr8
.LBB174_733:
	v_mov_b32_e32 v5, s8
	s_and_not1_b32 vcc_lo, exec_lo, s7
                                        ; implicit-def: $sgpr7
	s_cbranch_vccnz .LBB174_735
; %bb.734:
	v_add_f32_e32 v4, 0x46000000, v4
	s_mov_b32 s7, 0
	s_delay_alu instid0(VALU_DEP_1) | instskip(NEXT) | instid1(VALU_DEP_1)
	v_and_b32_e32 v5, 0xff, v4
	v_cmp_ne_u32_e64 s6, 0, v5
.LBB174_735:
	v_mov_b32_e32 v6, s7
	s_delay_alu instid0(VALU_DEP_2)
	s_and_not1_b32 vcc_lo, exec_lo, s6
	s_cbranch_vccnz .LBB174_737
; %bb.736:
	v_mov_b32_e32 v6, v5
.LBB174_737:
	global_store_b8 v[0:1], v6, off
.LBB174_738:
	s_mov_b32 s6, -1
.LBB174_739:
	s_mov_b32 s7, 0
.LBB174_740:
	s_delay_alu instid0(SALU_CYCLE_1)
	s_and_b32 vcc_lo, exec_lo, s7
	s_cbranch_vccz .LBB174_834
; %bb.741:
	v_cmp_lt_i16_e32 vcc_lo, 22, v2
	s_mov_b32 s5, -1
	s_cbranch_vccz .LBB174_827
; %bb.742:
	v_cmp_gt_i16_e32 vcc_lo, 24, v2
	s_cbranch_vccnz .LBB174_814
; %bb.743:
	v_cmp_lt_i16_e32 vcc_lo, 24, v2
	s_cbranch_vccz .LBB174_801
; %bb.744:
	s_clz_i32_u32 s5, s11
	v_mov_b32_e32 v6, 0x80
	s_min_u32 s5, s5, 32
	s_delay_alu instid0(SALU_CYCLE_1) | instskip(SKIP_2) | instid1(SALU_CYCLE_1)
	s_lshl_b64 s[6:7], s[10:11], s5
	s_sub_i32 s5, 32, s5
	s_min_u32 s6, s6, 1
	s_or_b32 s6, s7, s6
	s_delay_alu instid0(SALU_CYCLE_1) | instskip(NEXT) | instid1(VALU_DEP_1)
	v_cvt_f32_u32_e32 v4, s6
	v_ldexp_f32 v4, v4, s5
	s_delay_alu instid0(VALU_DEP_1)
	v_cmp_lt_u32_e32 vcc_lo, 0x477fffff, v4
	v_readfirstlane_b32 s5, v4
	s_cbranch_vccnz .LBB174_800
; %bb.745:
	s_delay_alu instid0(VALU_DEP_1)
	s_cmp_gt_u32 s5, 0x37ffffff
	s_cbranch_scc0 .LBB174_795
; %bb.746:
	s_bfe_u32 s6, s5, 0x10015
	s_delay_alu instid0(SALU_CYCLE_1) | instskip(SKIP_2) | instid1(SALU_CYCLE_1)
	s_add_i32 s5, s5, s6
	s_mov_b32 s6, 0
	s_add_i32 s5, s5, 0x88fffff
	s_lshr_b32 s7, s5, 21
	s_mov_b32 s5, -1
	s_branch .LBB174_796
.LBB174_747:
	s_mov_b32 s27, 0
.LBB174_748:
	s_delay_alu instid0(SALU_CYCLE_1)
	s_and_b32 vcc_lo, exec_lo, s27
	s_cbranch_vccz .LBB174_751
; %bb.749:
	v_cmp_eq_u16_e32 vcc_lo, 29, v24
	s_mov_b32 s9, -1
	s_cbranch_vccz .LBB174_751
; %bb.750:
	v_dual_mov_b32 v2, s10 :: v_dual_mov_b32 v3, s11
	s_mov_b32 s9, 0
	s_mov_b32 s27, 0
	global_store_b64 v[6:7], v[2:3], off
	s_branch .LBB174_752
.LBB174_751:
	s_mov_b32 s27, 0
.LBB174_752:
	s_delay_alu instid0(SALU_CYCLE_1)
	s_and_b32 vcc_lo, exec_lo, s27
	s_cbranch_vccz .LBB174_764
; %bb.753:
	v_cmp_gt_i16_e32 vcc_lo, 27, v24
	s_mov_b32 s8, -1
	s_cbranch_vccnz .LBB174_759
; %bb.754:
	v_cmp_lt_i16_e32 vcc_lo, 27, v24
	s_cbranch_vccz .LBB174_756
; %bb.755:
	v_mov_b32_e32 v2, s10
	s_mov_b32 s8, 0
	global_store_b32 v[6:7], v2, off
.LBB174_756:
	s_and_not1_b32 vcc_lo, exec_lo, s8
	s_cbranch_vccnz .LBB174_758
; %bb.757:
	v_mov_b32_e32 v2, s10
	global_store_b16 v[6:7], v2, off
.LBB174_758:
	s_mov_b32 s8, 0
.LBB174_759:
	s_delay_alu instid0(SALU_CYCLE_1)
	s_and_not1_b32 vcc_lo, exec_lo, s8
	s_cbranch_vccnz .LBB174_764
; %bb.760:
	v_mov_b32_e32 v2, 0x80
	s_and_not1_b32 vcc_lo, exec_lo, s7
	s_cbranch_vccnz .LBB174_763
; %bb.761:
	v_mov_b32_e32 v2, 0
	s_or_b32 s7, s6, s19
	s_delay_alu instid0(SALU_CYCLE_1)
	s_and_not1_b32 vcc_lo, exec_lo, s7
	s_cbranch_vccnz .LBB174_763
; %bb.762:
	v_cndmask_b32_e64 v2, v20, v21, s6
.LBB174_763:
	global_store_b8 v[6:7], v2, off
.LBB174_764:
	s_mov_b32 s27, 0
.LBB174_765:
	s_delay_alu instid0(SALU_CYCLE_1)
	s_and_b32 vcc_lo, exec_lo, s27
	s_mov_b32 s6, 0
	s_cbranch_vccz .LBB174_786
; %bb.766:
	v_cmp_lt_i16_e32 vcc_lo, 22, v24
	s_mov_b32 s7, -1
	s_cbranch_vccz .LBB174_779
; %bb.767:
	v_cmp_gt_i16_e32 vcc_lo, 24, v24
	s_cbranch_vccnz .LBB174_776
; %bb.768:
	v_cmp_lt_i16_e32 vcc_lo, 24, v24
	s_cbranch_vccz .LBB174_773
; %bb.769:
	v_mov_b32_e32 v2, 0x80
	s_and_not1_b32 vcc_lo, exec_lo, s5
	s_cbranch_vccnz .LBB174_772
; %bb.770:
	v_mov_b32_e32 v2, 0
	s_or_b32 s5, s4, s18
	s_delay_alu instid0(SALU_CYCLE_1)
	s_and_not1_b32 vcc_lo, exec_lo, s5
	s_cbranch_vccnz .LBB174_772
; %bb.771:
	v_cndmask_b32_e64 v2, v15, v19, s4
.LBB174_772:
	s_mov_b32 s7, 0
	global_store_b8 v[6:7], v2, off
.LBB174_773:
	s_and_b32 vcc_lo, exec_lo, s7
	s_cbranch_vccz .LBB174_775
; %bb.774:
	v_cndmask_b32_e64 v2, v16, v17, s3
	s_delay_alu instid0(VALU_DEP_1)
	v_cndmask_b32_e64 v2, v2, v18, s2
	global_store_b8 v[6:7], v2, off
.LBB174_775:
	s_mov_b32 s7, 0
.LBB174_776:
	s_delay_alu instid0(SALU_CYCLE_1)
	s_and_not1_b32 vcc_lo, exec_lo, s7
	s_cbranch_vccnz .LBB174_778
; %bb.777:
	v_cndmask_b32_e64 v2, v12, v13, s1
	s_delay_alu instid0(VALU_DEP_1)
	v_cndmask_b32_e64 v2, v2, v14, s0
	global_store_b8 v[6:7], v2, off
.LBB174_778:
	s_mov_b32 s7, 0
.LBB174_779:
	s_delay_alu instid0(SALU_CYCLE_1)
	s_and_not1_b32 vcc_lo, exec_lo, s7
	s_mov_b32 s0, 0
	s_cbranch_vccnz .LBB174_787
; %bb.780:
	v_cmp_lt_i16_e32 vcc_lo, 14, v24
	s_mov_b32 s0, -1
	s_cbranch_vccz .LBB174_784
; %bb.781:
	v_cmp_eq_u16_e32 vcc_lo, 15, v24
	s_mov_b32 s9, -1
	s_cbranch_vccz .LBB174_783
; %bb.782:
	s_mov_b32 s9, 0
	global_store_b16 v[6:7], v11, off
.LBB174_783:
	s_mov_b32 s0, 0
.LBB174_784:
	s_delay_alu instid0(SALU_CYCLE_1)
	s_and_b32 vcc_lo, exec_lo, s0
	s_mov_b32 s0, 0
	s_cbranch_vccz .LBB174_787
; %bb.785:
	v_cmp_ne_u16_e32 vcc_lo, 11, v24
	s_and_not1_b32 s1, s9, exec_lo
	s_mov_b32 s0, -1
	s_and_b32 s2, vcc_lo, exec_lo
	s_delay_alu instid0(SALU_CYCLE_1)
	s_or_b32 s9, s1, s2
	s_branch .LBB174_787
.LBB174_786:
	s_mov_b32 s0, 0
.LBB174_787:
	s_and_not1_b32 s1, s26, exec_lo
	s_and_b32 s2, s9, exec_lo
	s_and_b32 s27, s6, exec_lo
	;; [unrolled: 1-line block ×3, first 2 shown]
	s_or_b32 s28, s1, s2
.LBB174_788:
	s_or_b32 exec_lo, exec_lo, s20
	s_delay_alu instid0(SALU_CYCLE_1)
	s_and_not1_b32 s0, s26, exec_lo
	s_and_b32 s1, s28, exec_lo
	s_and_b32 s27, s27, exec_lo
	;; [unrolled: 1-line block ×3, first 2 shown]
	s_or_b32 s26, s0, s1
.LBB174_789:
	s_or_b32 exec_lo, exec_lo, s25
	s_delay_alu instid0(SALU_CYCLE_1)
	s_and_not1_b32 s0, s23, exec_lo
	s_and_b32 s1, s26, exec_lo
	s_and_b32 s27, s27, exec_lo
	;; [unrolled: 1-line block ×3, first 2 shown]
	s_or_b32 s23, s0, s1
.LBB174_790:
	s_or_b32 exec_lo, exec_lo, s24
	s_delay_alu instid0(SALU_CYCLE_1)
	s_and_not1_b32 s0, s21, exec_lo
	s_and_b32 s1, s23, exec_lo
	s_and_b32 s9, s27, exec_lo
	s_and_b32 s23, s25, exec_lo
	s_or_b32 s21, s0, s1
	s_or_b32 exec_lo, exec_lo, s22
	s_mov_b32 s0, 0
	s_and_saveexec_b32 s1, s21
	s_cbranch_execz .LBB174_110
.LBB174_791:
	s_cbranch_execnz .LBB174_793
; %bb.792:
	s_mov_b32 s0, exec_lo
	s_and_not1_b32 s23, s23, exec_lo
	s_or_b32 exec_lo, exec_lo, s1
	s_and_saveexec_b32 s1, s23
	s_delay_alu instid0(SALU_CYCLE_1)
	s_xor_b32 s1, exec_lo, s1
	s_cbranch_execnz .LBB174_111
	s_branch .LBB174_112
.LBB174_793:
	s_trap 2
	s_sendmsg_rtn_b32 s0, sendmsg(MSG_RTN_GET_DOORBELL)
	s_mov_b32 ttmp2, m0
	s_waitcnt lgkmcnt(0)
	s_and_b32 s0, s0, 0x3ff
	s_delay_alu instid0(SALU_CYCLE_1) | instskip(NEXT) | instid1(SALU_CYCLE_1)
	s_bitset1_b32 s0, 10
	s_mov_b32 m0, s0
	s_sendmsg sendmsg(MSG_INTERRUPT)
	s_mov_b32 m0, ttmp2
.LBB174_794:                            ; =>This Inner Loop Header: Depth=1
	s_sethalt 5
	s_branch .LBB174_794
.LBB174_795:
	s_mov_b32 s6, -1
	s_mov_b32 s5, 0
                                        ; implicit-def: $sgpr7
.LBB174_796:
	v_mov_b32_e32 v5, s7
	s_and_not1_b32 vcc_lo, exec_lo, s6
                                        ; implicit-def: $sgpr6
	s_cbranch_vccnz .LBB174_798
; %bb.797:
	v_add_f32_e32 v4, 0x42800000, v4
	s_mov_b32 s6, 0
	s_delay_alu instid0(VALU_DEP_1) | instskip(NEXT) | instid1(VALU_DEP_1)
	v_and_b32_e32 v5, 0xff, v4
	v_cmp_ne_u32_e64 s5, 0, v5
.LBB174_798:
	v_mov_b32_e32 v6, s6
	s_delay_alu instid0(VALU_DEP_2)
	s_and_not1_b32 vcc_lo, exec_lo, s5
	s_cbranch_vccnz .LBB174_800
; %bb.799:
	v_mov_b32_e32 v6, v5
.LBB174_800:
	s_mov_b32 s5, 0
	global_store_b8 v[0:1], v6, off
.LBB174_801:
	s_and_b32 vcc_lo, exec_lo, s5
	s_cbranch_vccz .LBB174_813
; %bb.802:
	s_clz_i32_u32 s5, s11
	s_delay_alu instid0(SALU_CYCLE_1) | instskip(NEXT) | instid1(SALU_CYCLE_1)
	s_min_u32 s5, s5, 32
	s_lshl_b64 s[6:7], s[10:11], s5
	s_sub_i32 s5, 32, s5
	s_min_u32 s6, s6, 1
	s_delay_alu instid0(SALU_CYCLE_1) | instskip(NEXT) | instid1(SALU_CYCLE_1)
	s_or_b32 s6, s7, s6
	v_cvt_f32_u32_e32 v4, s6
	s_delay_alu instid0(VALU_DEP_1) | instskip(NEXT) | instid1(VALU_DEP_1)
	v_ldexp_f32 v4, v4, s5
	v_cmp_gt_u32_e32 vcc_lo, 0x43f00000, v4
	v_readfirstlane_b32 s5, v4
	s_cbranch_vccz .LBB174_805
; %bb.803:
	s_delay_alu instid0(VALU_DEP_1)
	s_cmp_gt_u32 s5, 0x3c7fffff
	s_cbranch_scc0 .LBB174_806
; %bb.804:
	s_bfe_u32 s6, s5, 0x10014
	s_delay_alu instid0(SALU_CYCLE_1) | instskip(NEXT) | instid1(SALU_CYCLE_1)
	s_add_i32 s6, s5, s6
	s_add_i32 s6, s6, 0x407ffff
	s_delay_alu instid0(SALU_CYCLE_1)
	s_and_b32 s7, s6, 0xff00000
	s_lshr_b32 s6, s6, 20
	s_cmp_lg_u32 s7, 0x7f00000
	s_cselect_b32 s7, s6, 0x7e
	s_mov_b32 s6, 0
	s_branch .LBB174_807
.LBB174_805:
	s_mov_b32 s6, -1
                                        ; implicit-def: $vgpr5
	s_branch .LBB174_810
.LBB174_806:
	s_mov_b32 s6, -1
                                        ; implicit-def: $sgpr7
.LBB174_807:
	v_mov_b32_e32 v5, s7
	s_and_not1_b32 vcc_lo, exec_lo, s6
	s_cbranch_vccnz .LBB174_809
; %bb.808:
	v_add_f32_e32 v5, 0x46800000, v4
.LBB174_809:
	s_mov_b32 s6, 0
.LBB174_810:
	s_delay_alu instid0(SALU_CYCLE_1)
	s_and_not1_b32 vcc_lo, exec_lo, s6
	s_cbranch_vccnz .LBB174_812
; %bb.811:
	s_cmp_gt_u32 s5, 0x7f800000
	s_movk_i32 s5, 0x7f
	s_delay_alu instid0(SALU_CYCLE_1) | instskip(NEXT) | instid1(SALU_CYCLE_1)
	s_cselect_b32 s5, s5, 0x7e
	v_mov_b32_e32 v5, s5
.LBB174_812:
	global_store_b8 v[0:1], v5, off
.LBB174_813:
	s_mov_b32 s5, 0
.LBB174_814:
	s_delay_alu instid0(SALU_CYCLE_1)
	s_and_not1_b32 vcc_lo, exec_lo, s5
	s_cbranch_vccnz .LBB174_826
; %bb.815:
	s_clz_i32_u32 s5, s11
	s_delay_alu instid0(SALU_CYCLE_1) | instskip(NEXT) | instid1(SALU_CYCLE_1)
	s_min_u32 s5, s5, 32
	s_lshl_b64 s[6:7], s[10:11], s5
	s_sub_i32 s5, 32, s5
	s_min_u32 s6, s6, 1
	s_delay_alu instid0(SALU_CYCLE_1) | instskip(NEXT) | instid1(SALU_CYCLE_1)
	s_or_b32 s6, s7, s6
	v_cvt_f32_u32_e32 v4, s6
	s_delay_alu instid0(VALU_DEP_1) | instskip(NEXT) | instid1(VALU_DEP_1)
	v_ldexp_f32 v4, v4, s5
	v_cmp_gt_u32_e32 vcc_lo, 0x47800000, v4
	v_readfirstlane_b32 s5, v4
	s_cbranch_vccz .LBB174_818
; %bb.816:
	s_delay_alu instid0(VALU_DEP_1)
	s_cmp_gt_u32 s5, 0x387fffff
	s_cbranch_scc0 .LBB174_819
; %bb.817:
	s_bfe_u32 s6, s5, 0x10015
	s_delay_alu instid0(SALU_CYCLE_1) | instskip(NEXT) | instid1(SALU_CYCLE_1)
	s_add_i32 s6, s5, s6
	s_add_i32 s6, s6, 0x80fffff
	s_delay_alu instid0(SALU_CYCLE_1)
	s_lshr_b32 s7, s6, 21
	s_mov_b32 s6, 0
	s_branch .LBB174_820
.LBB174_818:
	s_mov_b32 s6, -1
                                        ; implicit-def: $vgpr5
	s_branch .LBB174_823
.LBB174_819:
	s_mov_b32 s6, -1
                                        ; implicit-def: $sgpr7
.LBB174_820:
	v_mov_b32_e32 v5, s7
	s_and_not1_b32 vcc_lo, exec_lo, s6
	s_cbranch_vccnz .LBB174_822
; %bb.821:
	v_add_f32_e32 v5, 0x43000000, v4
.LBB174_822:
	s_mov_b32 s6, 0
.LBB174_823:
	s_delay_alu instid0(SALU_CYCLE_1)
	s_and_not1_b32 vcc_lo, exec_lo, s6
	s_cbranch_vccnz .LBB174_825
; %bb.824:
	s_cmp_gt_u32 s5, 0x7f800000
	s_movk_i32 s5, 0x7f
	s_delay_alu instid0(SALU_CYCLE_1) | instskip(NEXT) | instid1(SALU_CYCLE_1)
	s_cselect_b32 s5, s5, 0x7c
	v_mov_b32_e32 v5, s5
.LBB174_825:
	global_store_b8 v[0:1], v5, off
.LBB174_826:
	s_mov_b32 s5, 0
	s_mov_b32 s6, -1
.LBB174_827:
	s_and_not1_b32 vcc_lo, exec_lo, s5
	s_mov_b32 s5, 0
	s_cbranch_vccnz .LBB174_834
; %bb.828:
	v_cmp_lt_i16_e32 vcc_lo, 14, v2
	s_mov_b32 s5, -1
	s_cbranch_vccz .LBB174_832
; %bb.829:
	v_cmp_eq_u16_e32 vcc_lo, 15, v2
	s_mov_b32 s0, -1
	s_cbranch_vccz .LBB174_831
; %bb.830:
	s_clz_i32_u32 s0, s11
	s_delay_alu instid0(SALU_CYCLE_1) | instskip(NEXT) | instid1(SALU_CYCLE_1)
	s_min_u32 s0, s0, 32
	s_lshl_b64 s[6:7], s[10:11], s0
	s_sub_i32 s0, 32, s0
	s_min_u32 s5, s6, 1
	s_mov_b32 s6, -1
	s_or_b32 s5, s7, s5
	s_delay_alu instid0(SALU_CYCLE_1) | instskip(NEXT) | instid1(VALU_DEP_1)
	v_cvt_f32_u32_e32 v4, s5
	v_ldexp_f32 v4, v4, s0
	s_mov_b32 s0, 0
	s_delay_alu instid0(VALU_DEP_1) | instskip(NEXT) | instid1(VALU_DEP_1)
	v_bfe_u32 v5, v4, 16, 1
	v_add_nc_u32_e32 v4, v4, v5
	s_delay_alu instid0(VALU_DEP_1)
	v_add_nc_u32_e32 v4, 0x7fff, v4
	global_store_d16_hi_b16 v[0:1], v4, off
.LBB174_831:
	s_mov_b32 s5, 0
.LBB174_832:
	s_delay_alu instid0(SALU_CYCLE_1)
	s_and_b32 vcc_lo, exec_lo, s5
	s_mov_b32 s5, 0
	s_cbranch_vccz .LBB174_834
; %bb.833:
	v_cmp_ne_u16_e64 s0, 11, v2
	s_mov_b32 s5, -1
.LBB174_834:
	s_delay_alu instid0(VALU_DEP_1)
	s_and_b32 vcc_lo, exec_lo, s0
	s_cbranch_vccnz .LBB174_869
; %bb.835:
	s_and_not1_b32 vcc_lo, exec_lo, s5
	s_cbranch_vccnz .LBB174_837
.LBB174_836:
	s_cmp_lg_u64 s[10:11], 0
	s_mov_b32 s6, -1
	s_cselect_b32 s0, -1, 0
	s_delay_alu instid0(SALU_CYCLE_1)
	v_cndmask_b32_e64 v4, 0, 1, s0
	global_store_b8 v[0:1], v4, off
.LBB174_837:
.LBB174_838:
	s_and_not1_b32 vcc_lo, exec_lo, s6
	s_cbranch_vccnz .LBB174_683
.LBB174_839:
	v_add_nc_u32_e32 v0, s4, v3
	v_cmp_gt_i16_e32 vcc_lo, 11, v2
	s_delay_alu instid0(VALU_DEP_2) | instskip(SKIP_1) | instid1(VALU_DEP_1)
	v_ashrrev_i32_e32 v1, 31, v0
	v_add_co_u32 v0, s0, s12, v0
	v_add_co_ci_u32_e64 v1, s0, s13, v1, s0
	s_cbranch_vccnz .LBB174_868
; %bb.840:
	v_cmp_lt_i16_e32 vcc_lo, 25, v2
	s_mov_b32 s5, -1
	s_mov_b32 s4, 0
	s_mov_b32 s0, 0
	s_cbranch_vccz .LBB174_880
; %bb.841:
	v_cmp_lt_i16_e32 vcc_lo, 28, v2
	s_cbranch_vccz .LBB174_857
; %bb.842:
	v_cmp_lt_i16_e32 vcc_lo, 43, v2
	;; [unrolled: 3-line block ×3, first 2 shown]
	s_cbranch_vccz .LBB174_847
; %bb.844:
	v_cmp_eq_u16_e32 vcc_lo, 46, v2
	s_mov_b32 s0, -1
	s_cbranch_vccz .LBB174_846
; %bb.845:
	s_clz_i32_u32 s0, s11
	s_delay_alu instid0(SALU_CYCLE_1) | instskip(NEXT) | instid1(SALU_CYCLE_1)
	s_min_u32 s0, s0, 32
	s_lshl_b64 s[6:7], s[10:11], s0
	s_sub_i32 s0, 32, s0
	s_min_u32 s5, s6, 1
	s_delay_alu instid0(SALU_CYCLE_1) | instskip(NEXT) | instid1(SALU_CYCLE_1)
	s_or_b32 s5, s7, s5
	v_cvt_f32_u32_e32 v3, s5
	s_delay_alu instid0(VALU_DEP_1) | instskip(SKIP_1) | instid1(VALU_DEP_1)
	v_ldexp_f32 v3, v3, s0
	s_mov_b32 s0, 0
	v_bfe_u32 v4, v3, 16, 1
	s_delay_alu instid0(VALU_DEP_1) | instskip(NEXT) | instid1(VALU_DEP_1)
	v_add_nc_u32_e32 v3, v3, v4
	v_add_nc_u32_e32 v3, 0x7fff, v3
	s_delay_alu instid0(VALU_DEP_1)
	v_lshrrev_b32_e32 v3, 16, v3
	global_store_b32 v[0:1], v3, off
.LBB174_846:
	s_mov_b32 s5, 0
.LBB174_847:
	s_delay_alu instid0(SALU_CYCLE_1)
	s_and_b32 vcc_lo, exec_lo, s5
	s_cbranch_vccz .LBB174_852
; %bb.848:
	v_cmp_eq_u16_e32 vcc_lo, 44, v2
	s_mov_b32 s0, -1
	s_cbranch_vccz .LBB174_852
; %bb.849:
	s_clz_i32_u32 s0, s11
	s_delay_alu instid0(SALU_CYCLE_1) | instskip(NEXT) | instid1(SALU_CYCLE_1)
	s_min_u32 s0, s0, 32
	s_lshl_b64 s[6:7], s[10:11], s0
	s_sub_i32 s0, 32, s0
	s_min_u32 s5, s6, 1
	s_delay_alu instid0(SALU_CYCLE_1) | instskip(NEXT) | instid1(SALU_CYCLE_1)
	s_or_b32 s5, s7, s5
	v_cvt_f32_u32_e32 v3, s5
	s_delay_alu instid0(VALU_DEP_1) | instskip(NEXT) | instid1(VALU_DEP_1)
	v_ldexp_f32 v3, v3, s0
	v_readfirstlane_b32 s5, v3
	v_mov_b32_e32 v3, 0xff
	s_delay_alu instid0(VALU_DEP_2) | instskip(NEXT) | instid1(SALU_CYCLE_1)
	s_lshr_b32 s0, s5, 23
	s_cmpk_eq_i32 s0, 0xff
	s_cbranch_scc1 .LBB174_851
; %bb.850:
	s_bitcmp1_b32 s5, 22
	s_cselect_b32 s6, -1, 0
	s_and_b32 s5, s5, 0x3fffff
	s_delay_alu instid0(SALU_CYCLE_1) | instskip(NEXT) | instid1(SALU_CYCLE_1)
	s_or_b32 s5, s0, s5
	s_cmp_lg_u32 s5, 0
	s_cselect_b32 s5, -1, 0
	s_delay_alu instid0(SALU_CYCLE_1) | instskip(NEXT) | instid1(SALU_CYCLE_1)
	s_and_b32 s5, s6, s5
	v_cndmask_b32_e64 v3, 0, 1, s5
	s_delay_alu instid0(VALU_DEP_1)
	v_add_nc_u32_e32 v3, s0, v3
.LBB174_851:
	s_mov_b32 s0, 0
	global_store_b8 v[0:1], v3, off
.LBB174_852:
	s_mov_b32 s5, 0
.LBB174_853:
	s_delay_alu instid0(SALU_CYCLE_1)
	s_and_b32 vcc_lo, exec_lo, s5
	s_cbranch_vccz .LBB174_856
; %bb.854:
	v_cmp_eq_u16_e32 vcc_lo, 29, v2
	s_mov_b32 s0, -1
	s_cbranch_vccz .LBB174_856
; %bb.855:
	v_dual_mov_b32 v3, s10 :: v_dual_mov_b32 v4, s11
	s_mov_b32 s0, 0
	global_store_b64 v[0:1], v[3:4], off
.LBB174_856:
	s_mov_b32 s5, 0
.LBB174_857:
	s_delay_alu instid0(SALU_CYCLE_1)
	s_and_b32 vcc_lo, exec_lo, s5
	s_cbranch_vccz .LBB174_879
; %bb.858:
	v_cmp_gt_i16_e32 vcc_lo, 27, v2
	s_mov_b32 s5, -1
	s_cbranch_vccnz .LBB174_864
; %bb.859:
	v_cmp_lt_i16_e32 vcc_lo, 27, v2
	s_cbranch_vccz .LBB174_861
; %bb.860:
	v_mov_b32_e32 v3, s10
	s_mov_b32 s5, 0
	global_store_b32 v[0:1], v3, off
.LBB174_861:
	s_and_not1_b32 vcc_lo, exec_lo, s5
	s_cbranch_vccnz .LBB174_863
; %bb.862:
	v_mov_b32_e32 v3, s10
	global_store_b16 v[0:1], v3, off
.LBB174_863:
	s_mov_b32 s5, 0
.LBB174_864:
	s_delay_alu instid0(SALU_CYCLE_1)
	s_and_not1_b32 vcc_lo, exec_lo, s5
	s_cbranch_vccnz .LBB174_879
; %bb.865:
	s_clz_i32_u32 s5, s11
	v_mov_b32_e32 v5, 0x80
	s_min_u32 s5, s5, 32
	s_delay_alu instid0(SALU_CYCLE_1) | instskip(SKIP_2) | instid1(SALU_CYCLE_1)
	s_lshl_b64 s[6:7], s[10:11], s5
	s_sub_i32 s5, 32, s5
	s_min_u32 s6, s6, 1
	s_or_b32 s6, s7, s6
	s_delay_alu instid0(SALU_CYCLE_1) | instskip(NEXT) | instid1(VALU_DEP_1)
	v_cvt_f32_u32_e32 v3, s6
	v_ldexp_f32 v3, v3, s5
	s_delay_alu instid0(VALU_DEP_1)
	v_cmp_lt_u32_e32 vcc_lo, 0x437fffff, v3
	v_readfirstlane_b32 s5, v3
	s_cbranch_vccnz .LBB174_878
; %bb.866:
	s_delay_alu instid0(VALU_DEP_1)
	s_cmp_gt_u32 s5, 0x3bffffff
	s_cbranch_scc0 .LBB174_873
; %bb.867:
	s_bfe_u32 s6, s5, 0x10014
	s_delay_alu instid0(SALU_CYCLE_1) | instskip(SKIP_2) | instid1(SALU_CYCLE_1)
	s_add_i32 s5, s5, s6
	s_mov_b32 s6, 0
	s_add_i32 s5, s5, 0x487ffff
	s_lshr_b32 s7, s5, 20
	s_mov_b32 s5, -1
	s_branch .LBB174_874
.LBB174_868:
	s_mov_b32 s4, 0
	s_mov_b32 s0, -1
	s_branch .LBB174_684
.LBB174_869:
	s_cbranch_execnz .LBB174_871
; %bb.870:
	s_or_b32 s3, s3, exec_lo
	s_cbranch_execz .LBB174_836
	s_branch .LBB174_837
.LBB174_871:
	s_trap 2
	s_sendmsg_rtn_b32 s0, sendmsg(MSG_RTN_GET_DOORBELL)
	s_mov_b32 ttmp2, m0
	s_waitcnt lgkmcnt(0)
	s_and_b32 s0, s0, 0x3ff
	s_delay_alu instid0(SALU_CYCLE_1) | instskip(NEXT) | instid1(SALU_CYCLE_1)
	s_bitset1_b32 s0, 10
	s_mov_b32 m0, s0
	s_sendmsg sendmsg(MSG_INTERRUPT)
	s_mov_b32 m0, ttmp2
.LBB174_872:                            ; =>This Inner Loop Header: Depth=1
	s_sethalt 5
	s_branch .LBB174_872
.LBB174_873:
	s_mov_b32 s6, -1
	s_mov_b32 s5, 0
                                        ; implicit-def: $sgpr7
.LBB174_874:
	v_mov_b32_e32 v4, s7
	s_and_not1_b32 vcc_lo, exec_lo, s6
                                        ; implicit-def: $sgpr6
	s_cbranch_vccnz .LBB174_876
; %bb.875:
	v_add_f32_e32 v3, 0x46000000, v3
	s_mov_b32 s6, 0
	s_delay_alu instid0(VALU_DEP_1) | instskip(NEXT) | instid1(VALU_DEP_1)
	v_and_b32_e32 v4, 0xff, v3
	v_cmp_ne_u32_e64 s5, 0, v4
.LBB174_876:
	v_mov_b32_e32 v5, s6
	s_delay_alu instid0(VALU_DEP_2)
	s_and_not1_b32 vcc_lo, exec_lo, s5
	s_cbranch_vccnz .LBB174_878
; %bb.877:
	v_mov_b32_e32 v5, v4
.LBB174_878:
	global_store_b8 v[0:1], v5, off
.LBB174_879:
	s_mov_b32 s5, 0
.LBB174_880:
	s_delay_alu instid0(SALU_CYCLE_1)
	s_and_b32 vcc_lo, exec_lo, s5
	s_cbranch_vccz .LBB174_926
; %bb.881:
	v_cmp_lt_i16_e32 vcc_lo, 22, v2
	s_mov_b32 s4, -1
	s_cbranch_vccz .LBB174_919
; %bb.882:
	v_cmp_gt_i16_e32 vcc_lo, 24, v2
	s_cbranch_vccnz .LBB174_906
; %bb.883:
	v_cmp_lt_i16_e32 vcc_lo, 24, v2
	s_cbranch_vccz .LBB174_893
; %bb.884:
	s_clz_i32_u32 s4, s11
	v_mov_b32_e32 v5, 0x80
	s_min_u32 s6, s4, 32
	s_delay_alu instid0(SALU_CYCLE_1) | instskip(NEXT) | instid1(SALU_CYCLE_1)
	s_lshl_b64 s[4:5], s[10:11], s6
	s_min_u32 s4, s4, 1
	s_delay_alu instid0(SALU_CYCLE_1) | instskip(NEXT) | instid1(SALU_CYCLE_1)
	s_or_b32 s4, s5, s4
	v_cvt_f32_u32_e32 v3, s4
	s_sub_i32 s4, 32, s6
	s_delay_alu instid0(VALU_DEP_1) | instid1(SALU_CYCLE_1)
	v_ldexp_f32 v3, v3, s4
	s_delay_alu instid0(VALU_DEP_1)
	v_cmp_lt_u32_e32 vcc_lo, 0x477fffff, v3
	v_readfirstlane_b32 s4, v3
	s_cbranch_vccnz .LBB174_892
; %bb.885:
	s_delay_alu instid0(VALU_DEP_1)
	s_cmp_gt_u32 s4, 0x37ffffff
	s_cbranch_scc0 .LBB174_887
; %bb.886:
	s_bfe_u32 s5, s4, 0x10015
	s_delay_alu instid0(SALU_CYCLE_1) | instskip(SKIP_2) | instid1(SALU_CYCLE_1)
	s_add_i32 s4, s4, s5
	s_mov_b32 s5, 0
	s_add_i32 s4, s4, 0x88fffff
	s_lshr_b32 s6, s4, 21
	s_mov_b32 s4, -1
	s_branch .LBB174_888
.LBB174_887:
	s_mov_b32 s5, -1
	s_mov_b32 s4, 0
                                        ; implicit-def: $sgpr6
.LBB174_888:
	v_mov_b32_e32 v4, s6
	s_and_not1_b32 vcc_lo, exec_lo, s5
                                        ; implicit-def: $sgpr5
	s_cbranch_vccnz .LBB174_890
; %bb.889:
	v_add_f32_e32 v3, 0x42800000, v3
	s_mov_b32 s5, 0
	s_delay_alu instid0(VALU_DEP_1) | instskip(NEXT) | instid1(VALU_DEP_1)
	v_and_b32_e32 v4, 0xff, v3
	v_cmp_ne_u32_e64 s4, 0, v4
.LBB174_890:
	v_mov_b32_e32 v5, s5
	s_delay_alu instid0(VALU_DEP_2)
	s_and_not1_b32 vcc_lo, exec_lo, s4
	s_cbranch_vccnz .LBB174_892
; %bb.891:
	v_mov_b32_e32 v5, v4
.LBB174_892:
	s_mov_b32 s4, 0
	global_store_b8 v[0:1], v5, off
.LBB174_893:
	s_and_b32 vcc_lo, exec_lo, s4
	s_cbranch_vccz .LBB174_905
; %bb.894:
	s_clz_i32_u32 s4, s11
	s_delay_alu instid0(SALU_CYCLE_1) | instskip(NEXT) | instid1(SALU_CYCLE_1)
	s_min_u32 s6, s4, 32
	s_lshl_b64 s[4:5], s[10:11], s6
	s_delay_alu instid0(SALU_CYCLE_1) | instskip(NEXT) | instid1(SALU_CYCLE_1)
	s_min_u32 s4, s4, 1
	s_or_b32 s4, s5, s4
	s_delay_alu instid0(SALU_CYCLE_1)
	v_cvt_f32_u32_e32 v3, s4
	s_sub_i32 s4, 32, s6
	s_delay_alu instid0(VALU_DEP_1) | instid1(SALU_CYCLE_1)
	v_ldexp_f32 v3, v3, s4
	s_delay_alu instid0(VALU_DEP_1)
	v_cmp_gt_u32_e32 vcc_lo, 0x43f00000, v3
	v_readfirstlane_b32 s4, v3
	s_cbranch_vccz .LBB174_897
; %bb.895:
	s_delay_alu instid0(VALU_DEP_1)
	s_cmp_gt_u32 s4, 0x3c7fffff
	s_cbranch_scc0 .LBB174_898
; %bb.896:
	s_bfe_u32 s5, s4, 0x10014
	s_delay_alu instid0(SALU_CYCLE_1) | instskip(NEXT) | instid1(SALU_CYCLE_1)
	s_add_i32 s5, s4, s5
	s_add_i32 s5, s5, 0x407ffff
	s_delay_alu instid0(SALU_CYCLE_1)
	s_and_b32 s6, s5, 0xff00000
	s_lshr_b32 s5, s5, 20
	s_cmp_lg_u32 s6, 0x7f00000
	s_cselect_b32 s6, s5, 0x7e
	s_mov_b32 s5, 0
	s_branch .LBB174_899
.LBB174_897:
	s_mov_b32 s5, -1
                                        ; implicit-def: $vgpr4
	s_branch .LBB174_902
.LBB174_898:
	s_mov_b32 s5, -1
                                        ; implicit-def: $sgpr6
.LBB174_899:
	v_mov_b32_e32 v4, s6
	s_and_not1_b32 vcc_lo, exec_lo, s5
	s_cbranch_vccnz .LBB174_901
; %bb.900:
	v_add_f32_e32 v4, 0x46800000, v3
.LBB174_901:
	s_mov_b32 s5, 0
.LBB174_902:
	s_delay_alu instid0(SALU_CYCLE_1)
	s_and_not1_b32 vcc_lo, exec_lo, s5
	s_cbranch_vccnz .LBB174_904
; %bb.903:
	s_cmp_gt_u32 s4, 0x7f800000
	s_movk_i32 s4, 0x7f
	s_delay_alu instid0(SALU_CYCLE_1) | instskip(NEXT) | instid1(SALU_CYCLE_1)
	s_cselect_b32 s4, s4, 0x7e
	v_mov_b32_e32 v4, s4
.LBB174_904:
	global_store_b8 v[0:1], v4, off
.LBB174_905:
	s_mov_b32 s4, 0
.LBB174_906:
	s_delay_alu instid0(SALU_CYCLE_1)
	s_and_not1_b32 vcc_lo, exec_lo, s4
	s_cbranch_vccnz .LBB174_918
; %bb.907:
	s_clz_i32_u32 s4, s11
	s_delay_alu instid0(SALU_CYCLE_1) | instskip(NEXT) | instid1(SALU_CYCLE_1)
	s_min_u32 s6, s4, 32
	s_lshl_b64 s[4:5], s[10:11], s6
	s_delay_alu instid0(SALU_CYCLE_1) | instskip(NEXT) | instid1(SALU_CYCLE_1)
	s_min_u32 s4, s4, 1
	s_or_b32 s4, s5, s4
	s_delay_alu instid0(SALU_CYCLE_1)
	v_cvt_f32_u32_e32 v3, s4
	s_sub_i32 s4, 32, s6
	s_delay_alu instid0(VALU_DEP_1) | instid1(SALU_CYCLE_1)
	v_ldexp_f32 v3, v3, s4
	s_delay_alu instid0(VALU_DEP_1)
	v_cmp_gt_u32_e32 vcc_lo, 0x47800000, v3
	v_readfirstlane_b32 s4, v3
	s_cbranch_vccz .LBB174_910
; %bb.908:
	s_delay_alu instid0(VALU_DEP_1)
	s_cmp_gt_u32 s4, 0x387fffff
	s_cbranch_scc0 .LBB174_911
; %bb.909:
	s_bfe_u32 s5, s4, 0x10015
	s_delay_alu instid0(SALU_CYCLE_1) | instskip(NEXT) | instid1(SALU_CYCLE_1)
	s_add_i32 s5, s4, s5
	s_add_i32 s5, s5, 0x80fffff
	s_delay_alu instid0(SALU_CYCLE_1)
	s_lshr_b32 s6, s5, 21
	s_mov_b32 s5, 0
	s_branch .LBB174_912
.LBB174_910:
	s_mov_b32 s5, -1
                                        ; implicit-def: $vgpr4
	s_branch .LBB174_915
.LBB174_911:
	s_mov_b32 s5, -1
                                        ; implicit-def: $sgpr6
.LBB174_912:
	v_mov_b32_e32 v4, s6
	s_and_not1_b32 vcc_lo, exec_lo, s5
	s_cbranch_vccnz .LBB174_914
; %bb.913:
	v_add_f32_e32 v4, 0x43000000, v3
.LBB174_914:
	s_mov_b32 s5, 0
.LBB174_915:
	s_delay_alu instid0(SALU_CYCLE_1)
	s_and_not1_b32 vcc_lo, exec_lo, s5
	s_cbranch_vccnz .LBB174_917
; %bb.916:
	s_cmp_gt_u32 s4, 0x7f800000
	s_movk_i32 s4, 0x7f
	s_delay_alu instid0(SALU_CYCLE_1) | instskip(NEXT) | instid1(SALU_CYCLE_1)
	s_cselect_b32 s4, s4, 0x7c
	v_mov_b32_e32 v4, s4
.LBB174_917:
	global_store_b8 v[0:1], v4, off
.LBB174_918:
	s_mov_b32 s4, 0
.LBB174_919:
	s_delay_alu instid0(SALU_CYCLE_1)
	s_and_not1_b32 vcc_lo, exec_lo, s4
	s_mov_b32 s4, 0
	s_cbranch_vccnz .LBB174_926
; %bb.920:
	v_cmp_lt_i16_e32 vcc_lo, 14, v2
	s_mov_b32 s4, -1
	s_cbranch_vccz .LBB174_924
; %bb.921:
	v_cmp_eq_u16_e32 vcc_lo, 15, v2
	s_mov_b32 s0, -1
	s_cbranch_vccz .LBB174_923
; %bb.922:
	s_clz_i32_u32 s0, s11
	s_delay_alu instid0(SALU_CYCLE_1) | instskip(NEXT) | instid1(SALU_CYCLE_1)
	s_min_u32 s0, s0, 32
	s_lshl_b64 s[4:5], s[10:11], s0
	s_sub_i32 s0, 32, s0
	s_min_u32 s4, s4, 1
	s_delay_alu instid0(SALU_CYCLE_1) | instskip(NEXT) | instid1(SALU_CYCLE_1)
	s_or_b32 s4, s5, s4
	v_cvt_f32_u32_e32 v3, s4
	s_delay_alu instid0(VALU_DEP_1) | instskip(SKIP_1) | instid1(VALU_DEP_1)
	v_ldexp_f32 v3, v3, s0
	s_mov_b32 s0, 0
	v_bfe_u32 v4, v3, 16, 1
	s_delay_alu instid0(VALU_DEP_1) | instskip(NEXT) | instid1(VALU_DEP_1)
	v_add_nc_u32_e32 v3, v3, v4
	v_add_nc_u32_e32 v3, 0x7fff, v3
	global_store_d16_hi_b16 v[0:1], v3, off
.LBB174_923:
	s_mov_b32 s4, 0
.LBB174_924:
	s_delay_alu instid0(SALU_CYCLE_1)
	s_and_b32 vcc_lo, exec_lo, s4
	s_mov_b32 s4, 0
	s_cbranch_vccz .LBB174_926
; %bb.925:
	v_cmp_ne_u16_e64 s0, 11, v2
	s_mov_b32 s4, -1
.LBB174_926:
	s_delay_alu instid0(VALU_DEP_1)
	s_and_b32 vcc_lo, exec_lo, s0
	s_cbranch_vccnz .LBB174_928
.LBB174_927:
	s_mov_b32 s0, 0
	s_branch .LBB174_684
.LBB174_928:
	s_cbranch_execnz .LBB174_930
; %bb.929:
	s_mov_b32 s4, 0
	s_or_b32 s3, s3, exec_lo
	s_branch .LBB174_927
.LBB174_930:
	s_trap 2
	s_sendmsg_rtn_b32 s0, sendmsg(MSG_RTN_GET_DOORBELL)
	s_mov_b32 ttmp2, m0
	s_waitcnt lgkmcnt(0)
	s_and_b32 s0, s0, 0x3ff
	s_delay_alu instid0(SALU_CYCLE_1) | instskip(NEXT) | instid1(SALU_CYCLE_1)
	s_bitset1_b32 s0, 10
	s_mov_b32 m0, s0
	s_sendmsg sendmsg(MSG_INTERRUPT)
	s_mov_b32 m0, ttmp2
.LBB174_931:                            ; =>This Inner Loop Header: Depth=1
	s_sethalt 5
	s_branch .LBB174_931
	.section	.rodata,"a",@progbits
	.p2align	6, 0x0
	.amdhsa_kernel _ZN2at6native32elementwise_kernel_manual_unrollILi128ELi4EZNS0_15gpu_kernel_implINS0_11FillFunctorImEEEEvRNS_18TensorIteratorBaseERKT_EUlibE_EEviT1_
		.amdhsa_group_segment_fixed_size 0
		.amdhsa_private_segment_fixed_size 0
		.amdhsa_kernarg_size 40
		.amdhsa_user_sgpr_count 15
		.amdhsa_user_sgpr_dispatch_ptr 0
		.amdhsa_user_sgpr_queue_ptr 0
		.amdhsa_user_sgpr_kernarg_segment_ptr 1
		.amdhsa_user_sgpr_dispatch_id 0
		.amdhsa_user_sgpr_private_segment_size 0
		.amdhsa_wavefront_size32 1
		.amdhsa_uses_dynamic_stack 0
		.amdhsa_enable_private_segment 0
		.amdhsa_system_sgpr_workgroup_id_x 1
		.amdhsa_system_sgpr_workgroup_id_y 0
		.amdhsa_system_sgpr_workgroup_id_z 0
		.amdhsa_system_sgpr_workgroup_info 0
		.amdhsa_system_vgpr_workitem_id 0
		.amdhsa_next_free_vgpr 25
		.amdhsa_next_free_sgpr 29
		.amdhsa_reserve_vcc 1
		.amdhsa_float_round_mode_32 0
		.amdhsa_float_round_mode_16_64 0
		.amdhsa_float_denorm_mode_32 3
		.amdhsa_float_denorm_mode_16_64 3
		.amdhsa_dx10_clamp 1
		.amdhsa_ieee_mode 1
		.amdhsa_fp16_overflow 0
		.amdhsa_workgroup_processor_mode 1
		.amdhsa_memory_ordered 1
		.amdhsa_forward_progress 0
		.amdhsa_shared_vgpr_count 0
		.amdhsa_exception_fp_ieee_invalid_op 0
		.amdhsa_exception_fp_denorm_src 0
		.amdhsa_exception_fp_ieee_div_zero 0
		.amdhsa_exception_fp_ieee_overflow 0
		.amdhsa_exception_fp_ieee_underflow 0
		.amdhsa_exception_fp_ieee_inexact 0
		.amdhsa_exception_int_div_zero 0
	.end_amdhsa_kernel
	.section	.text._ZN2at6native32elementwise_kernel_manual_unrollILi128ELi4EZNS0_15gpu_kernel_implINS0_11FillFunctorImEEEEvRNS_18TensorIteratorBaseERKT_EUlibE_EEviT1_,"axG",@progbits,_ZN2at6native32elementwise_kernel_manual_unrollILi128ELi4EZNS0_15gpu_kernel_implINS0_11FillFunctorImEEEEvRNS_18TensorIteratorBaseERKT_EUlibE_EEviT1_,comdat
.Lfunc_end174:
	.size	_ZN2at6native32elementwise_kernel_manual_unrollILi128ELi4EZNS0_15gpu_kernel_implINS0_11FillFunctorImEEEEvRNS_18TensorIteratorBaseERKT_EUlibE_EEviT1_, .Lfunc_end174-_ZN2at6native32elementwise_kernel_manual_unrollILi128ELi4EZNS0_15gpu_kernel_implINS0_11FillFunctorImEEEEvRNS_18TensorIteratorBaseERKT_EUlibE_EEviT1_
                                        ; -- End function
	.section	.AMDGPU.csdata,"",@progbits
; Kernel info:
; codeLenInByte = 15200
; NumSgprs: 31
; NumVgprs: 25
; ScratchSize: 0
; MemoryBound: 0
; FloatMode: 240
; IeeeMode: 1
; LDSByteSize: 0 bytes/workgroup (compile time only)
; SGPRBlocks: 3
; VGPRBlocks: 3
; NumSGPRsForWavesPerEU: 31
; NumVGPRsForWavesPerEU: 25
; Occupancy: 16
; WaveLimiterHint : 0
; COMPUTE_PGM_RSRC2:SCRATCH_EN: 0
; COMPUTE_PGM_RSRC2:USER_SGPR: 15
; COMPUTE_PGM_RSRC2:TRAP_HANDLER: 0
; COMPUTE_PGM_RSRC2:TGID_X_EN: 1
; COMPUTE_PGM_RSRC2:TGID_Y_EN: 0
; COMPUTE_PGM_RSRC2:TGID_Z_EN: 0
; COMPUTE_PGM_RSRC2:TIDIG_COMP_CNT: 0
	.section	.text._ZN2at6native32elementwise_kernel_manual_unrollILi128ELi4EZNS0_15gpu_kernel_implINS0_11FillFunctorImEEEEvRNS_18TensorIteratorBaseERKT_EUlibE0_EEviT1_,"axG",@progbits,_ZN2at6native32elementwise_kernel_manual_unrollILi128ELi4EZNS0_15gpu_kernel_implINS0_11FillFunctorImEEEEvRNS_18TensorIteratorBaseERKT_EUlibE0_EEviT1_,comdat
	.protected	_ZN2at6native32elementwise_kernel_manual_unrollILi128ELi4EZNS0_15gpu_kernel_implINS0_11FillFunctorImEEEEvRNS_18TensorIteratorBaseERKT_EUlibE0_EEviT1_ ; -- Begin function _ZN2at6native32elementwise_kernel_manual_unrollILi128ELi4EZNS0_15gpu_kernel_implINS0_11FillFunctorImEEEEvRNS_18TensorIteratorBaseERKT_EUlibE0_EEviT1_
	.globl	_ZN2at6native32elementwise_kernel_manual_unrollILi128ELi4EZNS0_15gpu_kernel_implINS0_11FillFunctorImEEEEvRNS_18TensorIteratorBaseERKT_EUlibE0_EEviT1_
	.p2align	8
	.type	_ZN2at6native32elementwise_kernel_manual_unrollILi128ELi4EZNS0_15gpu_kernel_implINS0_11FillFunctorImEEEEvRNS_18TensorIteratorBaseERKT_EUlibE0_EEviT1_,@function
_ZN2at6native32elementwise_kernel_manual_unrollILi128ELi4EZNS0_15gpu_kernel_implINS0_11FillFunctorImEEEEvRNS_18TensorIteratorBaseERKT_EUlibE0_EEviT1_: ; @_ZN2at6native32elementwise_kernel_manual_unrollILi128ELi4EZNS0_15gpu_kernel_implINS0_11FillFunctorImEEEEvRNS_18TensorIteratorBaseERKT_EUlibE0_EEviT1_
; %bb.0:
	s_clause 0x1
	s_load_b32 s11, s[0:1], 0x8
	s_load_b32 s39, s[0:1], 0x0
	v_lshl_or_b32 v9, s15, 9, v0
	s_or_b32 s0, s0, 8
	s_mov_b32 s26, -1
	s_mov_b32 s31, 0
	s_mov_b32 s6, 0
	v_or_b32_e32 v4, 0x180, v9
	s_mov_b32 s2, exec_lo
	s_waitcnt lgkmcnt(0)
	s_add_i32 s30, s11, -1
	s_delay_alu instid0(SALU_CYCLE_1)
	s_cmp_gt_u32 s30, 1
	s_cselect_b32 s33, -1, 0
	v_cmpx_le_i32_e64 s39, v4
	s_xor_b32 s34, exec_lo, s2
	s_cbranch_execz .LBB175_159
; %bb.1:
	s_clause 0x1
	s_load_b128 s[12:15], s[0:1], 0x108
	s_load_b64 s[20:21], s[0:1], 0xc4
	s_cmp_lg_u32 s11, 0
	s_clause 0x1
	s_load_b128 s[16:19], s[0:1], 0x4
	s_load_b64 s[22:23], s[0:1], 0x14
	s_cselect_b32 s41, -1, 0
	s_add_u32 s24, s0, 0xc4
	s_addc_u32 s25, s1, 0
	s_min_u32 s40, s30, 15
	s_cmp_gt_u32 s11, 1
	s_load_b32 s37, s[0:1], 0x118
	s_cselect_b32 s38, -1, 0
	s_mov_b32 s44, 0
	s_mov_b32 s42, 0
	s_mov_b32 s43, exec_lo
	s_waitcnt lgkmcnt(0)
	v_cvt_f64_u32_e32 v[0:1], s15
	s_clz_i32_u32 s2, s15
	s_delay_alu instid0(SALU_CYCLE_1) | instskip(NEXT) | instid1(SALU_CYCLE_1)
	s_min_u32 s4, s2, 32
	s_lshl_b64 s[2:3], s[14:15], s4
	s_delay_alu instid0(SALU_CYCLE_1) | instskip(NEXT) | instid1(SALU_CYCLE_1)
	s_min_u32 s2, s2, 1
	s_or_b32 s2, s3, s2
	s_delay_alu instid0(SALU_CYCLE_1)
	v_cvt_f32_u32_e32 v2, s2
	s_sub_i32 s2, 32, s4
	s_delay_alu instid0(VALU_DEP_1) | instid1(SALU_CYCLE_1)
	v_ldexp_f32 v4, v2, s2
	v_cvt_f64_u32_e32 v[2:3], s14
	s_delay_alu instid0(VALU_DEP_2)
	v_lshrrev_b32_e32 v5, 23, v4
	v_and_b32_e32 v6, 0x3fffff, v4
	v_and_b32_e32 v7, 0x400000, v4
	v_cvt_f16_f32_e32 v8, v4
	v_cmp_gt_u32_e64 s9, 0x43800000, v4
	v_cmp_eq_u32_e64 s10, 0xff, v5
	v_or_b32_e32 v6, v5, v6
	v_cmp_ne_u32_e32 vcc_lo, 0, v7
	v_cmp_lt_u32_e64 s8, 0x3bffffff, v4
	v_cmp_gt_u32_e64 s7, 0x47800000, v4
	v_cmp_lt_u32_e64 s6, 0x37ffffff, v4
	v_cmp_ne_u32_e64 s2, 0, v6
	v_bfe_u32 v6, v4, 20, 1
	v_add_f32_e32 v21, 0x46000000, v4
	v_cmp_lt_u32_e64 s4, 0x43efffff, v4
	v_cmp_gt_u32_e64 s5, 0x3c800000, v4
	s_and_b32 s2, vcc_lo, s2
	v_add_nc_u32_e32 v6, v4, v6
	v_ldexp_f64 v[0:1], v[0:1], 32
	v_cndmask_b32_e64 v7, 0, 1, s2
	v_readfirstlane_b32 s2, v21
	v_add_f32_e32 v16, 0x42800000, v4
	v_and_b32_e32 v10, 0xffff, v8
	s_delay_alu instid0(VALU_DEP_4)
	v_dual_add_f32 v18, 0x46800000, v4 :: v_dual_add_nc_u32 v23, v5, v7
	v_add_nc_u32_e32 v5, 0x487ffff, v6
	v_bfe_u32 v7, v4, 21, 1
	v_readfirstlane_b32 s3, v16
	s_and_b32 s2, s2, 0xff
	v_add_f32_e32 v14, 0x43000000, v4
	v_lshrrev_b32_e32 v22, 20, v5
	v_add_nc_u32_e32 v5, v4, v7
	s_cmp_lg_u32 s2, 0
	v_cmp_lt_u32_e64 s2, 0x477fffff, v4
	s_cselect_b32 s36, -1, 0
	s_and_b32 s3, s3, 0xff
	s_delay_alu instid0(SALU_CYCLE_1) | instskip(SKIP_4) | instid1(SALU_CYCLE_1)
	s_cmp_lg_u32 s3, 0
	v_cmp_gt_u32_e64 s3, 0x38800000, v4
	s_cselect_b32 s35, -1, 0
	s_cmp_lg_u64 s[14:15], 0
	s_cselect_b32 s27, -1, 0
	v_cndmask_b32_e64 v11, 0, 1, s27
	v_add_f64 v[0:1], v[0:1], v[2:3]
	v_add_nc_u32_e32 v2, 0x88fffff, v5
	v_add_nc_u32_e32 v3, 0x407ffff, v6
	v_bfe_u32 v6, v4, 16, 1
	s_delay_alu instid0(VALU_DEP_3) | instskip(NEXT) | instid1(VALU_DEP_3)
	v_lshrrev_b32_e32 v20, 21, v2
	v_and_b32_e32 v2, 0xff00000, v3
	v_lshrrev_b32_e32 v3, 20, v3
	s_delay_alu instid0(VALU_DEP_2) | instskip(SKIP_2) | instid1(VALU_DEP_4)
	v_cmp_ne_u32_e32 vcc_lo, 0x7f00000, v2
	v_add_nc_u32_e32 v2, 0x80fffff, v5
	v_add_nc_u32_e32 v5, v4, v6
	v_cndmask_b32_e32 v17, 0x7e, v3, vcc_lo
	v_mov_b32_e32 v3, 0x7f
	v_cmp_lt_u32_e32 vcc_lo, 0x7f800000, v4
	v_lshrrev_b32_e32 v13, 21, v2
	v_add_nc_u32_e32 v2, 0x7fff, v5
	s_delay_alu instid0(VALU_DEP_4) | instskip(SKIP_1) | instid1(VALU_DEP_3)
	v_cndmask_b32_e32 v19, 0x7e, v3, vcc_lo
	v_cndmask_b32_e32 v15, 0x7c, v3, vcc_lo
	v_lshrrev_b32_e32 v12, 16, v2
	v_cmpx_gt_i32_e64 s39, v9
	s_cbranch_execz .LBB175_110
; %bb.2:
	s_and_not1_b32 vcc_lo, exec_lo, s33
	s_cbranch_vccnz .LBB175_7
; %bb.3:
	v_mov_b32_e32 v2, 0
	s_and_not1_b32 vcc_lo, exec_lo, s41
	s_cbranch_vccnz .LBB175_12
; %bb.4:
	s_add_i32 s45, s40, 1
	s_cmp_eq_u32 s30, 2
	s_cbranch_scc1 .LBB175_8
; %bb.5:
	v_dual_mov_b32 v2, 0 :: v_dual_mov_b32 v3, v9
	s_and_b32 s42, s45, 28
	s_mov_b32 s46, 0
	s_mov_b64 s[26:27], s[0:1]
	s_mov_b64 s[28:29], s[24:25]
.LBB175_6:                              ; =>This Inner Loop Header: Depth=1
	s_clause 0x1
	s_load_b256 s[48:55], s[26:27], 0x4
	s_load_b128 s[56:59], s[26:27], 0x24
	s_load_b128 s[60:63], s[28:29], 0x0
	s_add_u32 s26, s26, 48
	s_addc_u32 s27, s27, 0
	s_add_i32 s46, s46, 4
	s_add_u32 s28, s28, 16
	s_addc_u32 s29, s29, 0
	s_cmp_lg_u32 s42, s46
	s_waitcnt lgkmcnt(0)
	v_mul_hi_u32 v5, s49, v3
	s_delay_alu instid0(VALU_DEP_1) | instskip(NEXT) | instid1(VALU_DEP_1)
	v_add_nc_u32_e32 v5, v3, v5
	v_lshrrev_b32_e32 v5, s50, v5
	s_delay_alu instid0(VALU_DEP_1) | instskip(SKIP_1) | instid1(VALU_DEP_2)
	v_mul_hi_u32 v6, s52, v5
	v_mul_lo_u32 v25, v5, s48
	v_add_nc_u32_e32 v6, v5, v6
	s_delay_alu instid0(VALU_DEP_2) | instskip(NEXT) | instid1(VALU_DEP_2)
	v_sub_nc_u32_e32 v25, v3, v25
	v_lshrrev_b32_e32 v6, s53, v6
	s_delay_alu instid0(VALU_DEP_2) | instskip(NEXT) | instid1(VALU_DEP_2)
	v_mul_lo_u32 v25, v25, s60
	v_mul_hi_u32 v7, s55, v6
	v_mul_lo_u32 v26, v6, s51
	s_delay_alu instid0(VALU_DEP_2) | instskip(NEXT) | instid1(VALU_DEP_2)
	v_add_nc_u32_e32 v7, v6, v7
	v_sub_nc_u32_e32 v5, v5, v26
	s_delay_alu instid0(VALU_DEP_2) | instskip(NEXT) | instid1(VALU_DEP_2)
	v_lshrrev_b32_e32 v7, s56, v7
	v_mul_lo_u32 v5, v5, s61
	s_delay_alu instid0(VALU_DEP_2) | instskip(NEXT) | instid1(VALU_DEP_2)
	v_mul_hi_u32 v24, s58, v7
	v_add3_u32 v2, v25, v2, v5
	s_delay_alu instid0(VALU_DEP_2) | instskip(NEXT) | instid1(VALU_DEP_1)
	v_add_nc_u32_e32 v24, v7, v24
	v_lshrrev_b32_e32 v3, s59, v24
	v_mul_lo_u32 v24, v7, s54
	s_delay_alu instid0(VALU_DEP_2) | instskip(NEXT) | instid1(VALU_DEP_2)
	v_mul_lo_u32 v27, v3, s57
	v_sub_nc_u32_e32 v6, v6, v24
	s_delay_alu instid0(VALU_DEP_2) | instskip(NEXT) | instid1(VALU_DEP_2)
	v_sub_nc_u32_e32 v7, v7, v27
	v_mul_lo_u32 v6, v6, s62
	s_delay_alu instid0(VALU_DEP_2) | instskip(NEXT) | instid1(VALU_DEP_1)
	v_mul_lo_u32 v7, v7, s63
	v_add3_u32 v2, v6, v2, v7
	s_cbranch_scc1 .LBB175_6
	s_branch .LBB175_9
.LBB175_7:
                                        ; implicit-def: $vgpr2
	s_and_not1_b32 vcc_lo, exec_lo, s26
	s_cbranch_vccz .LBB175_13
	s_branch .LBB175_15
.LBB175_8:
	v_mov_b32_e32 v3, v9
.LBB175_9:
	s_and_b32 s45, s45, 3
	s_delay_alu instid0(SALU_CYCLE_1)
	s_cmp_eq_u32 s45, 0
	s_cbranch_scc1 .LBB175_12
; %bb.10:
	s_lshl_b32 s26, s42, 2
	s_mul_i32 s28, s42, 12
	s_add_u32 s26, s26, s0
	s_addc_u32 s27, s1, 0
	s_add_u32 s26, s26, 0xc4
	s_addc_u32 s27, s27, 0
	;; [unrolled: 2-line block ×3, first 2 shown]
	.p2align	6
.LBB175_11:                             ; =>This Inner Loop Header: Depth=1
	s_clause 0x1
	s_load_b64 s[46:47], s[28:29], 0x4
	s_load_b32 s42, s[28:29], 0xc
	s_add_u32 s28, s28, 12
	s_addc_u32 s29, s29, 0
	s_waitcnt lgkmcnt(0)
	v_mul_hi_u32 v5, s47, v3
	s_load_b32 s47, s[26:27], 0x0
	s_add_u32 s26, s26, 4
	s_addc_u32 s27, s27, 0
	s_add_i32 s45, s45, -1
	s_delay_alu instid0(SALU_CYCLE_1) | instskip(NEXT) | instid1(VALU_DEP_1)
	s_cmp_lg_u32 s45, 0
	v_add_nc_u32_e32 v5, v3, v5
	s_delay_alu instid0(VALU_DEP_1) | instskip(NEXT) | instid1(VALU_DEP_1)
	v_lshrrev_b32_e32 v7, s42, v5
	v_mul_lo_u32 v5, v7, s46
	s_delay_alu instid0(VALU_DEP_1) | instskip(SKIP_1) | instid1(VALU_DEP_1)
	v_sub_nc_u32_e32 v3, v3, v5
	s_waitcnt lgkmcnt(0)
	v_mad_u64_u32 v[5:6], null, v3, s47, v[2:3]
	s_delay_alu instid0(VALU_DEP_1)
	v_dual_mov_b32 v3, v7 :: v_dual_mov_b32 v2, v5
	s_cbranch_scc1 .LBB175_11
.LBB175_12:
	s_cbranch_execnz .LBB175_15
.LBB175_13:
	v_mul_hi_u32 v2, s17, v9
	s_and_not1_b32 vcc_lo, exec_lo, s38
	s_delay_alu instid0(VALU_DEP_1) | instskip(NEXT) | instid1(VALU_DEP_1)
	v_add_nc_u32_e32 v2, v9, v2
	v_lshrrev_b32_e32 v3, s18, v2
	s_delay_alu instid0(VALU_DEP_1) | instskip(NEXT) | instid1(VALU_DEP_1)
	v_mul_lo_u32 v2, v3, s16
	v_sub_nc_u32_e32 v2, v9, v2
	s_delay_alu instid0(VALU_DEP_1)
	v_mul_lo_u32 v2, v2, s20
	s_cbranch_vccnz .LBB175_15
; %bb.14:
	v_mul_hi_u32 v5, s22, v3
	s_delay_alu instid0(VALU_DEP_1) | instskip(NEXT) | instid1(VALU_DEP_1)
	v_add_nc_u32_e32 v5, v3, v5
	v_lshrrev_b32_e32 v5, s23, v5
	s_delay_alu instid0(VALU_DEP_1) | instskip(NEXT) | instid1(VALU_DEP_1)
	v_mul_lo_u32 v5, v5, s19
	v_sub_nc_u32_e32 v3, v3, v5
	s_delay_alu instid0(VALU_DEP_1) | instskip(NEXT) | instid1(VALU_DEP_1)
	v_mad_u64_u32 v[5:6], null, v3, s21, v[2:3]
	v_mov_b32_e32 v2, v5
.LBB175_15:
	v_and_b32_e64 v24, 0xff, s37
	s_delay_alu instid0(VALU_DEP_2) | instskip(NEXT) | instid1(VALU_DEP_1)
	v_add_co_u32 v6, s27, s12, v2
	v_add_co_ci_u32_e64 v7, null, s13, 0, s27
	s_delay_alu instid0(VALU_DEP_3)
	v_cmp_gt_i16_e32 vcc_lo, 11, v24
	s_mov_b32 s26, 0
	s_mov_b32 s28, -1
	s_mov_b32 s27, 0
	s_cbranch_vccnz .LBB175_69
; %bb.16:
	v_cmp_lt_i16_e32 vcc_lo, 25, v24
	s_cbranch_vccz .LBB175_44
; %bb.17:
	v_cmp_lt_i16_e32 vcc_lo, 28, v24
	s_cbranch_vccz .LBB175_30
	;; [unrolled: 3-line block ×4, first 2 shown]
; %bb.20:
	v_cmp_eq_u16_e32 vcc_lo, 46, v24
	s_mov_b32 s28, 0
	s_mov_b32 s26, -1
	s_cbranch_vccz .LBB175_22
; %bb.21:
	s_mov_b32 s27, -1
	s_mov_b32 s26, 0
	global_store_b32 v[6:7], v12, off
.LBB175_22:
	s_and_b32 vcc_lo, exec_lo, s28
	s_cbranch_vccz .LBB175_25
; %bb.23:
	v_cmp_eq_u16_e32 vcc_lo, 44, v24
	s_mov_b32 s26, -1
	s_cbranch_vccz .LBB175_25
; %bb.24:
	v_cndmask_b32_e64 v2, v23, 0xff, s10
	s_mov_b32 s27, -1
	s_mov_b32 s26, 0
	global_store_b8 v[6:7], v2, off
.LBB175_25:
	s_mov_b32 s28, 0
.LBB175_26:
	s_delay_alu instid0(SALU_CYCLE_1)
	s_and_b32 vcc_lo, exec_lo, s28
	s_cbranch_vccz .LBB175_29
; %bb.27:
	v_cmp_eq_u16_e32 vcc_lo, 29, v24
	s_mov_b32 s26, -1
	s_cbranch_vccz .LBB175_29
; %bb.28:
	v_dual_mov_b32 v2, s14 :: v_dual_mov_b32 v3, s15
	s_mov_b32 s27, -1
	s_mov_b32 s26, 0
	global_store_b64 v[6:7], v[2:3], off
.LBB175_29:
	s_mov_b32 s28, 0
.LBB175_30:
	s_delay_alu instid0(SALU_CYCLE_1)
	s_and_b32 vcc_lo, exec_lo, s28
	s_cbranch_vccz .LBB175_43
; %bb.31:
	v_cmp_gt_i16_e32 vcc_lo, 27, v24
	s_mov_b32 s27, -1
	s_cbranch_vccnz .LBB175_37
; %bb.32:
	v_cmp_lt_i16_e32 vcc_lo, 27, v24
	s_cbranch_vccz .LBB175_34
; %bb.33:
	v_mov_b32_e32 v2, s14
	s_mov_b32 s27, 0
	global_store_b32 v[6:7], v2, off
.LBB175_34:
	s_and_not1_b32 vcc_lo, exec_lo, s27
	s_cbranch_vccnz .LBB175_36
; %bb.35:
	v_mov_b32_e32 v2, s14
	global_store_b16 v[6:7], v2, off
.LBB175_36:
	s_mov_b32 s27, 0
.LBB175_37:
	s_delay_alu instid0(SALU_CYCLE_1)
	s_and_not1_b32 vcc_lo, exec_lo, s27
	s_cbranch_vccnz .LBB175_42
; %bb.38:
	v_mov_b32_e32 v2, 0x80
	s_and_not1_b32 vcc_lo, exec_lo, s9
	s_cbranch_vccnz .LBB175_41
; %bb.39:
	v_mov_b32_e32 v2, 0
	s_or_b32 s27, s8, s36
	s_delay_alu instid0(SALU_CYCLE_1)
	s_and_not1_b32 vcc_lo, exec_lo, s27
	s_cbranch_vccnz .LBB175_41
; %bb.40:
	v_cndmask_b32_e64 v2, v21, v22, s8
.LBB175_41:
	global_store_b8 v[6:7], v2, off
.LBB175_42:
	s_mov_b32 s27, -1
.LBB175_43:
	s_mov_b32 s28, 0
.LBB175_44:
	s_delay_alu instid0(SALU_CYCLE_1)
	s_and_b32 vcc_lo, exec_lo, s28
	s_cbranch_vccz .LBB175_66
; %bb.45:
	v_cmp_lt_i16_e32 vcc_lo, 22, v24
	s_mov_b32 s28, -1
	s_cbranch_vccz .LBB175_58
; %bb.46:
	v_cmp_gt_i16_e32 vcc_lo, 24, v24
	s_mov_b32 s27, -1
	s_cbranch_vccnz .LBB175_55
; %bb.47:
	v_cmp_lt_i16_e32 vcc_lo, 24, v24
	s_cbranch_vccz .LBB175_52
; %bb.48:
	v_mov_b32_e32 v2, 0x80
	s_and_not1_b32 vcc_lo, exec_lo, s7
	s_cbranch_vccnz .LBB175_51
; %bb.49:
	v_mov_b32_e32 v2, 0
	s_or_b32 s27, s6, s35
	s_delay_alu instid0(SALU_CYCLE_1)
	s_and_not1_b32 vcc_lo, exec_lo, s27
	s_cbranch_vccnz .LBB175_51
; %bb.50:
	v_cndmask_b32_e64 v2, v16, v20, s6
.LBB175_51:
	s_mov_b32 s27, 0
	global_store_b8 v[6:7], v2, off
.LBB175_52:
	s_and_b32 vcc_lo, exec_lo, s27
	s_cbranch_vccz .LBB175_54
; %bb.53:
	v_cndmask_b32_e64 v2, v17, v18, s5
	s_delay_alu instid0(VALU_DEP_1)
	v_cndmask_b32_e64 v2, v2, v19, s4
	global_store_b8 v[6:7], v2, off
.LBB175_54:
	s_mov_b32 s27, 0
.LBB175_55:
	s_delay_alu instid0(SALU_CYCLE_1)
	s_and_not1_b32 vcc_lo, exec_lo, s27
	s_cbranch_vccnz .LBB175_57
; %bb.56:
	v_cndmask_b32_e64 v2, v13, v14, s3
	s_delay_alu instid0(VALU_DEP_1)
	v_cndmask_b32_e64 v2, v2, v15, s2
	global_store_b8 v[6:7], v2, off
.LBB175_57:
	s_mov_b32 s28, 0
	s_mov_b32 s27, -1
.LBB175_58:
	s_and_not1_b32 vcc_lo, exec_lo, s28
	s_cbranch_vccnz .LBB175_66
; %bb.59:
	v_cmp_lt_i16_e32 vcc_lo, 14, v24
	s_mov_b32 s28, -1
	s_cbranch_vccz .LBB175_63
; %bb.60:
	v_cmp_eq_u16_e32 vcc_lo, 15, v24
	s_mov_b32 s26, -1
	s_cbranch_vccz .LBB175_62
; %bb.61:
	s_mov_b32 s27, -1
	s_mov_b32 s26, 0
	global_store_b16 v[6:7], v12, off
.LBB175_62:
	s_mov_b32 s28, 0
.LBB175_63:
	s_delay_alu instid0(SALU_CYCLE_1)
	s_and_b32 vcc_lo, exec_lo, s28
	s_cbranch_vccz .LBB175_66
; %bb.64:
	v_cmp_eq_u16_e32 vcc_lo, 11, v24
	s_mov_b32 s26, -1
	s_cbranch_vccz .LBB175_66
; %bb.65:
	s_mov_b32 s27, -1
	s_mov_b32 s26, 0
	global_store_b8 v[6:7], v11, off
.LBB175_66:
.LBB175_67:
	s_and_not1_b32 vcc_lo, exec_lo, s27
	s_cbranch_vccnz .LBB175_108
.LBB175_68:
	v_add_nc_u32_e32 v9, 0x80, v9
	s_mov_b32 s27, -1
	s_branch .LBB175_109
.LBB175_69:
	s_and_b32 vcc_lo, exec_lo, s28
	s_cbranch_vccz .LBB175_67
; %bb.70:
	v_cmp_gt_i16_e32 vcc_lo, 5, v24
	s_mov_b32 s27, -1
	s_cbranch_vccnz .LBB175_91
; %bb.71:
	v_cmp_gt_i16_e32 vcc_lo, 8, v24
	s_cbranch_vccnz .LBB175_81
; %bb.72:
	v_cmp_gt_i16_e32 vcc_lo, 9, v24
	s_cbranch_vccnz .LBB175_78
; %bb.73:
	v_cmp_lt_i16_e32 vcc_lo, 9, v24
	s_cbranch_vccz .LBB175_75
; %bb.74:
	v_mov_b32_e32 v2, 0
	s_mov_b32 s27, 0
	s_delay_alu instid0(VALU_DEP_1)
	v_mov_b32_e32 v3, v2
	global_store_b128 v[6:7], v[0:3], off
.LBB175_75:
	s_and_not1_b32 vcc_lo, exec_lo, s27
	s_cbranch_vccnz .LBB175_77
; %bb.76:
	v_mov_b32_e32 v5, 0
	global_store_b64 v[6:7], v[4:5], off
.LBB175_77:
	s_mov_b32 s27, 0
.LBB175_78:
	s_delay_alu instid0(SALU_CYCLE_1)
	s_and_not1_b32 vcc_lo, exec_lo, s27
	s_cbranch_vccnz .LBB175_80
; %bb.79:
	global_store_b32 v[6:7], v10, off
.LBB175_80:
	s_mov_b32 s27, 0
.LBB175_81:
	s_delay_alu instid0(SALU_CYCLE_1)
	s_and_not1_b32 vcc_lo, exec_lo, s27
	s_cbranch_vccnz .LBB175_90
; %bb.82:
	v_cmp_gt_i16_e32 vcc_lo, 6, v24
	s_mov_b32 s27, -1
	s_cbranch_vccnz .LBB175_88
; %bb.83:
	v_cmp_lt_i16_e32 vcc_lo, 6, v24
	s_cbranch_vccz .LBB175_85
; %bb.84:
	s_mov_b32 s27, 0
	global_store_b64 v[6:7], v[0:1], off
.LBB175_85:
	s_and_not1_b32 vcc_lo, exec_lo, s27
	s_cbranch_vccnz .LBB175_87
; %bb.86:
	global_store_b32 v[6:7], v4, off
.LBB175_87:
	s_mov_b32 s27, 0
.LBB175_88:
	s_delay_alu instid0(SALU_CYCLE_1)
	s_and_not1_b32 vcc_lo, exec_lo, s27
	s_cbranch_vccnz .LBB175_90
; %bb.89:
	global_store_b16 v[6:7], v8, off
.LBB175_90:
	s_mov_b32 s27, 0
.LBB175_91:
	s_delay_alu instid0(SALU_CYCLE_1)
	s_and_not1_b32 vcc_lo, exec_lo, s27
	s_cbranch_vccnz .LBB175_107
; %bb.92:
	v_cmp_gt_i16_e32 vcc_lo, 2, v24
	s_mov_b32 s27, -1
	s_cbranch_vccnz .LBB175_102
; %bb.93:
	v_cmp_gt_i16_e32 vcc_lo, 3, v24
	s_cbranch_vccnz .LBB175_99
; %bb.94:
	v_cmp_lt_i16_e32 vcc_lo, 3, v24
	s_cbranch_vccz .LBB175_96
; %bb.95:
	v_dual_mov_b32 v2, s14 :: v_dual_mov_b32 v3, s15
	s_mov_b32 s27, 0
	global_store_b64 v[6:7], v[2:3], off
.LBB175_96:
	s_and_not1_b32 vcc_lo, exec_lo, s27
	s_cbranch_vccnz .LBB175_98
; %bb.97:
	v_mov_b32_e32 v2, s14
	global_store_b32 v[6:7], v2, off
.LBB175_98:
	s_mov_b32 s27, 0
.LBB175_99:
	s_delay_alu instid0(SALU_CYCLE_1)
	s_and_not1_b32 vcc_lo, exec_lo, s27
	s_cbranch_vccnz .LBB175_101
; %bb.100:
	v_mov_b32_e32 v2, s14
	global_store_b16 v[6:7], v2, off
.LBB175_101:
	s_mov_b32 s27, 0
.LBB175_102:
	s_delay_alu instid0(SALU_CYCLE_1)
	s_and_not1_b32 vcc_lo, exec_lo, s27
	s_cbranch_vccnz .LBB175_107
; %bb.103:
	v_cmp_lt_i16_e32 vcc_lo, 0, v24
	s_mov_b32 s27, -1
	s_cbranch_vccz .LBB175_105
; %bb.104:
	v_mov_b32_e32 v2, s14
	s_mov_b32 s27, 0
	global_store_b8 v[6:7], v2, off
.LBB175_105:
	s_and_not1_b32 vcc_lo, exec_lo, s27
	s_cbranch_vccnz .LBB175_107
; %bb.106:
	v_mov_b32_e32 v2, s14
	global_store_b8 v[6:7], v2, off
.LBB175_107:
	s_branch .LBB175_68
.LBB175_108:
	s_mov_b32 s27, 0
                                        ; implicit-def: $vgpr9
.LBB175_109:
	s_and_b32 s42, s26, exec_lo
	s_or_not1_b32 s26, s27, exec_lo
.LBB175_110:
	s_or_b32 exec_lo, exec_lo, s43
	s_mov_b32 s27, 0
                                        ; implicit-def: $vgpr24
                                        ; implicit-def: $vgpr6_vgpr7
	s_and_saveexec_b32 s43, s26
	s_cbranch_execz .LBB175_117
; %bb.111:
	s_mov_b32 s28, -1
	s_mov_b32 s44, s42
	s_mov_b32 s45, exec_lo
	v_cmpx_gt_i32_e64 s39, v9
	s_cbranch_execz .LBB175_364
; %bb.112:
	s_and_not1_b32 vcc_lo, exec_lo, s33
	s_cbranch_vccnz .LBB175_219
; %bb.113:
	v_mov_b32_e32 v2, 0
	s_and_not1_b32 vcc_lo, exec_lo, s41
	s_cbranch_vccnz .LBB175_226
; %bb.114:
	s_add_i32 s46, s40, 1
	s_cmp_eq_u32 s30, 2
	s_mov_b32 s44, 0
	s_cbranch_scc1 .LBB175_222
; %bb.115:
	v_dual_mov_b32 v2, 0 :: v_dual_mov_b32 v3, v9
	s_and_b32 s44, s46, 28
	s_mov_b32 s47, 0
	s_mov_b64 s[26:27], s[0:1]
	s_mov_b64 s[28:29], s[24:25]
.LBB175_116:                            ; =>This Inner Loop Header: Depth=1
	s_clause 0x1
	s_load_b256 s[48:55], s[26:27], 0x4
	s_load_b128 s[56:59], s[26:27], 0x24
	s_load_b128 s[60:63], s[28:29], 0x0
	s_add_u32 s26, s26, 48
	s_addc_u32 s27, s27, 0
	s_add_i32 s47, s47, 4
	s_add_u32 s28, s28, 16
	s_addc_u32 s29, s29, 0
	s_cmp_eq_u32 s44, s47
	s_waitcnt lgkmcnt(0)
	v_mul_hi_u32 v5, s49, v3
	s_delay_alu instid0(VALU_DEP_1) | instskip(NEXT) | instid1(VALU_DEP_1)
	v_add_nc_u32_e32 v5, v3, v5
	v_lshrrev_b32_e32 v5, s50, v5
	s_delay_alu instid0(VALU_DEP_1) | instskip(SKIP_1) | instid1(VALU_DEP_2)
	v_mul_hi_u32 v6, s52, v5
	v_mul_lo_u32 v25, v5, s48
	v_add_nc_u32_e32 v6, v5, v6
	s_delay_alu instid0(VALU_DEP_2) | instskip(NEXT) | instid1(VALU_DEP_2)
	v_sub_nc_u32_e32 v25, v3, v25
	v_lshrrev_b32_e32 v6, s53, v6
	s_delay_alu instid0(VALU_DEP_2) | instskip(NEXT) | instid1(VALU_DEP_2)
	v_mul_lo_u32 v25, v25, s60
	v_mul_hi_u32 v7, s55, v6
	v_mul_lo_u32 v26, v6, s51
	s_delay_alu instid0(VALU_DEP_2) | instskip(NEXT) | instid1(VALU_DEP_2)
	v_add_nc_u32_e32 v7, v6, v7
	v_sub_nc_u32_e32 v5, v5, v26
	s_delay_alu instid0(VALU_DEP_2) | instskip(NEXT) | instid1(VALU_DEP_2)
	v_lshrrev_b32_e32 v7, s56, v7
	v_mul_lo_u32 v5, v5, s61
	s_delay_alu instid0(VALU_DEP_2) | instskip(NEXT) | instid1(VALU_DEP_2)
	v_mul_hi_u32 v24, s58, v7
	v_add3_u32 v2, v25, v2, v5
	s_delay_alu instid0(VALU_DEP_2) | instskip(NEXT) | instid1(VALU_DEP_1)
	v_add_nc_u32_e32 v24, v7, v24
	v_lshrrev_b32_e32 v3, s59, v24
	v_mul_lo_u32 v24, v7, s54
	s_delay_alu instid0(VALU_DEP_2) | instskip(NEXT) | instid1(VALU_DEP_2)
	v_mul_lo_u32 v27, v3, s57
	v_sub_nc_u32_e32 v6, v6, v24
	s_delay_alu instid0(VALU_DEP_2) | instskip(NEXT) | instid1(VALU_DEP_2)
	v_sub_nc_u32_e32 v7, v7, v27
	v_mul_lo_u32 v6, v6, s62
	s_delay_alu instid0(VALU_DEP_2) | instskip(NEXT) | instid1(VALU_DEP_1)
	v_mul_lo_u32 v7, v7, s63
	v_add3_u32 v2, v6, v2, v7
	s_cbranch_scc0 .LBB175_116
	s_branch .LBB175_223
.LBB175_117:
	s_or_b32 exec_lo, exec_lo, s43
	s_mov_b32 s2, 0
	s_and_saveexec_b32 s3, s42
	s_cbranch_execnz .LBB175_682
.LBB175_118:
	s_or_b32 exec_lo, exec_lo, s3
	s_and_saveexec_b32 s3, s44
	s_delay_alu instid0(SALU_CYCLE_1)
	s_xor_b32 s3, exec_lo, s3
	s_cbranch_execz .LBB175_120
.LBB175_119:
	global_store_b8 v[6:7], v11, off
.LBB175_120:
	s_or_b32 exec_lo, exec_lo, s3
	s_and_saveexec_b32 s3, s27
	s_delay_alu instid0(SALU_CYCLE_1)
	s_xor_b32 s3, exec_lo, s3
	s_cbranch_execz .LBB175_158
; %bb.121:
	v_cmp_gt_i16_e32 vcc_lo, 5, v24
	s_mov_b32 s4, -1
	s_cbranch_vccnz .LBB175_142
; %bb.122:
	v_cmp_gt_i16_e32 vcc_lo, 8, v24
	s_cbranch_vccnz .LBB175_132
; %bb.123:
	v_cmp_gt_i16_e32 vcc_lo, 9, v24
	s_cbranch_vccnz .LBB175_129
; %bb.124:
	v_cmp_lt_i16_e32 vcc_lo, 9, v24
	s_cbranch_vccz .LBB175_126
; %bb.125:
	v_mov_b32_e32 v2, 0
	s_mov_b32 s4, 0
	s_delay_alu instid0(VALU_DEP_1)
	v_mov_b32_e32 v3, v2
	global_store_b128 v[6:7], v[0:3], off
.LBB175_126:
	s_and_not1_b32 vcc_lo, exec_lo, s4
	s_cbranch_vccnz .LBB175_128
; %bb.127:
	v_mov_b32_e32 v5, 0
	global_store_b64 v[6:7], v[4:5], off
.LBB175_128:
	s_mov_b32 s4, 0
.LBB175_129:
	s_delay_alu instid0(SALU_CYCLE_1)
	s_and_not1_b32 vcc_lo, exec_lo, s4
	s_cbranch_vccnz .LBB175_131
; %bb.130:
	global_store_b32 v[6:7], v10, off
.LBB175_131:
	s_mov_b32 s4, 0
.LBB175_132:
	s_delay_alu instid0(SALU_CYCLE_1)
	s_and_not1_b32 vcc_lo, exec_lo, s4
	s_cbranch_vccnz .LBB175_141
; %bb.133:
	v_cmp_gt_i16_e32 vcc_lo, 6, v24
	s_mov_b32 s4, -1
	s_cbranch_vccnz .LBB175_139
; %bb.134:
	v_cmp_lt_i16_e32 vcc_lo, 6, v24
	s_cbranch_vccz .LBB175_136
; %bb.135:
	s_mov_b32 s4, 0
	global_store_b64 v[6:7], v[0:1], off
.LBB175_136:
	s_and_not1_b32 vcc_lo, exec_lo, s4
	s_cbranch_vccnz .LBB175_138
; %bb.137:
	global_store_b32 v[6:7], v4, off
.LBB175_138:
	s_mov_b32 s4, 0
.LBB175_139:
	s_delay_alu instid0(SALU_CYCLE_1)
	s_and_not1_b32 vcc_lo, exec_lo, s4
	s_cbranch_vccnz .LBB175_141
; %bb.140:
	global_store_b16 v[6:7], v8, off
.LBB175_141:
	s_mov_b32 s4, 0
.LBB175_142:
	s_delay_alu instid0(SALU_CYCLE_1)
	s_and_not1_b32 vcc_lo, exec_lo, s4
	s_cbranch_vccnz .LBB175_158
; %bb.143:
	v_cmp_gt_i16_e32 vcc_lo, 2, v24
	s_mov_b32 s4, -1
	s_cbranch_vccnz .LBB175_153
; %bb.144:
	v_cmp_gt_i16_e32 vcc_lo, 3, v24
	s_cbranch_vccnz .LBB175_150
; %bb.145:
	v_cmp_lt_i16_e32 vcc_lo, 3, v24
	s_cbranch_vccz .LBB175_147
; %bb.146:
	v_dual_mov_b32 v0, s14 :: v_dual_mov_b32 v1, s15
	s_mov_b32 s4, 0
	global_store_b64 v[6:7], v[0:1], off
.LBB175_147:
	s_and_not1_b32 vcc_lo, exec_lo, s4
	s_cbranch_vccnz .LBB175_149
; %bb.148:
	v_mov_b32_e32 v0, s14
	global_store_b32 v[6:7], v0, off
.LBB175_149:
	s_mov_b32 s4, 0
.LBB175_150:
	s_delay_alu instid0(SALU_CYCLE_1)
	s_and_not1_b32 vcc_lo, exec_lo, s4
	s_cbranch_vccnz .LBB175_152
; %bb.151:
	v_mov_b32_e32 v0, s14
	global_store_b16 v[6:7], v0, off
.LBB175_152:
	s_mov_b32 s4, 0
.LBB175_153:
	s_delay_alu instid0(SALU_CYCLE_1)
	s_and_not1_b32 vcc_lo, exec_lo, s4
	s_cbranch_vccnz .LBB175_158
; %bb.154:
	v_cmp_lt_i16_e32 vcc_lo, 0, v24
	s_mov_b32 s4, -1
	s_cbranch_vccz .LBB175_156
; %bb.155:
	v_mov_b32_e32 v0, s14
	s_mov_b32 s4, 0
	global_store_b8 v[6:7], v0, off
.LBB175_156:
	s_and_not1_b32 vcc_lo, exec_lo, s4
	s_cbranch_vccnz .LBB175_158
; %bb.157:
	v_mov_b32_e32 v0, s14
	global_store_b8 v[6:7], v0, off
.LBB175_158:
	s_or_b32 exec_lo, exec_lo, s3
	s_delay_alu instid0(SALU_CYCLE_1)
	s_and_b32 s6, s2, exec_lo
                                        ; implicit-def: $vgpr4
                                        ; implicit-def: $vgpr9
.LBB175_159:
	s_or_saveexec_b32 s7, s34
	s_mov_b32 s9, 0
                                        ; implicit-def: $sgpr4
                                        ; implicit-def: $vgpr0_vgpr1
                                        ; implicit-def: $sgpr2_sgpr3
	s_xor_b32 exec_lo, exec_lo, s7
	s_cbranch_execz .LBB175_912
; %bb.160:
	v_cndmask_b32_e64 v0, 0, 1, s33
	s_and_not1_b32 vcc_lo, exec_lo, s33
	s_cbranch_vccnz .LBB175_166
; %bb.161:
	v_mov_b32_e32 v3, 0
	s_cmp_eq_u32 s11, 0
	s_mov_b32 s8, 0
	s_cbranch_scc1 .LBB175_170
; %bb.162:
	s_min_u32 s9, s30, 15
	v_mov_b32_e32 v3, 0
	s_add_i32 s9, s9, 1
	s_cmp_eq_u32 s30, 2
	s_mov_b32 s10, 0
	s_cbranch_scc1 .LBB175_167
; %bb.163:
	v_mov_b32_e32 v3, 0
	v_mov_b32_e32 v1, v9
	s_add_u32 s2, s0, 0xc4
	s_addc_u32 s3, s1, 0
	s_and_b32 s10, s9, 28
	s_mov_b32 s12, 0
	s_mov_b64 s[4:5], s[0:1]
.LBB175_164:                            ; =>This Inner Loop Header: Depth=1
	s_clause 0x1
	s_load_b256 s[16:23], s[4:5], 0x4
	s_load_b128 s[24:27], s[4:5], 0x24
	s_load_b128 s[36:39], s[2:3], 0x0
	s_add_u32 s4, s4, 48
	s_addc_u32 s5, s5, 0
	s_add_i32 s12, s12, 4
	s_add_u32 s2, s2, 16
	s_addc_u32 s3, s3, 0
	s_cmp_lg_u32 s10, s12
	s_waitcnt lgkmcnt(0)
	v_mul_hi_u32 v2, s17, v1
	s_delay_alu instid0(VALU_DEP_1) | instskip(NEXT) | instid1(VALU_DEP_1)
	v_add_nc_u32_e32 v2, v1, v2
	v_lshrrev_b32_e32 v2, s18, v2
	s_delay_alu instid0(VALU_DEP_1) | instskip(SKIP_1) | instid1(VALU_DEP_2)
	v_mul_hi_u32 v5, s20, v2
	v_mul_lo_u32 v8, v2, s16
	v_add_nc_u32_e32 v5, v2, v5
	s_delay_alu instid0(VALU_DEP_2) | instskip(NEXT) | instid1(VALU_DEP_2)
	v_sub_nc_u32_e32 v8, v1, v8
	v_lshrrev_b32_e32 v5, s21, v5
	s_delay_alu instid0(VALU_DEP_2) | instskip(NEXT) | instid1(VALU_DEP_2)
	v_mul_lo_u32 v8, v8, s36
	v_mul_hi_u32 v6, s23, v5
	v_mul_lo_u32 v10, v5, s19
	s_delay_alu instid0(VALU_DEP_2) | instskip(NEXT) | instid1(VALU_DEP_2)
	v_add_nc_u32_e32 v6, v5, v6
	v_sub_nc_u32_e32 v2, v2, v10
	s_delay_alu instid0(VALU_DEP_2) | instskip(NEXT) | instid1(VALU_DEP_2)
	v_lshrrev_b32_e32 v6, s24, v6
	v_mul_lo_u32 v2, v2, s37
	s_delay_alu instid0(VALU_DEP_2) | instskip(NEXT) | instid1(VALU_DEP_2)
	v_mul_hi_u32 v7, s26, v6
	v_add3_u32 v2, v8, v3, v2
	s_delay_alu instid0(VALU_DEP_2) | instskip(NEXT) | instid1(VALU_DEP_1)
	v_add_nc_u32_e32 v7, v6, v7
	v_lshrrev_b32_e32 v1, s27, v7
	v_mul_lo_u32 v7, v6, s22
	s_delay_alu instid0(VALU_DEP_2) | instskip(NEXT) | instid1(VALU_DEP_2)
	v_mul_lo_u32 v11, v1, s25
	v_sub_nc_u32_e32 v5, v5, v7
	s_delay_alu instid0(VALU_DEP_2) | instskip(NEXT) | instid1(VALU_DEP_2)
	v_sub_nc_u32_e32 v6, v6, v11
	v_mul_lo_u32 v5, v5, s38
	s_delay_alu instid0(VALU_DEP_2) | instskip(NEXT) | instid1(VALU_DEP_1)
	v_mul_lo_u32 v6, v6, s39
	v_add3_u32 v3, v5, v2, v6
	s_cbranch_scc1 .LBB175_164
; %bb.165:
	s_and_b32 s9, s9, 3
	s_delay_alu instid0(SALU_CYCLE_1)
	s_cmp_eq_u32 s9, 0
	s_cbranch_scc0 .LBB175_168
	s_branch .LBB175_170
.LBB175_166:
	s_mov_b32 s8, -1
                                        ; implicit-def: $vgpr3
	s_branch .LBB175_170
.LBB175_167:
	v_mov_b32_e32 v1, v9
	s_and_b32 s9, s9, 3
	s_delay_alu instid0(SALU_CYCLE_1)
	s_cmp_eq_u32 s9, 0
	s_cbranch_scc1 .LBB175_170
.LBB175_168:
	s_lshl_b32 s2, s10, 2
	s_mul_i32 s4, s10, 12
	s_add_u32 s2, s2, s0
	s_addc_u32 s3, 0, s1
	s_add_u32 s2, s2, 0xc4
	s_addc_u32 s3, s3, 0
	;; [unrolled: 2-line block ×3, first 2 shown]
	.p2align	6
.LBB175_169:                            ; =>This Inner Loop Header: Depth=1
	s_clause 0x1
	s_load_b64 s[12:13], s[4:5], 0x4
	s_load_b32 s10, s[4:5], 0xc
	s_add_u32 s4, s4, 12
	s_addc_u32 s5, s5, 0
	s_waitcnt lgkmcnt(0)
	v_mul_hi_u32 v2, s13, v1
	s_load_b32 s13, s[2:3], 0x0
	s_add_u32 s2, s2, 4
	s_addc_u32 s3, s3, 0
	s_add_i32 s9, s9, -1
	s_delay_alu instid0(SALU_CYCLE_1) | instskip(NEXT) | instid1(VALU_DEP_1)
	s_cmp_lg_u32 s9, 0
	v_add_nc_u32_e32 v2, v1, v2
	s_delay_alu instid0(VALU_DEP_1) | instskip(NEXT) | instid1(VALU_DEP_1)
	v_lshrrev_b32_e32 v2, s10, v2
	v_mul_lo_u32 v5, v2, s12
	s_delay_alu instid0(VALU_DEP_1) | instskip(SKIP_1) | instid1(VALU_DEP_1)
	v_sub_nc_u32_e32 v1, v1, v5
	s_waitcnt lgkmcnt(0)
	v_mad_u64_u32 v[5:6], null, v1, s13, v[3:4]
	v_mov_b32_e32 v1, v2
	s_delay_alu instid0(VALU_DEP_2)
	v_mov_b32_e32 v3, v5
	s_cbranch_scc1 .LBB175_169
.LBB175_170:
	s_and_not1_b32 vcc_lo, exec_lo, s8
	s_cbranch_vccnz .LBB175_173
; %bb.171:
	s_clause 0x1
	s_load_b128 s[12:15], s[0:1], 0x4
	s_load_b32 s2, s[0:1], 0xc4
	s_cmp_lt_u32 s11, 2
	s_waitcnt lgkmcnt(0)
	v_mul_hi_u32 v1, s13, v9
	s_delay_alu instid0(VALU_DEP_1) | instskip(NEXT) | instid1(VALU_DEP_1)
	v_add_nc_u32_e32 v1, v9, v1
	v_lshrrev_b32_e32 v1, s14, v1
	s_delay_alu instid0(VALU_DEP_1) | instskip(NEXT) | instid1(VALU_DEP_1)
	v_mul_lo_u32 v2, v1, s12
	v_sub_nc_u32_e32 v2, v9, v2
	s_delay_alu instid0(VALU_DEP_1)
	v_mul_lo_u32 v3, v2, s2
	s_cbranch_scc1 .LBB175_173
; %bb.172:
	s_clause 0x1
	s_load_b128 s[12:15], s[0:1], 0x10
	s_load_b32 s2, s[0:1], 0xc8
	s_waitcnt lgkmcnt(0)
	v_mul_hi_u32 v2, s13, v1
	s_delay_alu instid0(VALU_DEP_1) | instskip(NEXT) | instid1(VALU_DEP_1)
	v_add_nc_u32_e32 v2, v1, v2
	v_lshrrev_b32_e32 v2, s14, v2
	s_delay_alu instid0(VALU_DEP_1) | instskip(NEXT) | instid1(VALU_DEP_1)
	v_mul_lo_u32 v2, v2, s12
	v_sub_nc_u32_e32 v5, v1, v2
	s_delay_alu instid0(VALU_DEP_1) | instskip(NEXT) | instid1(VALU_DEP_1)
	v_mad_u64_u32 v[1:2], null, v5, s2, v[3:4]
	v_mov_b32_e32 v3, v1
.LBB175_173:
	v_cmp_ne_u32_e32 vcc_lo, 1, v0
	v_add_nc_u32_e32 v1, 0x80, v9
	s_cbranch_vccnz .LBB175_179
; %bb.174:
	v_mov_b32_e32 v2, 0
	s_cmp_eq_u32 s11, 0
	s_mov_b32 s8, 0
	s_cbranch_scc1 .LBB175_183
; %bb.175:
	s_min_u32 s9, s30, 15
	v_mov_b32_e32 v2, 0
	s_add_i32 s9, s9, 1
	s_cmp_eq_u32 s30, 2
	s_mov_b32 s10, 0
	s_cbranch_scc1 .LBB175_180
; %bb.176:
	v_dual_mov_b32 v2, 0 :: v_dual_mov_b32 v5, v1
	s_add_u32 s2, s0, 0xc4
	s_addc_u32 s3, s1, 0
	s_and_b32 s10, s9, 28
	s_mov_b32 s12, 0
	s_mov_b64 s[4:5], s[0:1]
.LBB175_177:                            ; =>This Inner Loop Header: Depth=1
	s_clause 0x1
	s_load_b256 s[16:23], s[4:5], 0x4
	s_load_b128 s[24:27], s[4:5], 0x24
	s_load_b128 s[36:39], s[2:3], 0x0
	s_add_u32 s4, s4, 48
	s_addc_u32 s5, s5, 0
	s_add_i32 s12, s12, 4
	s_add_u32 s2, s2, 16
	s_addc_u32 s3, s3, 0
	s_cmp_lg_u32 s10, s12
	s_waitcnt lgkmcnt(0)
	v_mul_hi_u32 v6, s17, v5
	s_delay_alu instid0(VALU_DEP_1) | instskip(NEXT) | instid1(VALU_DEP_1)
	v_add_nc_u32_e32 v6, v5, v6
	v_lshrrev_b32_e32 v6, s18, v6
	s_delay_alu instid0(VALU_DEP_1) | instskip(SKIP_1) | instid1(VALU_DEP_2)
	v_mul_hi_u32 v7, s20, v6
	v_mul_lo_u32 v11, v6, s16
	v_add_nc_u32_e32 v7, v6, v7
	s_delay_alu instid0(VALU_DEP_2) | instskip(NEXT) | instid1(VALU_DEP_2)
	v_sub_nc_u32_e32 v11, v5, v11
	v_lshrrev_b32_e32 v7, s21, v7
	s_delay_alu instid0(VALU_DEP_2) | instskip(NEXT) | instid1(VALU_DEP_2)
	v_mul_lo_u32 v11, v11, s36
	v_mul_hi_u32 v8, s23, v7
	v_mul_lo_u32 v12, v7, s19
	s_delay_alu instid0(VALU_DEP_2) | instskip(NEXT) | instid1(VALU_DEP_2)
	v_add_nc_u32_e32 v8, v7, v8
	v_sub_nc_u32_e32 v6, v6, v12
	s_delay_alu instid0(VALU_DEP_2) | instskip(NEXT) | instid1(VALU_DEP_2)
	v_lshrrev_b32_e32 v8, s24, v8
	v_mul_lo_u32 v6, v6, s37
	s_delay_alu instid0(VALU_DEP_2) | instskip(NEXT) | instid1(VALU_DEP_2)
	v_mul_hi_u32 v10, s26, v8
	v_add3_u32 v2, v11, v2, v6
	s_delay_alu instid0(VALU_DEP_2) | instskip(NEXT) | instid1(VALU_DEP_1)
	v_add_nc_u32_e32 v10, v8, v10
	v_lshrrev_b32_e32 v5, s27, v10
	v_mul_lo_u32 v10, v8, s22
	s_delay_alu instid0(VALU_DEP_2) | instskip(NEXT) | instid1(VALU_DEP_2)
	v_mul_lo_u32 v13, v5, s25
	v_sub_nc_u32_e32 v7, v7, v10
	s_delay_alu instid0(VALU_DEP_2) | instskip(NEXT) | instid1(VALU_DEP_2)
	v_sub_nc_u32_e32 v8, v8, v13
	v_mul_lo_u32 v7, v7, s38
	s_delay_alu instid0(VALU_DEP_2) | instskip(NEXT) | instid1(VALU_DEP_1)
	v_mul_lo_u32 v8, v8, s39
	v_add3_u32 v2, v7, v2, v8
	s_cbranch_scc1 .LBB175_177
; %bb.178:
	s_and_b32 s9, s9, 3
	s_delay_alu instid0(SALU_CYCLE_1)
	s_cmp_eq_u32 s9, 0
	s_cbranch_scc0 .LBB175_181
	s_branch .LBB175_183
.LBB175_179:
	s_mov_b32 s8, -1
                                        ; implicit-def: $vgpr2
	s_branch .LBB175_183
.LBB175_180:
	v_mov_b32_e32 v5, v1
	s_and_b32 s9, s9, 3
	s_delay_alu instid0(SALU_CYCLE_1)
	s_cmp_eq_u32 s9, 0
	s_cbranch_scc1 .LBB175_183
.LBB175_181:
	s_lshl_b32 s2, s10, 2
	s_mul_i32 s4, s10, 12
	s_add_u32 s2, s2, s0
	s_addc_u32 s3, 0, s1
	s_add_u32 s2, s2, 0xc4
	s_addc_u32 s3, s3, 0
	;; [unrolled: 2-line block ×3, first 2 shown]
	.p2align	6
.LBB175_182:                            ; =>This Inner Loop Header: Depth=1
	s_clause 0x1
	s_load_b64 s[12:13], s[4:5], 0x4
	s_load_b32 s10, s[4:5], 0xc
	s_add_u32 s4, s4, 12
	s_addc_u32 s5, s5, 0
	s_waitcnt lgkmcnt(0)
	v_mul_hi_u32 v6, s13, v5
	s_load_b32 s13, s[2:3], 0x0
	s_add_u32 s2, s2, 4
	s_addc_u32 s3, s3, 0
	s_add_i32 s9, s9, -1
	s_delay_alu instid0(SALU_CYCLE_1) | instskip(NEXT) | instid1(VALU_DEP_1)
	s_cmp_lg_u32 s9, 0
	v_add_nc_u32_e32 v6, v5, v6
	s_delay_alu instid0(VALU_DEP_1) | instskip(NEXT) | instid1(VALU_DEP_1)
	v_lshrrev_b32_e32 v8, s10, v6
	v_mul_lo_u32 v6, v8, s12
	s_delay_alu instid0(VALU_DEP_1) | instskip(SKIP_1) | instid1(VALU_DEP_1)
	v_sub_nc_u32_e32 v5, v5, v6
	s_waitcnt lgkmcnt(0)
	v_mad_u64_u32 v[6:7], null, v5, s13, v[2:3]
	s_delay_alu instid0(VALU_DEP_1)
	v_dual_mov_b32 v5, v8 :: v_dual_mov_b32 v2, v6
	s_cbranch_scc1 .LBB175_182
.LBB175_183:
	s_and_not1_b32 vcc_lo, exec_lo, s8
	s_cbranch_vccnz .LBB175_186
; %bb.184:
	s_clause 0x1
	s_load_b128 s[12:15], s[0:1], 0x4
	s_load_b32 s2, s[0:1], 0xc4
	s_cmp_lt_u32 s11, 2
	s_waitcnt lgkmcnt(0)
	v_mul_hi_u32 v2, s13, v1
	s_delay_alu instid0(VALU_DEP_1) | instskip(NEXT) | instid1(VALU_DEP_1)
	v_add_nc_u32_e32 v2, v1, v2
	v_lshrrev_b32_e32 v5, s14, v2
	s_delay_alu instid0(VALU_DEP_1) | instskip(NEXT) | instid1(VALU_DEP_1)
	v_mul_lo_u32 v2, v5, s12
	v_sub_nc_u32_e32 v1, v1, v2
	s_delay_alu instid0(VALU_DEP_1)
	v_mul_lo_u32 v2, v1, s2
	s_cbranch_scc1 .LBB175_186
; %bb.185:
	s_clause 0x1
	s_load_b128 s[12:15], s[0:1], 0x10
	s_load_b32 s2, s[0:1], 0xc8
	s_waitcnt lgkmcnt(0)
	v_mul_hi_u32 v1, s13, v5
	s_delay_alu instid0(VALU_DEP_1) | instskip(NEXT) | instid1(VALU_DEP_1)
	v_add_nc_u32_e32 v1, v5, v1
	v_lshrrev_b32_e32 v1, s14, v1
	s_delay_alu instid0(VALU_DEP_1) | instskip(NEXT) | instid1(VALU_DEP_1)
	v_mul_lo_u32 v1, v1, s12
	v_sub_nc_u32_e32 v1, v5, v1
	s_delay_alu instid0(VALU_DEP_1) | instskip(NEXT) | instid1(VALU_DEP_1)
	v_mad_u64_u32 v[5:6], null, v1, s2, v[2:3]
	v_mov_b32_e32 v2, v5
.LBB175_186:
	v_cmp_ne_u32_e32 vcc_lo, 1, v0
	v_add_nc_u32_e32 v5, 0x100, v9
	s_cbranch_vccnz .LBB175_192
; %bb.187:
	v_mov_b32_e32 v1, 0
	s_cmp_eq_u32 s11, 0
	s_mov_b32 s8, 0
	s_cbranch_scc1 .LBB175_196
; %bb.188:
	s_min_u32 s9, s30, 15
	v_mov_b32_e32 v1, 0
	s_add_i32 s9, s9, 1
	s_cmp_eq_u32 s30, 2
	s_mov_b32 s10, 0
	s_cbranch_scc1 .LBB175_193
; %bb.189:
	v_dual_mov_b32 v1, 0 :: v_dual_mov_b32 v6, v5
	s_add_u32 s2, s0, 0xc4
	s_addc_u32 s3, s1, 0
	s_and_b32 s10, s9, 28
	s_mov_b32 s12, 0
	s_mov_b64 s[4:5], s[0:1]
.LBB175_190:                            ; =>This Inner Loop Header: Depth=1
	s_clause 0x1
	s_load_b256 s[16:23], s[4:5], 0x4
	s_load_b128 s[24:27], s[4:5], 0x24
	s_load_b128 s[36:39], s[2:3], 0x0
	s_add_u32 s4, s4, 48
	s_addc_u32 s5, s5, 0
	s_add_i32 s12, s12, 4
	s_add_u32 s2, s2, 16
	s_addc_u32 s3, s3, 0
	s_cmp_lg_u32 s10, s12
	s_waitcnt lgkmcnt(0)
	v_mul_hi_u32 v7, s17, v6
	s_delay_alu instid0(VALU_DEP_1) | instskip(NEXT) | instid1(VALU_DEP_1)
	v_add_nc_u32_e32 v7, v6, v7
	v_lshrrev_b32_e32 v7, s18, v7
	s_delay_alu instid0(VALU_DEP_1) | instskip(SKIP_1) | instid1(VALU_DEP_2)
	v_mul_hi_u32 v8, s20, v7
	v_mul_lo_u32 v11, v7, s16
	v_add_nc_u32_e32 v8, v7, v8
	s_delay_alu instid0(VALU_DEP_2) | instskip(NEXT) | instid1(VALU_DEP_2)
	v_sub_nc_u32_e32 v11, v6, v11
	v_lshrrev_b32_e32 v8, s21, v8
	s_delay_alu instid0(VALU_DEP_2) | instskip(NEXT) | instid1(VALU_DEP_2)
	v_mul_lo_u32 v11, v11, s36
	v_mul_hi_u32 v9, s23, v8
	v_mul_lo_u32 v12, v8, s19
	s_delay_alu instid0(VALU_DEP_2) | instskip(NEXT) | instid1(VALU_DEP_2)
	v_add_nc_u32_e32 v9, v8, v9
	v_sub_nc_u32_e32 v7, v7, v12
	s_delay_alu instid0(VALU_DEP_2) | instskip(NEXT) | instid1(VALU_DEP_2)
	v_lshrrev_b32_e32 v9, s24, v9
	v_mul_lo_u32 v7, v7, s37
	s_delay_alu instid0(VALU_DEP_2) | instskip(NEXT) | instid1(VALU_DEP_2)
	v_mul_hi_u32 v10, s26, v9
	v_add3_u32 v1, v11, v1, v7
	s_delay_alu instid0(VALU_DEP_2) | instskip(NEXT) | instid1(VALU_DEP_1)
	v_add_nc_u32_e32 v10, v9, v10
	v_lshrrev_b32_e32 v6, s27, v10
	v_mul_lo_u32 v10, v9, s22
	s_delay_alu instid0(VALU_DEP_2) | instskip(NEXT) | instid1(VALU_DEP_2)
	v_mul_lo_u32 v13, v6, s25
	v_sub_nc_u32_e32 v8, v8, v10
	s_delay_alu instid0(VALU_DEP_2) | instskip(NEXT) | instid1(VALU_DEP_2)
	v_sub_nc_u32_e32 v9, v9, v13
	v_mul_lo_u32 v8, v8, s38
	s_delay_alu instid0(VALU_DEP_2) | instskip(NEXT) | instid1(VALU_DEP_1)
	v_mul_lo_u32 v9, v9, s39
	v_add3_u32 v1, v8, v1, v9
	s_cbranch_scc1 .LBB175_190
; %bb.191:
	s_and_b32 s9, s9, 3
	s_delay_alu instid0(SALU_CYCLE_1)
	s_cmp_eq_u32 s9, 0
	s_cbranch_scc0 .LBB175_194
	s_branch .LBB175_196
.LBB175_192:
	s_mov_b32 s8, -1
                                        ; implicit-def: $vgpr1
	s_branch .LBB175_196
.LBB175_193:
	v_mov_b32_e32 v6, v5
	s_and_b32 s9, s9, 3
	s_delay_alu instid0(SALU_CYCLE_1)
	s_cmp_eq_u32 s9, 0
	s_cbranch_scc1 .LBB175_196
.LBB175_194:
	s_lshl_b32 s2, s10, 2
	s_mul_i32 s4, s10, 12
	s_add_u32 s2, s2, s0
	s_addc_u32 s3, 0, s1
	s_add_u32 s2, s2, 0xc4
	s_addc_u32 s3, s3, 0
	;; [unrolled: 2-line block ×3, first 2 shown]
	.p2align	6
.LBB175_195:                            ; =>This Inner Loop Header: Depth=1
	s_clause 0x1
	s_load_b64 s[12:13], s[4:5], 0x4
	s_load_b32 s10, s[4:5], 0xc
	s_add_u32 s4, s4, 12
	s_addc_u32 s5, s5, 0
	s_waitcnt lgkmcnt(0)
	v_mul_hi_u32 v7, s13, v6
	s_load_b32 s13, s[2:3], 0x0
	s_add_u32 s2, s2, 4
	s_addc_u32 s3, s3, 0
	s_add_i32 s9, s9, -1
	s_delay_alu instid0(SALU_CYCLE_1) | instskip(NEXT) | instid1(VALU_DEP_1)
	s_cmp_lg_u32 s9, 0
	v_add_nc_u32_e32 v7, v6, v7
	s_delay_alu instid0(VALU_DEP_1) | instskip(NEXT) | instid1(VALU_DEP_1)
	v_lshrrev_b32_e32 v9, s10, v7
	v_mul_lo_u32 v7, v9, s12
	s_delay_alu instid0(VALU_DEP_1) | instskip(SKIP_1) | instid1(VALU_DEP_1)
	v_sub_nc_u32_e32 v6, v6, v7
	s_waitcnt lgkmcnt(0)
	v_mad_u64_u32 v[7:8], null, v6, s13, v[1:2]
	s_delay_alu instid0(VALU_DEP_1)
	v_dual_mov_b32 v6, v9 :: v_dual_mov_b32 v1, v7
	s_cbranch_scc1 .LBB175_195
.LBB175_196:
	s_and_not1_b32 vcc_lo, exec_lo, s8
	s_cbranch_vccnz .LBB175_199
; %bb.197:
	s_clause 0x1
	s_load_b128 s[12:15], s[0:1], 0x4
	s_load_b32 s2, s[0:1], 0xc4
	s_cmp_lt_u32 s11, 2
	s_waitcnt lgkmcnt(0)
	v_mul_hi_u32 v1, s13, v5
	s_delay_alu instid0(VALU_DEP_1) | instskip(NEXT) | instid1(VALU_DEP_1)
	v_add_nc_u32_e32 v1, v5, v1
	v_lshrrev_b32_e32 v6, s14, v1
	s_delay_alu instid0(VALU_DEP_1) | instskip(NEXT) | instid1(VALU_DEP_1)
	v_mul_lo_u32 v1, v6, s12
	v_sub_nc_u32_e32 v1, v5, v1
	s_delay_alu instid0(VALU_DEP_1)
	v_mul_lo_u32 v1, v1, s2
	s_cbranch_scc1 .LBB175_199
; %bb.198:
	s_clause 0x1
	s_load_b128 s[12:15], s[0:1], 0x10
	s_load_b32 s2, s[0:1], 0xc8
	s_waitcnt lgkmcnt(0)
	v_mul_hi_u32 v5, s13, v6
	s_delay_alu instid0(VALU_DEP_1) | instskip(NEXT) | instid1(VALU_DEP_1)
	v_add_nc_u32_e32 v5, v6, v5
	v_lshrrev_b32_e32 v5, s14, v5
	s_delay_alu instid0(VALU_DEP_1) | instskip(NEXT) | instid1(VALU_DEP_1)
	v_mul_lo_u32 v5, v5, s12
	v_sub_nc_u32_e32 v7, v6, v5
	s_delay_alu instid0(VALU_DEP_1) | instskip(NEXT) | instid1(VALU_DEP_1)
	v_mad_u64_u32 v[5:6], null, v7, s2, v[1:2]
	v_mov_b32_e32 v1, v5
.LBB175_199:
	v_cmp_ne_u32_e32 vcc_lo, 1, v0
	s_cbranch_vccnz .LBB175_205
; %bb.200:
	v_mov_b32_e32 v0, 0
	s_cmp_eq_u32 s11, 0
	s_mov_b32 s8, 0
	s_cbranch_scc1 .LBB175_209
; %bb.201:
	s_min_u32 s9, s30, 15
	v_mov_b32_e32 v0, 0
	s_add_i32 s9, s9, 1
	s_cmp_eq_u32 s30, 2
	s_mov_b32 s10, 0
	s_cbranch_scc1 .LBB175_206
; %bb.202:
	v_dual_mov_b32 v0, 0 :: v_dual_mov_b32 v5, v4
	s_add_u32 s2, s0, 0xc4
	s_addc_u32 s3, s1, 0
	s_and_b32 s10, s9, 28
	s_mov_b32 s12, 0
	s_mov_b64 s[4:5], s[0:1]
.LBB175_203:                            ; =>This Inner Loop Header: Depth=1
	s_clause 0x1
	s_load_b256 s[16:23], s[4:5], 0x4
	s_load_b128 s[24:27], s[4:5], 0x24
	s_load_b128 s[28:31], s[2:3], 0x0
	s_add_u32 s4, s4, 48
	s_addc_u32 s5, s5, 0
	s_add_i32 s12, s12, 4
	s_add_u32 s2, s2, 16
	s_addc_u32 s3, s3, 0
	s_cmp_lg_u32 s10, s12
	s_waitcnt lgkmcnt(0)
	v_mul_hi_u32 v6, s17, v5
	s_delay_alu instid0(VALU_DEP_1) | instskip(NEXT) | instid1(VALU_DEP_1)
	v_add_nc_u32_e32 v6, v5, v6
	v_lshrrev_b32_e32 v6, s18, v6
	s_delay_alu instid0(VALU_DEP_1) | instskip(SKIP_1) | instid1(VALU_DEP_2)
	v_mul_hi_u32 v7, s20, v6
	v_mul_lo_u32 v10, v6, s16
	v_add_nc_u32_e32 v7, v6, v7
	s_delay_alu instid0(VALU_DEP_2) | instskip(NEXT) | instid1(VALU_DEP_2)
	v_sub_nc_u32_e32 v10, v5, v10
	v_lshrrev_b32_e32 v7, s21, v7
	s_delay_alu instid0(VALU_DEP_2) | instskip(NEXT) | instid1(VALU_DEP_2)
	v_mul_lo_u32 v10, v10, s28
	v_mul_hi_u32 v8, s23, v7
	v_mul_lo_u32 v11, v7, s19
	s_delay_alu instid0(VALU_DEP_2) | instskip(NEXT) | instid1(VALU_DEP_2)
	v_add_nc_u32_e32 v8, v7, v8
	v_sub_nc_u32_e32 v6, v6, v11
	s_delay_alu instid0(VALU_DEP_2) | instskip(NEXT) | instid1(VALU_DEP_2)
	v_lshrrev_b32_e32 v8, s24, v8
	v_mul_lo_u32 v6, v6, s29
	s_delay_alu instid0(VALU_DEP_2) | instskip(NEXT) | instid1(VALU_DEP_2)
	v_mul_hi_u32 v9, s26, v8
	v_add3_u32 v0, v10, v0, v6
	s_delay_alu instid0(VALU_DEP_2) | instskip(NEXT) | instid1(VALU_DEP_1)
	v_add_nc_u32_e32 v9, v8, v9
	v_lshrrev_b32_e32 v5, s27, v9
	v_mul_lo_u32 v9, v8, s22
	s_delay_alu instid0(VALU_DEP_2) | instskip(NEXT) | instid1(VALU_DEP_2)
	v_mul_lo_u32 v12, v5, s25
	v_sub_nc_u32_e32 v7, v7, v9
	s_delay_alu instid0(VALU_DEP_2) | instskip(NEXT) | instid1(VALU_DEP_2)
	v_sub_nc_u32_e32 v8, v8, v12
	v_mul_lo_u32 v7, v7, s30
	s_delay_alu instid0(VALU_DEP_2) | instskip(NEXT) | instid1(VALU_DEP_1)
	v_mul_lo_u32 v8, v8, s31
	v_add3_u32 v0, v7, v0, v8
	s_cbranch_scc1 .LBB175_203
; %bb.204:
	s_and_b32 s9, s9, 3
	s_delay_alu instid0(SALU_CYCLE_1)
	s_cmp_eq_u32 s9, 0
	s_cbranch_scc0 .LBB175_207
	s_branch .LBB175_209
.LBB175_205:
	s_mov_b32 s8, -1
                                        ; implicit-def: $vgpr0
	s_branch .LBB175_209
.LBB175_206:
	v_mov_b32_e32 v5, v4
	s_and_b32 s9, s9, 3
	s_delay_alu instid0(SALU_CYCLE_1)
	s_cmp_eq_u32 s9, 0
	s_cbranch_scc1 .LBB175_209
.LBB175_207:
	s_lshl_b32 s2, s10, 2
	s_mul_i32 s4, s10, 12
	s_add_u32 s2, s2, s0
	s_addc_u32 s3, 0, s1
	s_add_u32 s2, s2, 0xc4
	s_addc_u32 s3, s3, 0
	;; [unrolled: 2-line block ×3, first 2 shown]
	.p2align	6
.LBB175_208:                            ; =>This Inner Loop Header: Depth=1
	s_clause 0x1
	s_load_b64 s[12:13], s[4:5], 0x4
	s_load_b32 s10, s[4:5], 0xc
	s_add_u32 s4, s4, 12
	s_addc_u32 s5, s5, 0
	s_waitcnt lgkmcnt(0)
	v_mul_hi_u32 v6, s13, v5
	s_load_b32 s13, s[2:3], 0x0
	s_add_u32 s2, s2, 4
	s_addc_u32 s3, s3, 0
	s_add_i32 s9, s9, -1
	s_delay_alu instid0(SALU_CYCLE_1) | instskip(NEXT) | instid1(VALU_DEP_1)
	s_cmp_lg_u32 s9, 0
	v_add_nc_u32_e32 v6, v5, v6
	s_delay_alu instid0(VALU_DEP_1) | instskip(NEXT) | instid1(VALU_DEP_1)
	v_lshrrev_b32_e32 v8, s10, v6
	v_mul_lo_u32 v6, v8, s12
	s_delay_alu instid0(VALU_DEP_1) | instskip(SKIP_1) | instid1(VALU_DEP_1)
	v_sub_nc_u32_e32 v5, v5, v6
	s_waitcnt lgkmcnt(0)
	v_mad_u64_u32 v[6:7], null, v5, s13, v[0:1]
	s_delay_alu instid0(VALU_DEP_1)
	v_dual_mov_b32 v5, v8 :: v_dual_mov_b32 v0, v6
	s_cbranch_scc1 .LBB175_208
.LBB175_209:
	s_and_not1_b32 vcc_lo, exec_lo, s8
	s_cbranch_vccnz .LBB175_212
; %bb.210:
	s_clause 0x1
	s_load_b128 s[12:15], s[0:1], 0x4
	s_load_b32 s2, s[0:1], 0xc4
	s_cmp_lt_u32 s11, 2
	s_waitcnt lgkmcnt(0)
	v_mul_hi_u32 v0, s13, v4
	s_delay_alu instid0(VALU_DEP_1) | instskip(NEXT) | instid1(VALU_DEP_1)
	v_add_nc_u32_e32 v0, v4, v0
	v_lshrrev_b32_e32 v5, s14, v0
	s_delay_alu instid0(VALU_DEP_1) | instskip(NEXT) | instid1(VALU_DEP_1)
	v_mul_lo_u32 v0, v5, s12
	v_sub_nc_u32_e32 v0, v4, v0
	s_delay_alu instid0(VALU_DEP_1)
	v_mul_lo_u32 v0, v0, s2
	s_cbranch_scc1 .LBB175_212
; %bb.211:
	s_clause 0x1
	s_load_b128 s[8:11], s[0:1], 0x10
	s_load_b32 s2, s[0:1], 0xc8
	s_waitcnt lgkmcnt(0)
	v_mul_hi_u32 v4, s9, v5
	s_delay_alu instid0(VALU_DEP_1) | instskip(NEXT) | instid1(VALU_DEP_1)
	v_add_nc_u32_e32 v4, v5, v4
	v_lshrrev_b32_e32 v4, s10, v4
	s_delay_alu instid0(VALU_DEP_1) | instskip(NEXT) | instid1(VALU_DEP_1)
	v_mul_lo_u32 v4, v4, s8
	v_sub_nc_u32_e32 v6, v5, v4
	s_delay_alu instid0(VALU_DEP_1) | instskip(NEXT) | instid1(VALU_DEP_1)
	v_mad_u64_u32 v[4:5], null, v6, s2, v[0:1]
	v_mov_b32_e32 v0, v4
.LBB175_212:
	s_clause 0x1
	s_load_b32 s4, s[0:1], 0x118
	s_load_b128 s[0:3], s[0:1], 0x108
	s_mov_b32 s9, 0
	s_waitcnt lgkmcnt(0)
	s_and_b32 s4, s4, 0xff
	v_add_co_u32 v3, s8, s0, v3
	v_cmp_lt_i16_e64 s5, s4, 11
	v_add_co_ci_u32_e64 v4, null, s1, 0, s8
	s_mov_b32 s8, -1
	s_delay_alu instid0(VALU_DEP_2)
	s_and_b32 vcc_lo, exec_lo, s5
	s_mov_b32 s5, s6
	s_cbranch_vccnz .LBB175_473
; %bb.213:
	v_cmp_gt_i16_e64 s5, s4, 25
	s_mov_b32 s10, -1
	s_mov_b32 s8, 0
	s_delay_alu instid0(VALU_DEP_1)
	s_and_b32 vcc_lo, exec_lo, s5
	s_mov_b32 s5, 0
	s_cbranch_vccz .LBB175_308
; %bb.214:
	v_cmp_gt_i16_e64 s5, s4, 28
	s_delay_alu instid0(VALU_DEP_1)
	s_and_b32 vcc_lo, exec_lo, s5
	s_cbranch_vccz .LBB175_220
; %bb.215:
	v_cmp_gt_i16_e64 s5, s4, 43
	s_delay_alu instid0(VALU_DEP_1)
	s_and_b32 vcc_lo, exec_lo, s5
	;; [unrolled: 5-line block ×3, first 2 shown]
	s_cbranch_vccz .LBB175_278
; %bb.217:
	v_cmp_eq_u16_e64 s9, s4, 46
	s_mov_b32 s5, -1
	s_mov_b32 s10, 0
	s_delay_alu instid0(VALU_DEP_1)
	s_and_b32 vcc_lo, exec_lo, s9
	s_mov_b32 s9, 0
	s_cbranch_vccz .LBB175_279
; %bb.218:
	s_clz_i32_u32 s5, s3
	s_delay_alu instid0(SALU_CYCLE_1) | instskip(NEXT) | instid1(SALU_CYCLE_1)
	s_min_u32 s5, s5, 32
	s_lshl_b64 s[12:13], s[2:3], s5
	s_sub_i32 s5, 32, s5
	s_min_u32 s9, s12, 1
	s_delay_alu instid0(SALU_CYCLE_1) | instskip(NEXT) | instid1(SALU_CYCLE_1)
	s_or_b32 s9, s13, s9
	v_cvt_f32_u32_e32 v5, s9
	s_mov_b32 s9, -1
	s_delay_alu instid0(VALU_DEP_1) | instskip(SKIP_1) | instid1(VALU_DEP_1)
	v_ldexp_f32 v5, v5, s5
	s_mov_b32 s5, 0
	v_bfe_u32 v6, v5, 16, 1
	s_delay_alu instid0(VALU_DEP_1) | instskip(NEXT) | instid1(VALU_DEP_1)
	v_add_nc_u32_e32 v5, v5, v6
	v_add_nc_u32_e32 v5, 0x7fff, v5
	s_delay_alu instid0(VALU_DEP_1)
	v_lshrrev_b32_e32 v5, 16, v5
	global_store_b32 v[3:4], v5, off
	s_branch .LBB175_279
.LBB175_219:
                                        ; implicit-def: $vgpr2
	s_branch .LBB175_227
.LBB175_220:
	s_mov_b32 s5, 0
	s_branch .LBB175_288
.LBB175_221:
	s_mov_b32 s5, 0
	s_and_b32 vcc_lo, exec_lo, s10
	s_cbranch_vccnz .LBB175_285
	s_branch .LBB175_287
.LBB175_222:
	v_mov_b32_e32 v3, v9
.LBB175_223:
	s_and_b32 s46, s46, 3
	s_delay_alu instid0(SALU_CYCLE_1)
	s_cmp_eq_u32 s46, 0
	s_cbranch_scc1 .LBB175_226
; %bb.224:
	s_lshl_b32 s26, s44, 2
	s_mul_i32 s28, s44, 12
	s_add_u32 s26, s26, s0
	s_addc_u32 s27, s1, 0
	s_add_u32 s26, s26, 0xc4
	s_addc_u32 s27, s27, 0
	;; [unrolled: 2-line block ×3, first 2 shown]
	.p2align	6
.LBB175_225:                            ; =>This Inner Loop Header: Depth=1
	s_clause 0x1
	s_load_b64 s[48:49], s[28:29], 0x4
	s_load_b32 s44, s[28:29], 0xc
	s_load_b32 s47, s[26:27], 0x0
	s_add_u32 s28, s28, 12
	s_addc_u32 s29, s29, 0
	s_add_u32 s26, s26, 4
	s_addc_u32 s27, s27, 0
	s_add_i32 s46, s46, -1
	s_delay_alu instid0(SALU_CYCLE_1) | instskip(SKIP_2) | instid1(VALU_DEP_1)
	s_cmp_lg_u32 s46, 0
	s_waitcnt lgkmcnt(0)
	v_mul_hi_u32 v5, s49, v3
	v_add_nc_u32_e32 v5, v3, v5
	s_delay_alu instid0(VALU_DEP_1) | instskip(NEXT) | instid1(VALU_DEP_1)
	v_lshrrev_b32_e32 v7, s44, v5
	v_mul_lo_u32 v5, v7, s48
	s_delay_alu instid0(VALU_DEP_1) | instskip(NEXT) | instid1(VALU_DEP_1)
	v_sub_nc_u32_e32 v3, v3, v5
	v_mad_u64_u32 v[5:6], null, v3, s47, v[2:3]
	s_delay_alu instid0(VALU_DEP_1)
	v_dual_mov_b32 v3, v7 :: v_dual_mov_b32 v2, v5
	s_cbranch_scc1 .LBB175_225
.LBB175_226:
	s_cbranch_execnz .LBB175_229
.LBB175_227:
	v_mul_hi_u32 v2, s17, v9
	s_and_not1_b32 vcc_lo, exec_lo, s38
	s_delay_alu instid0(VALU_DEP_1) | instskip(NEXT) | instid1(VALU_DEP_1)
	v_add_nc_u32_e32 v2, v9, v2
	v_lshrrev_b32_e32 v3, s18, v2
	s_delay_alu instid0(VALU_DEP_1) | instskip(NEXT) | instid1(VALU_DEP_1)
	v_mul_lo_u32 v2, v3, s16
	v_sub_nc_u32_e32 v2, v9, v2
	s_delay_alu instid0(VALU_DEP_1)
	v_mul_lo_u32 v2, v2, s20
	s_cbranch_vccnz .LBB175_229
; %bb.228:
	v_mul_hi_u32 v5, s22, v3
	s_delay_alu instid0(VALU_DEP_1) | instskip(NEXT) | instid1(VALU_DEP_1)
	v_add_nc_u32_e32 v5, v3, v5
	v_lshrrev_b32_e32 v5, s23, v5
	s_delay_alu instid0(VALU_DEP_1) | instskip(NEXT) | instid1(VALU_DEP_1)
	v_mul_lo_u32 v5, v5, s19
	v_sub_nc_u32_e32 v3, v3, v5
	s_delay_alu instid0(VALU_DEP_1) | instskip(NEXT) | instid1(VALU_DEP_1)
	v_mad_u64_u32 v[5:6], null, v3, s21, v[2:3]
	v_mov_b32_e32 v2, v5
.LBB175_229:
	v_and_b32_e64 v24, 0xff, s37
	s_delay_alu instid0(VALU_DEP_2) | instskip(NEXT) | instid1(VALU_DEP_1)
	v_add_co_u32 v6, s26, s12, v2
	v_add_co_ci_u32_e64 v7, null, s13, 0, s26
	s_delay_alu instid0(VALU_DEP_3)
	v_cmp_gt_i16_e32 vcc_lo, 11, v24
	s_mov_b32 s27, 0
	s_mov_b32 s28, -1
	s_mov_b32 s26, s42
	s_cbranch_vccnz .LBB175_236
; %bb.230:
	v_cmp_lt_i16_e32 vcc_lo, 25, v24
	s_cbranch_vccz .LBB175_276
; %bb.231:
	v_cmp_lt_i16_e32 vcc_lo, 28, v24
	s_cbranch_vccz .LBB175_277
	;; [unrolled: 3-line block ×4, first 2 shown]
; %bb.234:
	v_cmp_eq_u16_e32 vcc_lo, 46, v24
	s_mov_b32 s28, 0
	s_mov_b32 s26, -1
	s_cbranch_vccz .LBB175_316
; %bb.235:
	s_mov_b32 s27, -1
	s_mov_b32 s26, 0
	global_store_b32 v[6:7], v12, off
	s_branch .LBB175_316
.LBB175_236:
	s_and_b32 vcc_lo, exec_lo, s28
	s_cbranch_vccz .LBB175_361
; %bb.237:
	v_cmp_gt_i16_e32 vcc_lo, 5, v24
	s_mov_b32 s27, -1
	s_cbranch_vccnz .LBB175_258
; %bb.238:
	v_cmp_gt_i16_e32 vcc_lo, 8, v24
	s_cbranch_vccnz .LBB175_248
; %bb.239:
	v_cmp_gt_i16_e32 vcc_lo, 9, v24
	s_cbranch_vccnz .LBB175_245
; %bb.240:
	v_cmp_lt_i16_e32 vcc_lo, 9, v24
	s_cbranch_vccz .LBB175_242
; %bb.241:
	v_mov_b32_e32 v2, 0
	s_mov_b32 s27, 0
	s_delay_alu instid0(VALU_DEP_1)
	v_mov_b32_e32 v3, v2
	global_store_b128 v[6:7], v[0:3], off
.LBB175_242:
	s_and_not1_b32 vcc_lo, exec_lo, s27
	s_cbranch_vccnz .LBB175_244
; %bb.243:
	v_mov_b32_e32 v5, 0
	global_store_b64 v[6:7], v[4:5], off
.LBB175_244:
	s_mov_b32 s27, 0
.LBB175_245:
	s_delay_alu instid0(SALU_CYCLE_1)
	s_and_not1_b32 vcc_lo, exec_lo, s27
	s_cbranch_vccnz .LBB175_247
; %bb.246:
	global_store_b32 v[6:7], v10, off
.LBB175_247:
	s_mov_b32 s27, 0
.LBB175_248:
	s_delay_alu instid0(SALU_CYCLE_1)
	s_and_not1_b32 vcc_lo, exec_lo, s27
	s_cbranch_vccnz .LBB175_257
; %bb.249:
	v_cmp_gt_i16_e32 vcc_lo, 6, v24
	s_mov_b32 s27, -1
	s_cbranch_vccnz .LBB175_255
; %bb.250:
	v_cmp_lt_i16_e32 vcc_lo, 6, v24
	s_cbranch_vccz .LBB175_252
; %bb.251:
	s_mov_b32 s27, 0
	global_store_b64 v[6:7], v[0:1], off
.LBB175_252:
	s_and_not1_b32 vcc_lo, exec_lo, s27
	s_cbranch_vccnz .LBB175_254
; %bb.253:
	global_store_b32 v[6:7], v4, off
.LBB175_254:
	s_mov_b32 s27, 0
.LBB175_255:
	s_delay_alu instid0(SALU_CYCLE_1)
	s_and_not1_b32 vcc_lo, exec_lo, s27
	s_cbranch_vccnz .LBB175_257
; %bb.256:
	global_store_b16 v[6:7], v8, off
.LBB175_257:
	s_mov_b32 s27, 0
.LBB175_258:
	s_delay_alu instid0(SALU_CYCLE_1)
	s_and_not1_b32 vcc_lo, exec_lo, s27
	s_cbranch_vccnz .LBB175_274
; %bb.259:
	v_cmp_gt_i16_e32 vcc_lo, 2, v24
	s_mov_b32 s27, -1
	s_cbranch_vccnz .LBB175_269
; %bb.260:
	v_cmp_gt_i16_e32 vcc_lo, 3, v24
	s_cbranch_vccnz .LBB175_266
; %bb.261:
	v_cmp_lt_i16_e32 vcc_lo, 3, v24
	s_cbranch_vccz .LBB175_263
; %bb.262:
	v_dual_mov_b32 v2, s14 :: v_dual_mov_b32 v3, s15
	s_mov_b32 s27, 0
	global_store_b64 v[6:7], v[2:3], off
.LBB175_263:
	s_and_not1_b32 vcc_lo, exec_lo, s27
	s_cbranch_vccnz .LBB175_265
; %bb.264:
	v_mov_b32_e32 v2, s14
	global_store_b32 v[6:7], v2, off
.LBB175_265:
	s_mov_b32 s27, 0
.LBB175_266:
	s_delay_alu instid0(SALU_CYCLE_1)
	s_and_not1_b32 vcc_lo, exec_lo, s27
	s_cbranch_vccnz .LBB175_268
; %bb.267:
	v_mov_b32_e32 v2, s14
	global_store_b16 v[6:7], v2, off
.LBB175_268:
	s_mov_b32 s27, 0
.LBB175_269:
	s_delay_alu instid0(SALU_CYCLE_1)
	s_and_not1_b32 vcc_lo, exec_lo, s27
	s_cbranch_vccnz .LBB175_274
; %bb.270:
	v_cmp_lt_i16_e32 vcc_lo, 0, v24
	s_mov_b32 s27, -1
	s_cbranch_vccz .LBB175_272
; %bb.271:
	v_mov_b32_e32 v2, s14
	s_mov_b32 s27, 0
	global_store_b8 v[6:7], v2, off
.LBB175_272:
	s_and_not1_b32 vcc_lo, exec_lo, s27
	s_cbranch_vccnz .LBB175_274
; %bb.273:
	v_mov_b32_e32 v2, s14
	global_store_b8 v[6:7], v2, off
.LBB175_274:
	s_branch .LBB175_362
.LBB175_275:
	s_mov_b32 s27, 0
                                        ; implicit-def: $vgpr9
	s_branch .LBB175_363
.LBB175_276:
	s_mov_b32 s26, s42
	s_branch .LBB175_338
.LBB175_277:
	s_mov_b32 s26, s42
	s_branch .LBB175_324
.LBB175_278:
	s_mov_b32 s5, 0
.LBB175_279:
	s_and_b32 vcc_lo, exec_lo, s10
	s_cbranch_vccz .LBB175_284
; %bb.280:
	v_cmp_eq_u16_e64 s5, s4, 44
	s_delay_alu instid0(VALU_DEP_1)
	s_and_b32 vcc_lo, exec_lo, s5
	s_mov_b32 s5, -1
	s_cbranch_vccz .LBB175_284
; %bb.281:
	s_clz_i32_u32 s5, s3
	s_delay_alu instid0(SALU_CYCLE_1) | instskip(NEXT) | instid1(SALU_CYCLE_1)
	s_min_u32 s5, s5, 32
	s_lshl_b64 s[10:11], s[2:3], s5
	s_sub_i32 s5, 32, s5
	s_min_u32 s9, s10, 1
	s_delay_alu instid0(SALU_CYCLE_1) | instskip(NEXT) | instid1(SALU_CYCLE_1)
	s_or_b32 s9, s11, s9
	v_cvt_f32_u32_e32 v5, s9
	s_delay_alu instid0(VALU_DEP_1) | instskip(NEXT) | instid1(VALU_DEP_1)
	v_ldexp_f32 v5, v5, s5
	v_readfirstlane_b32 s9, v5
	v_mov_b32_e32 v5, 0xff
	s_delay_alu instid0(VALU_DEP_2) | instskip(NEXT) | instid1(SALU_CYCLE_1)
	s_lshr_b32 s5, s9, 23
	s_cmpk_eq_i32 s5, 0xff
	s_cbranch_scc1 .LBB175_283
; %bb.282:
	s_bitcmp1_b32 s9, 22
	s_cselect_b32 s10, -1, 0
	s_and_b32 s9, s9, 0x3fffff
	s_delay_alu instid0(SALU_CYCLE_1) | instskip(NEXT) | instid1(SALU_CYCLE_1)
	s_or_b32 s9, s5, s9
	s_cmp_lg_u32 s9, 0
	s_cselect_b32 s9, -1, 0
	s_delay_alu instid0(SALU_CYCLE_1) | instskip(NEXT) | instid1(SALU_CYCLE_1)
	s_and_b32 s9, s10, s9
	v_cndmask_b32_e64 v5, 0, 1, s9
	s_delay_alu instid0(VALU_DEP_1)
	v_add_nc_u32_e32 v5, s5, v5
.LBB175_283:
	s_mov_b32 s5, 0
	s_mov_b32 s9, -1
	global_store_b8 v[3:4], v5, off
.LBB175_284:
	s_branch .LBB175_287
.LBB175_285:
	v_cmp_eq_u16_e64 s5, s4, 29
	s_delay_alu instid0(VALU_DEP_1)
	s_and_b32 vcc_lo, exec_lo, s5
	s_mov_b32 s5, -1
	s_cbranch_vccz .LBB175_287
; %bb.286:
	v_dual_mov_b32 v6, s3 :: v_dual_mov_b32 v5, s2
	s_mov_b32 s5, 0
	s_mov_b32 s9, -1
	s_mov_b32 s10, 0
	global_store_b64 v[3:4], v[5:6], off
	s_branch .LBB175_288
.LBB175_287:
	s_mov_b32 s10, 0
.LBB175_288:
	s_delay_alu instid0(SALU_CYCLE_1)
	s_and_b32 vcc_lo, exec_lo, s10
	s_cbranch_vccz .LBB175_307
; %bb.289:
	v_cmp_lt_i16_e64 s9, s4, 27
	s_delay_alu instid0(VALU_DEP_1)
	s_and_b32 vcc_lo, exec_lo, s9
	s_mov_b32 s9, -1
	s_cbranch_vccnz .LBB175_295
; %bb.290:
	v_cmp_gt_i16_e64 s9, s4, 27
	s_delay_alu instid0(VALU_DEP_1)
	s_and_b32 vcc_lo, exec_lo, s9
	s_mov_b32 s9, -1
	s_cbranch_vccz .LBB175_292
; %bb.291:
	v_mov_b32_e32 v5, s2
	s_mov_b32 s9, 0
	global_store_b32 v[3:4], v5, off
.LBB175_292:
	s_and_not1_b32 vcc_lo, exec_lo, s9
	s_cbranch_vccnz .LBB175_294
; %bb.293:
	v_mov_b32_e32 v5, s2
	global_store_b16 v[3:4], v5, off
.LBB175_294:
	s_mov_b32 s9, 0
.LBB175_295:
	s_delay_alu instid0(SALU_CYCLE_1)
	s_and_not1_b32 vcc_lo, exec_lo, s9
	s_cbranch_vccnz .LBB175_306
; %bb.296:
	s_clz_i32_u32 s9, s3
	v_mov_b32_e32 v7, 0x80
	s_min_u32 s9, s9, 32
	s_delay_alu instid0(SALU_CYCLE_1) | instskip(SKIP_2) | instid1(SALU_CYCLE_1)
	s_lshl_b64 s[10:11], s[2:3], s9
	s_sub_i32 s9, 32, s9
	s_min_u32 s10, s10, 1
	s_or_b32 s10, s11, s10
	s_delay_alu instid0(SALU_CYCLE_1) | instskip(NEXT) | instid1(VALU_DEP_1)
	v_cvt_f32_u32_e32 v5, s10
	v_ldexp_f32 v5, v5, s9
	s_delay_alu instid0(VALU_DEP_1)
	v_cmp_lt_u32_e32 vcc_lo, 0x437fffff, v5
	v_readfirstlane_b32 s9, v5
	s_cbranch_vccnz .LBB175_305
; %bb.297:
	s_delay_alu instid0(VALU_DEP_1)
	s_cmp_gt_u32 s9, 0x3bffffff
	s_cbranch_scc0 .LBB175_300
; %bb.298:
	s_bfe_u32 s10, s9, 0x10014
	s_delay_alu instid0(SALU_CYCLE_1) | instskip(SKIP_2) | instid1(SALU_CYCLE_1)
	s_add_i32 s9, s9, s10
	s_mov_b32 s10, 0
	s_add_i32 s9, s9, 0x487ffff
	s_lshr_b32 s11, s9, 20
	s_mov_b32 s9, -1
	s_branch .LBB175_301
.LBB175_299:
	s_mov_b32 s26, s42
	s_branch .LBB175_320
.LBB175_300:
	s_mov_b32 s10, -1
	s_mov_b32 s9, 0
                                        ; implicit-def: $sgpr11
.LBB175_301:
	v_mov_b32_e32 v6, s11
	s_and_not1_b32 vcc_lo, exec_lo, s10
                                        ; implicit-def: $sgpr10
	s_cbranch_vccnz .LBB175_303
; %bb.302:
	v_add_f32_e32 v5, 0x46000000, v5
	s_mov_b32 s10, 0
	s_delay_alu instid0(VALU_DEP_1) | instskip(NEXT) | instid1(VALU_DEP_1)
	v_and_b32_e32 v6, 0xff, v5
	v_cmp_ne_u32_e64 s9, 0, v6
.LBB175_303:
	v_mov_b32_e32 v7, s10
	s_delay_alu instid0(VALU_DEP_2)
	s_and_not1_b32 vcc_lo, exec_lo, s9
	s_cbranch_vccnz .LBB175_305
; %bb.304:
	v_mov_b32_e32 v7, v6
.LBB175_305:
	global_store_b8 v[3:4], v7, off
.LBB175_306:
	s_mov_b32 s9, -1
.LBB175_307:
	s_mov_b32 s10, 0
.LBB175_308:
	s_delay_alu instid0(SALU_CYCLE_1)
	s_and_b32 vcc_lo, exec_lo, s10
	s_cbranch_vccz .LBB175_469
; %bb.309:
	v_cmp_gt_i16_e64 s8, s4, 22
	s_delay_alu instid0(VALU_DEP_1)
	s_and_b32 vcc_lo, exec_lo, s8
	s_mov_b32 s8, -1
	s_cbranch_vccz .LBB175_462
; %bb.310:
	v_cmp_lt_i16_e64 s8, s4, 24
	s_delay_alu instid0(VALU_DEP_1)
	s_and_b32 vcc_lo, exec_lo, s8
	s_mov_b32 s8, -1
	s_cbranch_vccnz .LBB175_449
; %bb.311:
	v_cmp_gt_i16_e64 s8, s4, 24
	s_delay_alu instid0(VALU_DEP_1)
	s_and_b32 vcc_lo, exec_lo, s8
	s_mov_b32 s8, -1
	s_cbranch_vccz .LBB175_436
; %bb.312:
	s_clz_i32_u32 s8, s3
	v_mov_b32_e32 v7, 0x80
	s_min_u32 s10, s8, 32
	s_delay_alu instid0(SALU_CYCLE_1) | instskip(NEXT) | instid1(SALU_CYCLE_1)
	s_lshl_b64 s[8:9], s[2:3], s10
	s_min_u32 s8, s8, 1
	s_delay_alu instid0(SALU_CYCLE_1) | instskip(NEXT) | instid1(SALU_CYCLE_1)
	s_or_b32 s8, s9, s8
	v_cvt_f32_u32_e32 v5, s8
	s_sub_i32 s8, 32, s10
	s_delay_alu instid0(VALU_DEP_1) | instid1(SALU_CYCLE_1)
	v_ldexp_f32 v5, v5, s8
	s_delay_alu instid0(VALU_DEP_1)
	v_cmp_lt_u32_e32 vcc_lo, 0x477fffff, v5
	v_readfirstlane_b32 s8, v5
	s_cbranch_vccnz .LBB175_435
; %bb.313:
	s_delay_alu instid0(VALU_DEP_1)
	s_cmp_gt_u32 s8, 0x37ffffff
	s_cbranch_scc0 .LBB175_430
; %bb.314:
	s_bfe_u32 s9, s8, 0x10015
	s_delay_alu instid0(SALU_CYCLE_1) | instskip(SKIP_2) | instid1(SALU_CYCLE_1)
	s_add_i32 s8, s8, s9
	s_mov_b32 s9, 0
	s_add_i32 s8, s8, 0x88fffff
	s_lshr_b32 s10, s8, 21
	s_mov_b32 s8, -1
	s_branch .LBB175_431
.LBB175_315:
	s_mov_b32 s26, s42
.LBB175_316:
	s_and_b32 vcc_lo, exec_lo, s28
	s_cbranch_vccz .LBB175_319
; %bb.317:
	v_cmp_eq_u16_e32 vcc_lo, 44, v24
	s_mov_b32 s26, -1
	s_cbranch_vccz .LBB175_319
; %bb.318:
	v_cndmask_b32_e64 v2, v23, 0xff, s10
	s_mov_b32 s27, -1
	s_mov_b32 s26, 0
	global_store_b8 v[6:7], v2, off
.LBB175_319:
	s_mov_b32 s28, 0
.LBB175_320:
	s_delay_alu instid0(SALU_CYCLE_1)
	s_and_b32 vcc_lo, exec_lo, s28
	s_cbranch_vccz .LBB175_323
; %bb.321:
	v_cmp_eq_u16_e32 vcc_lo, 29, v24
	s_mov_b32 s26, -1
	s_cbranch_vccz .LBB175_323
; %bb.322:
	v_dual_mov_b32 v2, s14 :: v_dual_mov_b32 v3, s15
	s_mov_b32 s27, -1
	s_mov_b32 s26, 0
	s_mov_b32 s28, 0
	global_store_b64 v[6:7], v[2:3], off
	s_branch .LBB175_324
.LBB175_323:
	s_mov_b32 s28, 0
.LBB175_324:
	s_delay_alu instid0(SALU_CYCLE_1)
	s_and_b32 vcc_lo, exec_lo, s28
	s_cbranch_vccz .LBB175_337
; %bb.325:
	v_cmp_gt_i16_e32 vcc_lo, 27, v24
	s_mov_b32 s27, -1
	s_cbranch_vccnz .LBB175_331
; %bb.326:
	v_cmp_lt_i16_e32 vcc_lo, 27, v24
	s_cbranch_vccz .LBB175_328
; %bb.327:
	v_mov_b32_e32 v2, s14
	s_mov_b32 s27, 0
	global_store_b32 v[6:7], v2, off
.LBB175_328:
	s_and_not1_b32 vcc_lo, exec_lo, s27
	s_cbranch_vccnz .LBB175_330
; %bb.329:
	v_mov_b32_e32 v2, s14
	global_store_b16 v[6:7], v2, off
.LBB175_330:
	s_mov_b32 s27, 0
.LBB175_331:
	s_delay_alu instid0(SALU_CYCLE_1)
	s_and_not1_b32 vcc_lo, exec_lo, s27
	s_cbranch_vccnz .LBB175_336
; %bb.332:
	v_mov_b32_e32 v2, 0x80
	s_and_not1_b32 vcc_lo, exec_lo, s9
	s_cbranch_vccnz .LBB175_335
; %bb.333:
	v_mov_b32_e32 v2, 0
	s_or_b32 s27, s8, s36
	s_delay_alu instid0(SALU_CYCLE_1)
	s_and_not1_b32 vcc_lo, exec_lo, s27
	s_cbranch_vccnz .LBB175_335
; %bb.334:
	v_cndmask_b32_e64 v2, v21, v22, s8
.LBB175_335:
	global_store_b8 v[6:7], v2, off
.LBB175_336:
	s_mov_b32 s27, -1
.LBB175_337:
	s_mov_b32 s28, 0
.LBB175_338:
	s_delay_alu instid0(SALU_CYCLE_1)
	s_and_b32 vcc_lo, exec_lo, s28
	s_cbranch_vccz .LBB175_360
; %bb.339:
	v_cmp_lt_i16_e32 vcc_lo, 22, v24
	s_mov_b32 s28, -1
	s_cbranch_vccz .LBB175_352
; %bb.340:
	v_cmp_gt_i16_e32 vcc_lo, 24, v24
	s_mov_b32 s27, -1
	s_cbranch_vccnz .LBB175_349
; %bb.341:
	v_cmp_lt_i16_e32 vcc_lo, 24, v24
	s_cbranch_vccz .LBB175_346
; %bb.342:
	v_mov_b32_e32 v2, 0x80
	s_and_not1_b32 vcc_lo, exec_lo, s7
	s_cbranch_vccnz .LBB175_345
; %bb.343:
	v_mov_b32_e32 v2, 0
	s_or_b32 s27, s6, s35
	s_delay_alu instid0(SALU_CYCLE_1)
	s_and_not1_b32 vcc_lo, exec_lo, s27
	s_cbranch_vccnz .LBB175_345
; %bb.344:
	v_cndmask_b32_e64 v2, v16, v20, s6
.LBB175_345:
	s_mov_b32 s27, 0
	global_store_b8 v[6:7], v2, off
.LBB175_346:
	s_and_b32 vcc_lo, exec_lo, s27
	s_cbranch_vccz .LBB175_348
; %bb.347:
	v_cndmask_b32_e64 v2, v17, v18, s5
	s_delay_alu instid0(VALU_DEP_1)
	v_cndmask_b32_e64 v2, v2, v19, s4
	global_store_b8 v[6:7], v2, off
.LBB175_348:
	s_mov_b32 s27, 0
.LBB175_349:
	s_delay_alu instid0(SALU_CYCLE_1)
	s_and_not1_b32 vcc_lo, exec_lo, s27
	s_cbranch_vccnz .LBB175_351
; %bb.350:
	v_cndmask_b32_e64 v2, v13, v14, s3
	s_delay_alu instid0(VALU_DEP_1)
	v_cndmask_b32_e64 v2, v2, v15, s2
	global_store_b8 v[6:7], v2, off
.LBB175_351:
	s_mov_b32 s28, 0
	s_mov_b32 s27, -1
.LBB175_352:
	s_and_not1_b32 vcc_lo, exec_lo, s28
	s_cbranch_vccnz .LBB175_360
; %bb.353:
	v_cmp_lt_i16_e32 vcc_lo, 14, v24
	s_mov_b32 s28, -1
	s_cbranch_vccz .LBB175_357
; %bb.354:
	v_cmp_eq_u16_e32 vcc_lo, 15, v24
	s_mov_b32 s26, -1
	s_cbranch_vccz .LBB175_356
; %bb.355:
	s_mov_b32 s27, -1
	s_mov_b32 s26, 0
	global_store_b16 v[6:7], v12, off
.LBB175_356:
	s_mov_b32 s28, 0
.LBB175_357:
	s_delay_alu instid0(SALU_CYCLE_1)
	s_and_b32 vcc_lo, exec_lo, s28
	s_cbranch_vccz .LBB175_360
; %bb.358:
	v_cmp_eq_u16_e32 vcc_lo, 11, v24
	s_mov_b32 s26, -1
	s_cbranch_vccz .LBB175_360
; %bb.359:
	s_mov_b32 s27, -1
	s_mov_b32 s26, 0
	global_store_b8 v[6:7], v11, off
.LBB175_360:
.LBB175_361:
	s_and_not1_b32 vcc_lo, exec_lo, s27
	s_cbranch_vccnz .LBB175_275
.LBB175_362:
	v_add_nc_u32_e32 v9, 0x80, v9
	s_mov_b32 s27, -1
.LBB175_363:
	s_and_not1_b32 s28, s42, exec_lo
	s_and_b32 s26, s26, exec_lo
	s_delay_alu instid0(SALU_CYCLE_1)
	s_or_b32 s44, s28, s26
	s_or_not1_b32 s28, s27, exec_lo
.LBB175_364:
	s_or_b32 exec_lo, exec_lo, s45
	s_mov_b32 s26, 0
	s_mov_b32 s27, 0
                                        ; implicit-def: $vgpr24
                                        ; implicit-def: $vgpr6_vgpr7
	s_and_saveexec_b32 s45, s28
	s_cbranch_execz .LBB175_681
; %bb.365:
	s_mov_b32 s47, -1
	s_mov_b32 s28, s44
	s_mov_b32 s46, exec_lo
	v_cmpx_gt_i32_e64 s39, v9
	s_cbranch_execz .LBB175_612
; %bb.366:
	s_and_not1_b32 vcc_lo, exec_lo, s33
	s_cbranch_vccnz .LBB175_371
; %bb.367:
	v_mov_b32_e32 v2, 0
	s_and_not1_b32 vcc_lo, exec_lo, s41
	s_cbranch_vccnz .LBB175_376
; %bb.368:
	s_add_i32 s48, s40, 1
	s_cmp_eq_u32 s30, 2
	s_mov_b32 s47, 0
	s_cbranch_scc1 .LBB175_372
; %bb.369:
	v_dual_mov_b32 v2, 0 :: v_dual_mov_b32 v3, v9
	s_and_b32 s47, s48, 28
	s_mov_b32 s49, 0
	s_mov_b64 s[26:27], s[0:1]
	s_mov_b64 s[28:29], s[24:25]
.LBB175_370:                            ; =>This Inner Loop Header: Depth=1
	s_clause 0x1
	s_load_b256 s[52:59], s[26:27], 0x4
	s_load_b128 s[60:63], s[26:27], 0x24
	s_load_b128 s[64:67], s[28:29], 0x0
	s_add_u32 s26, s26, 48
	s_addc_u32 s27, s27, 0
	s_add_i32 s49, s49, 4
	s_add_u32 s28, s28, 16
	s_addc_u32 s29, s29, 0
	s_cmp_eq_u32 s47, s49
	s_waitcnt lgkmcnt(0)
	v_mul_hi_u32 v5, s53, v3
	s_delay_alu instid0(VALU_DEP_1) | instskip(NEXT) | instid1(VALU_DEP_1)
	v_add_nc_u32_e32 v5, v3, v5
	v_lshrrev_b32_e32 v5, s54, v5
	s_delay_alu instid0(VALU_DEP_1) | instskip(SKIP_1) | instid1(VALU_DEP_2)
	v_mul_hi_u32 v6, s56, v5
	v_mul_lo_u32 v25, v5, s52
	v_add_nc_u32_e32 v6, v5, v6
	s_delay_alu instid0(VALU_DEP_2) | instskip(NEXT) | instid1(VALU_DEP_2)
	v_sub_nc_u32_e32 v25, v3, v25
	v_lshrrev_b32_e32 v6, s57, v6
	s_delay_alu instid0(VALU_DEP_2) | instskip(NEXT) | instid1(VALU_DEP_2)
	v_mul_lo_u32 v25, v25, s64
	v_mul_hi_u32 v7, s59, v6
	v_mul_lo_u32 v26, v6, s55
	s_delay_alu instid0(VALU_DEP_2) | instskip(NEXT) | instid1(VALU_DEP_2)
	v_add_nc_u32_e32 v7, v6, v7
	v_sub_nc_u32_e32 v5, v5, v26
	s_delay_alu instid0(VALU_DEP_2) | instskip(NEXT) | instid1(VALU_DEP_2)
	v_lshrrev_b32_e32 v7, s60, v7
	v_mul_lo_u32 v5, v5, s65
	s_delay_alu instid0(VALU_DEP_2) | instskip(NEXT) | instid1(VALU_DEP_2)
	v_mul_hi_u32 v24, s62, v7
	v_add3_u32 v2, v25, v2, v5
	s_delay_alu instid0(VALU_DEP_2) | instskip(NEXT) | instid1(VALU_DEP_1)
	v_add_nc_u32_e32 v24, v7, v24
	v_lshrrev_b32_e32 v3, s63, v24
	v_mul_lo_u32 v24, v7, s58
	s_delay_alu instid0(VALU_DEP_2) | instskip(NEXT) | instid1(VALU_DEP_2)
	v_mul_lo_u32 v27, v3, s61
	v_sub_nc_u32_e32 v6, v6, v24
	s_delay_alu instid0(VALU_DEP_2) | instskip(NEXT) | instid1(VALU_DEP_2)
	v_sub_nc_u32_e32 v7, v7, v27
	v_mul_lo_u32 v6, v6, s66
	s_delay_alu instid0(VALU_DEP_2) | instskip(NEXT) | instid1(VALU_DEP_1)
	v_mul_lo_u32 v7, v7, s67
	v_add3_u32 v2, v6, v2, v7
	s_cbranch_scc0 .LBB175_370
	s_branch .LBB175_373
.LBB175_371:
	s_mov_b32 s26, -1
                                        ; implicit-def: $vgpr2
	s_branch .LBB175_377
.LBB175_372:
	v_mov_b32_e32 v3, v9
.LBB175_373:
	s_and_b32 s48, s48, 3
	s_delay_alu instid0(SALU_CYCLE_1)
	s_cmp_eq_u32 s48, 0
	s_cbranch_scc1 .LBB175_376
; %bb.374:
	s_lshl_b32 s26, s47, 2
	s_mul_i32 s28, s47, 12
	s_add_u32 s26, s26, s0
	s_addc_u32 s27, s1, 0
	s_add_u32 s26, s26, 0xc4
	s_addc_u32 s27, s27, 0
	;; [unrolled: 2-line block ×3, first 2 shown]
	.p2align	6
.LBB175_375:                            ; =>This Inner Loop Header: Depth=1
	s_clause 0x1
	s_load_b64 s[50:51], s[28:29], 0x4
	s_load_b32 s47, s[28:29], 0xc
	s_load_b32 s49, s[26:27], 0x0
	s_add_u32 s28, s28, 12
	s_addc_u32 s29, s29, 0
	s_add_u32 s26, s26, 4
	s_addc_u32 s27, s27, 0
	s_add_i32 s48, s48, -1
	s_delay_alu instid0(SALU_CYCLE_1) | instskip(SKIP_2) | instid1(VALU_DEP_1)
	s_cmp_lg_u32 s48, 0
	s_waitcnt lgkmcnt(0)
	v_mul_hi_u32 v5, s51, v3
	v_add_nc_u32_e32 v5, v3, v5
	s_delay_alu instid0(VALU_DEP_1) | instskip(NEXT) | instid1(VALU_DEP_1)
	v_lshrrev_b32_e32 v7, s47, v5
	v_mul_lo_u32 v5, v7, s50
	s_delay_alu instid0(VALU_DEP_1) | instskip(NEXT) | instid1(VALU_DEP_1)
	v_sub_nc_u32_e32 v3, v3, v5
	v_mad_u64_u32 v[5:6], null, v3, s49, v[2:3]
	s_delay_alu instid0(VALU_DEP_1)
	v_dual_mov_b32 v3, v7 :: v_dual_mov_b32 v2, v5
	s_cbranch_scc1 .LBB175_375
.LBB175_376:
	s_mov_b32 s26, 0
.LBB175_377:
	s_delay_alu instid0(SALU_CYCLE_1)
	s_and_not1_b32 vcc_lo, exec_lo, s26
	s_cbranch_vccnz .LBB175_380
; %bb.378:
	v_mul_hi_u32 v2, s17, v9
	s_and_not1_b32 vcc_lo, exec_lo, s38
	s_delay_alu instid0(VALU_DEP_1) | instskip(NEXT) | instid1(VALU_DEP_1)
	v_add_nc_u32_e32 v2, v9, v2
	v_lshrrev_b32_e32 v3, s18, v2
	s_delay_alu instid0(VALU_DEP_1) | instskip(NEXT) | instid1(VALU_DEP_1)
	v_mul_lo_u32 v2, v3, s16
	v_sub_nc_u32_e32 v2, v9, v2
	s_delay_alu instid0(VALU_DEP_1)
	v_mul_lo_u32 v2, v2, s20
	s_cbranch_vccnz .LBB175_380
; %bb.379:
	v_mul_hi_u32 v5, s22, v3
	s_delay_alu instid0(VALU_DEP_1) | instskip(NEXT) | instid1(VALU_DEP_1)
	v_add_nc_u32_e32 v5, v3, v5
	v_lshrrev_b32_e32 v5, s23, v5
	s_delay_alu instid0(VALU_DEP_1) | instskip(NEXT) | instid1(VALU_DEP_1)
	v_mul_lo_u32 v5, v5, s19
	v_sub_nc_u32_e32 v3, v3, v5
	s_delay_alu instid0(VALU_DEP_1) | instskip(NEXT) | instid1(VALU_DEP_1)
	v_mad_u64_u32 v[5:6], null, v3, s21, v[2:3]
	v_mov_b32_e32 v2, v5
.LBB175_380:
	v_and_b32_e64 v24, 0xff, s37
	s_delay_alu instid0(VALU_DEP_2) | instskip(NEXT) | instid1(VALU_DEP_1)
	v_add_co_u32 v6, s26, s12, v2
	v_add_co_ci_u32_e64 v7, null, s13, 0, s26
	s_delay_alu instid0(VALU_DEP_3)
	v_cmp_gt_i16_e32 vcc_lo, 11, v24
	s_mov_b32 s27, 0
	s_mov_b32 s28, -1
	s_mov_b32 s26, s44
	s_cbranch_vccnz .LBB175_387
; %bb.381:
	v_cmp_lt_i16_e32 vcc_lo, 25, v24
	s_cbranch_vccz .LBB175_427
; %bb.382:
	v_cmp_lt_i16_e32 vcc_lo, 28, v24
	s_cbranch_vccz .LBB175_428
; %bb.383:
	v_cmp_lt_i16_e32 vcc_lo, 43, v24
	s_cbranch_vccz .LBB175_429
; %bb.384:
	v_cmp_lt_i16_e32 vcc_lo, 45, v24
	s_cbranch_vccz .LBB175_563
; %bb.385:
	v_cmp_eq_u16_e32 vcc_lo, 46, v24
	s_mov_b32 s28, 0
	s_mov_b32 s26, -1
	s_cbranch_vccz .LBB175_564
; %bb.386:
	s_mov_b32 s27, -1
	s_mov_b32 s26, 0
	global_store_b32 v[6:7], v12, off
	s_branch .LBB175_564
.LBB175_387:
	s_and_b32 vcc_lo, exec_lo, s28
	s_cbranch_vccz .LBB175_609
; %bb.388:
	v_cmp_gt_i16_e32 vcc_lo, 5, v24
	s_mov_b32 s27, -1
	s_cbranch_vccnz .LBB175_409
; %bb.389:
	v_cmp_gt_i16_e32 vcc_lo, 8, v24
	s_cbranch_vccnz .LBB175_399
; %bb.390:
	v_cmp_gt_i16_e32 vcc_lo, 9, v24
	s_cbranch_vccnz .LBB175_396
; %bb.391:
	v_cmp_lt_i16_e32 vcc_lo, 9, v24
	s_cbranch_vccz .LBB175_393
; %bb.392:
	v_mov_b32_e32 v2, 0
	s_mov_b32 s27, 0
	s_delay_alu instid0(VALU_DEP_1)
	v_mov_b32_e32 v3, v2
	global_store_b128 v[6:7], v[0:3], off
.LBB175_393:
	s_and_not1_b32 vcc_lo, exec_lo, s27
	s_cbranch_vccnz .LBB175_395
; %bb.394:
	v_mov_b32_e32 v5, 0
	global_store_b64 v[6:7], v[4:5], off
.LBB175_395:
	s_mov_b32 s27, 0
.LBB175_396:
	s_delay_alu instid0(SALU_CYCLE_1)
	s_and_not1_b32 vcc_lo, exec_lo, s27
	s_cbranch_vccnz .LBB175_398
; %bb.397:
	global_store_b32 v[6:7], v10, off
.LBB175_398:
	s_mov_b32 s27, 0
.LBB175_399:
	s_delay_alu instid0(SALU_CYCLE_1)
	s_and_not1_b32 vcc_lo, exec_lo, s27
	s_cbranch_vccnz .LBB175_408
; %bb.400:
	v_cmp_gt_i16_e32 vcc_lo, 6, v24
	s_mov_b32 s27, -1
	s_cbranch_vccnz .LBB175_406
; %bb.401:
	v_cmp_lt_i16_e32 vcc_lo, 6, v24
	s_cbranch_vccz .LBB175_403
; %bb.402:
	s_mov_b32 s27, 0
	global_store_b64 v[6:7], v[0:1], off
.LBB175_403:
	s_and_not1_b32 vcc_lo, exec_lo, s27
	s_cbranch_vccnz .LBB175_405
; %bb.404:
	global_store_b32 v[6:7], v4, off
.LBB175_405:
	s_mov_b32 s27, 0
.LBB175_406:
	s_delay_alu instid0(SALU_CYCLE_1)
	s_and_not1_b32 vcc_lo, exec_lo, s27
	s_cbranch_vccnz .LBB175_408
; %bb.407:
	global_store_b16 v[6:7], v8, off
.LBB175_408:
	s_mov_b32 s27, 0
.LBB175_409:
	s_delay_alu instid0(SALU_CYCLE_1)
	s_and_not1_b32 vcc_lo, exec_lo, s27
	s_cbranch_vccnz .LBB175_425
; %bb.410:
	v_cmp_gt_i16_e32 vcc_lo, 2, v24
	s_mov_b32 s27, -1
	s_cbranch_vccnz .LBB175_420
; %bb.411:
	v_cmp_gt_i16_e32 vcc_lo, 3, v24
	s_cbranch_vccnz .LBB175_417
; %bb.412:
	v_cmp_lt_i16_e32 vcc_lo, 3, v24
	s_cbranch_vccz .LBB175_414
; %bb.413:
	v_dual_mov_b32 v2, s14 :: v_dual_mov_b32 v3, s15
	s_mov_b32 s27, 0
	global_store_b64 v[6:7], v[2:3], off
.LBB175_414:
	s_and_not1_b32 vcc_lo, exec_lo, s27
	s_cbranch_vccnz .LBB175_416
; %bb.415:
	v_mov_b32_e32 v2, s14
	global_store_b32 v[6:7], v2, off
.LBB175_416:
	s_mov_b32 s27, 0
.LBB175_417:
	s_delay_alu instid0(SALU_CYCLE_1)
	s_and_not1_b32 vcc_lo, exec_lo, s27
	s_cbranch_vccnz .LBB175_419
; %bb.418:
	v_mov_b32_e32 v2, s14
	global_store_b16 v[6:7], v2, off
.LBB175_419:
	s_mov_b32 s27, 0
.LBB175_420:
	s_delay_alu instid0(SALU_CYCLE_1)
	s_and_not1_b32 vcc_lo, exec_lo, s27
	s_cbranch_vccnz .LBB175_425
; %bb.421:
	v_cmp_lt_i16_e32 vcc_lo, 0, v24
	s_mov_b32 s27, -1
	s_cbranch_vccz .LBB175_423
; %bb.422:
	v_mov_b32_e32 v2, s14
	s_mov_b32 s27, 0
	global_store_b8 v[6:7], v2, off
.LBB175_423:
	s_and_not1_b32 vcc_lo, exec_lo, s27
	s_cbranch_vccnz .LBB175_425
; %bb.424:
	v_mov_b32_e32 v2, s14
	global_store_b8 v[6:7], v2, off
.LBB175_425:
	s_branch .LBB175_610
.LBB175_426:
	s_mov_b32 s27, 0
                                        ; implicit-def: $vgpr9
	s_branch .LBB175_611
.LBB175_427:
	s_mov_b32 s26, s44
	s_branch .LBB175_586
.LBB175_428:
	s_mov_b32 s26, s44
	s_branch .LBB175_572
.LBB175_429:
	s_mov_b32 s26, s44
	s_branch .LBB175_568
.LBB175_430:
	s_mov_b32 s9, -1
	s_mov_b32 s8, 0
                                        ; implicit-def: $sgpr10
.LBB175_431:
	v_mov_b32_e32 v6, s10
	s_and_not1_b32 vcc_lo, exec_lo, s9
                                        ; implicit-def: $sgpr9
	s_cbranch_vccnz .LBB175_433
; %bb.432:
	v_add_f32_e32 v5, 0x42800000, v5
	s_mov_b32 s9, 0
	s_delay_alu instid0(VALU_DEP_1) | instskip(NEXT) | instid1(VALU_DEP_1)
	v_and_b32_e32 v6, 0xff, v5
	v_cmp_ne_u32_e64 s8, 0, v6
.LBB175_433:
	v_mov_b32_e32 v7, s9
	s_delay_alu instid0(VALU_DEP_2)
	s_and_not1_b32 vcc_lo, exec_lo, s8
	s_cbranch_vccnz .LBB175_435
; %bb.434:
	v_mov_b32_e32 v7, v6
.LBB175_435:
	s_mov_b32 s8, 0
	global_store_b8 v[3:4], v7, off
.LBB175_436:
	s_and_b32 vcc_lo, exec_lo, s8
	s_cbranch_vccz .LBB175_448
; %bb.437:
	s_clz_i32_u32 s8, s3
	s_delay_alu instid0(SALU_CYCLE_1) | instskip(NEXT) | instid1(SALU_CYCLE_1)
	s_min_u32 s10, s8, 32
	s_lshl_b64 s[8:9], s[2:3], s10
	s_delay_alu instid0(SALU_CYCLE_1) | instskip(NEXT) | instid1(SALU_CYCLE_1)
	s_min_u32 s8, s8, 1
	s_or_b32 s8, s9, s8
	s_delay_alu instid0(SALU_CYCLE_1)
	v_cvt_f32_u32_e32 v5, s8
	s_sub_i32 s8, 32, s10
	s_delay_alu instid0(VALU_DEP_1) | instid1(SALU_CYCLE_1)
	v_ldexp_f32 v5, v5, s8
	s_delay_alu instid0(VALU_DEP_1)
	v_cmp_gt_u32_e32 vcc_lo, 0x43f00000, v5
	v_readfirstlane_b32 s8, v5
	s_cbranch_vccz .LBB175_440
; %bb.438:
	s_delay_alu instid0(VALU_DEP_1)
	s_cmp_gt_u32 s8, 0x3c7fffff
	s_cbranch_scc0 .LBB175_441
; %bb.439:
	s_bfe_u32 s9, s8, 0x10014
	s_delay_alu instid0(SALU_CYCLE_1) | instskip(NEXT) | instid1(SALU_CYCLE_1)
	s_add_i32 s9, s8, s9
	s_add_i32 s9, s9, 0x407ffff
	s_delay_alu instid0(SALU_CYCLE_1)
	s_and_b32 s10, s9, 0xff00000
	s_lshr_b32 s9, s9, 20
	s_cmp_lg_u32 s10, 0x7f00000
	s_cselect_b32 s10, s9, 0x7e
	s_mov_b32 s9, 0
	s_branch .LBB175_442
.LBB175_440:
	s_mov_b32 s9, -1
                                        ; implicit-def: $vgpr6
	s_branch .LBB175_445
.LBB175_441:
	s_mov_b32 s9, -1
                                        ; implicit-def: $sgpr10
.LBB175_442:
	v_mov_b32_e32 v6, s10
	s_and_not1_b32 vcc_lo, exec_lo, s9
	s_cbranch_vccnz .LBB175_444
; %bb.443:
	v_add_f32_e32 v6, 0x46800000, v5
.LBB175_444:
	s_mov_b32 s9, 0
.LBB175_445:
	s_delay_alu instid0(SALU_CYCLE_1)
	s_and_not1_b32 vcc_lo, exec_lo, s9
	s_cbranch_vccnz .LBB175_447
; %bb.446:
	s_cmp_gt_u32 s8, 0x7f800000
	s_movk_i32 s8, 0x7f
	s_delay_alu instid0(SALU_CYCLE_1) | instskip(NEXT) | instid1(SALU_CYCLE_1)
	s_cselect_b32 s8, s8, 0x7e
	v_mov_b32_e32 v6, s8
.LBB175_447:
	global_store_b8 v[3:4], v6, off
.LBB175_448:
	s_mov_b32 s8, 0
.LBB175_449:
	s_delay_alu instid0(SALU_CYCLE_1)
	s_and_not1_b32 vcc_lo, exec_lo, s8
	s_cbranch_vccnz .LBB175_461
; %bb.450:
	s_clz_i32_u32 s8, s3
	s_delay_alu instid0(SALU_CYCLE_1) | instskip(NEXT) | instid1(SALU_CYCLE_1)
	s_min_u32 s10, s8, 32
	s_lshl_b64 s[8:9], s[2:3], s10
	s_delay_alu instid0(SALU_CYCLE_1) | instskip(NEXT) | instid1(SALU_CYCLE_1)
	s_min_u32 s8, s8, 1
	s_or_b32 s8, s9, s8
	s_delay_alu instid0(SALU_CYCLE_1)
	v_cvt_f32_u32_e32 v5, s8
	s_sub_i32 s8, 32, s10
	s_delay_alu instid0(VALU_DEP_1) | instid1(SALU_CYCLE_1)
	v_ldexp_f32 v5, v5, s8
	s_delay_alu instid0(VALU_DEP_1)
	v_cmp_gt_u32_e32 vcc_lo, 0x47800000, v5
	v_readfirstlane_b32 s8, v5
	s_cbranch_vccz .LBB175_453
; %bb.451:
	s_delay_alu instid0(VALU_DEP_1)
	s_cmp_gt_u32 s8, 0x387fffff
	s_cbranch_scc0 .LBB175_454
; %bb.452:
	s_bfe_u32 s9, s8, 0x10015
	s_delay_alu instid0(SALU_CYCLE_1) | instskip(NEXT) | instid1(SALU_CYCLE_1)
	s_add_i32 s9, s8, s9
	s_add_i32 s9, s9, 0x80fffff
	s_delay_alu instid0(SALU_CYCLE_1)
	s_lshr_b32 s10, s9, 21
	s_mov_b32 s9, 0
	s_branch .LBB175_455
.LBB175_453:
	s_mov_b32 s9, -1
                                        ; implicit-def: $vgpr6
	s_branch .LBB175_458
.LBB175_454:
	s_mov_b32 s9, -1
                                        ; implicit-def: $sgpr10
.LBB175_455:
	v_mov_b32_e32 v6, s10
	s_and_not1_b32 vcc_lo, exec_lo, s9
	s_cbranch_vccnz .LBB175_457
; %bb.456:
	v_add_f32_e32 v6, 0x43000000, v5
.LBB175_457:
	s_mov_b32 s9, 0
.LBB175_458:
	s_delay_alu instid0(SALU_CYCLE_1)
	s_and_not1_b32 vcc_lo, exec_lo, s9
	s_cbranch_vccnz .LBB175_460
; %bb.459:
	s_cmp_gt_u32 s8, 0x7f800000
	s_movk_i32 s8, 0x7f
	s_delay_alu instid0(SALU_CYCLE_1) | instskip(NEXT) | instid1(SALU_CYCLE_1)
	s_cselect_b32 s8, s8, 0x7c
	v_mov_b32_e32 v6, s8
.LBB175_460:
	global_store_b8 v[3:4], v6, off
.LBB175_461:
	s_mov_b32 s8, 0
	s_mov_b32 s9, -1
.LBB175_462:
	s_and_not1_b32 vcc_lo, exec_lo, s8
	s_mov_b32 s8, 0
	s_cbranch_vccnz .LBB175_469
; %bb.463:
	v_cmp_gt_i16_e64 s8, s4, 14
	s_delay_alu instid0(VALU_DEP_1)
	s_and_b32 vcc_lo, exec_lo, s8
	s_mov_b32 s8, -1
	s_cbranch_vccz .LBB175_467
; %bb.464:
	v_cmp_eq_u16_e64 s5, s4, 15
	s_delay_alu instid0(VALU_DEP_1)
	s_and_b32 vcc_lo, exec_lo, s5
	s_mov_b32 s5, -1
	s_cbranch_vccz .LBB175_466
; %bb.465:
	s_clz_i32_u32 s5, s3
	s_delay_alu instid0(SALU_CYCLE_1) | instskip(NEXT) | instid1(SALU_CYCLE_1)
	s_min_u32 s5, s5, 32
	s_lshl_b64 s[8:9], s[2:3], s5
	s_sub_i32 s5, 32, s5
	s_min_u32 s8, s8, 1
	s_delay_alu instid0(SALU_CYCLE_1) | instskip(SKIP_2) | instid1(VALU_DEP_1)
	s_or_b32 s8, s9, s8
	s_mov_b32 s9, -1
	v_cvt_f32_u32_e32 v5, s8
	v_ldexp_f32 v5, v5, s5
	s_mov_b32 s5, 0
	s_delay_alu instid0(VALU_DEP_1) | instskip(NEXT) | instid1(VALU_DEP_1)
	v_bfe_u32 v6, v5, 16, 1
	v_add_nc_u32_e32 v5, v5, v6
	s_delay_alu instid0(VALU_DEP_1)
	v_add_nc_u32_e32 v5, 0x7fff, v5
	global_store_d16_hi_b16 v[3:4], v5, off
.LBB175_466:
	s_mov_b32 s8, 0
.LBB175_467:
	s_delay_alu instid0(SALU_CYCLE_1)
	s_and_b32 vcc_lo, exec_lo, s8
	s_mov_b32 s8, 0
	s_cbranch_vccz .LBB175_469
; %bb.468:
	v_cmp_ne_u16_e64 s5, s4, 11
	s_mov_b32 s8, -1
.LBB175_469:
	s_delay_alu instid0(VALU_DEP_1)
	s_and_b32 vcc_lo, exec_lo, s5
	s_mov_b32 s5, s6
	s_cbranch_vccnz .LBB175_522
; %bb.470:
	s_and_not1_b32 vcc_lo, exec_lo, s8
	s_cbranch_vccnz .LBB175_472
.LBB175_471:
	s_cmp_lg_u64 s[2:3], 0
	s_mov_b32 s9, -1
	s_cselect_b32 s8, -1, 0
	s_delay_alu instid0(SALU_CYCLE_1)
	v_cndmask_b32_e64 v5, 0, 1, s8
	global_store_b8 v[3:4], v5, off
.LBB175_472:
	s_mov_b32 s8, 0
.LBB175_473:
	s_delay_alu instid0(SALU_CYCLE_1)
	s_and_b32 vcc_lo, exec_lo, s8
	s_cbranch_vccz .LBB175_512
; %bb.474:
	v_cmp_lt_i16_e64 s8, s4, 5
	s_delay_alu instid0(VALU_DEP_1)
	s_and_b32 vcc_lo, exec_lo, s8
	s_mov_b32 s8, -1
	s_cbranch_vccnz .LBB175_495
; %bb.475:
	v_cmp_lt_i16_e64 s8, s4, 8
	s_delay_alu instid0(VALU_DEP_1)
	s_and_b32 vcc_lo, exec_lo, s8
	s_mov_b32 s8, -1
	s_cbranch_vccnz .LBB175_485
	;; [unrolled: 6-line block ×3, first 2 shown]
; %bb.477:
	v_cmp_gt_i16_e64 s8, s4, 9
	s_delay_alu instid0(VALU_DEP_1)
	s_and_b32 vcc_lo, exec_lo, s8
	s_mov_b32 s8, -1
	s_cbranch_vccz .LBB175_479
; %bb.478:
	v_cvt_f64_u32_e32 v[5:6], s3
	v_cvt_f64_u32_e32 v[7:8], s2
	s_mov_b32 s8, 0
	s_delay_alu instid0(VALU_DEP_2) | instskip(NEXT) | instid1(VALU_DEP_1)
	v_ldexp_f64 v[5:6], v[5:6], 32
	v_add_f64 v[5:6], v[5:6], v[7:8]
	v_mov_b32_e32 v7, 0
	s_delay_alu instid0(VALU_DEP_1)
	v_mov_b32_e32 v8, v7
	global_store_b128 v[3:4], v[5:8], off
.LBB175_479:
	s_and_not1_b32 vcc_lo, exec_lo, s8
	s_cbranch_vccnz .LBB175_481
; %bb.480:
	s_clz_i32_u32 s8, s3
	v_mov_b32_e32 v6, 0
	s_min_u32 s10, s8, 32
	s_delay_alu instid0(SALU_CYCLE_1) | instskip(NEXT) | instid1(SALU_CYCLE_1)
	s_lshl_b64 s[8:9], s[2:3], s10
	s_min_u32 s8, s8, 1
	s_delay_alu instid0(SALU_CYCLE_1) | instskip(NEXT) | instid1(SALU_CYCLE_1)
	s_or_b32 s8, s9, s8
	v_cvt_f32_u32_e32 v5, s8
	s_sub_i32 s8, 32, s10
	s_delay_alu instid0(VALU_DEP_1) | instid1(SALU_CYCLE_1)
	v_ldexp_f32 v5, v5, s8
	global_store_b64 v[3:4], v[5:6], off
.LBB175_481:
	s_mov_b32 s8, 0
.LBB175_482:
	s_delay_alu instid0(SALU_CYCLE_1)
	s_and_not1_b32 vcc_lo, exec_lo, s8
	s_cbranch_vccnz .LBB175_484
; %bb.483:
	s_clz_i32_u32 s8, s3
	s_delay_alu instid0(SALU_CYCLE_1) | instskip(NEXT) | instid1(SALU_CYCLE_1)
	s_min_u32 s10, s8, 32
	s_lshl_b64 s[8:9], s[2:3], s10
	s_delay_alu instid0(SALU_CYCLE_1) | instskip(NEXT) | instid1(SALU_CYCLE_1)
	s_min_u32 s8, s8, 1
	s_or_b32 s8, s9, s8
	s_delay_alu instid0(SALU_CYCLE_1)
	v_cvt_f32_u32_e32 v5, s8
	s_sub_i32 s8, 32, s10
	s_delay_alu instid0(VALU_DEP_1) | instid1(SALU_CYCLE_1)
	v_ldexp_f32 v5, v5, s8
	s_delay_alu instid0(VALU_DEP_1) | instskip(NEXT) | instid1(VALU_DEP_1)
	v_cvt_f16_f32_e32 v5, v5
	v_and_b32_e32 v5, 0xffff, v5
	global_store_b32 v[3:4], v5, off
.LBB175_484:
	s_mov_b32 s8, 0
.LBB175_485:
	s_delay_alu instid0(SALU_CYCLE_1)
	s_and_not1_b32 vcc_lo, exec_lo, s8
	s_cbranch_vccnz .LBB175_494
; %bb.486:
	v_cmp_lt_i16_e64 s8, s4, 6
	s_delay_alu instid0(VALU_DEP_1)
	s_and_b32 vcc_lo, exec_lo, s8
	s_mov_b32 s8, -1
	s_cbranch_vccnz .LBB175_492
; %bb.487:
	v_cmp_gt_i16_e64 s8, s4, 6
	s_delay_alu instid0(VALU_DEP_1)
	s_and_b32 vcc_lo, exec_lo, s8
	s_mov_b32 s8, -1
	s_cbranch_vccz .LBB175_489
; %bb.488:
	v_cvt_f64_u32_e32 v[5:6], s3
	v_cvt_f64_u32_e32 v[7:8], s2
	s_mov_b32 s8, 0
	s_delay_alu instid0(VALU_DEP_2) | instskip(NEXT) | instid1(VALU_DEP_1)
	v_ldexp_f64 v[5:6], v[5:6], 32
	v_add_f64 v[5:6], v[5:6], v[7:8]
	global_store_b64 v[3:4], v[5:6], off
.LBB175_489:
	s_and_not1_b32 vcc_lo, exec_lo, s8
	s_cbranch_vccnz .LBB175_491
; %bb.490:
	s_clz_i32_u32 s8, s3
	s_delay_alu instid0(SALU_CYCLE_1) | instskip(NEXT) | instid1(SALU_CYCLE_1)
	s_min_u32 s10, s8, 32
	s_lshl_b64 s[8:9], s[2:3], s10
	s_delay_alu instid0(SALU_CYCLE_1) | instskip(NEXT) | instid1(SALU_CYCLE_1)
	s_min_u32 s8, s8, 1
	s_or_b32 s8, s9, s8
	s_delay_alu instid0(SALU_CYCLE_1)
	v_cvt_f32_u32_e32 v5, s8
	s_sub_i32 s8, 32, s10
	s_delay_alu instid0(VALU_DEP_1) | instid1(SALU_CYCLE_1)
	v_ldexp_f32 v5, v5, s8
	global_store_b32 v[3:4], v5, off
.LBB175_491:
	s_mov_b32 s8, 0
.LBB175_492:
	s_delay_alu instid0(SALU_CYCLE_1)
	s_and_not1_b32 vcc_lo, exec_lo, s8
	s_cbranch_vccnz .LBB175_494
; %bb.493:
	s_clz_i32_u32 s8, s3
	s_delay_alu instid0(SALU_CYCLE_1) | instskip(NEXT) | instid1(SALU_CYCLE_1)
	s_min_u32 s10, s8, 32
	s_lshl_b64 s[8:9], s[2:3], s10
	s_delay_alu instid0(SALU_CYCLE_1) | instskip(NEXT) | instid1(SALU_CYCLE_1)
	s_min_u32 s8, s8, 1
	s_or_b32 s8, s9, s8
	s_delay_alu instid0(SALU_CYCLE_1)
	v_cvt_f32_u32_e32 v5, s8
	s_sub_i32 s8, 32, s10
	s_delay_alu instid0(VALU_DEP_1) | instid1(SALU_CYCLE_1)
	v_ldexp_f32 v5, v5, s8
	s_delay_alu instid0(VALU_DEP_1)
	v_cvt_f16_f32_e32 v5, v5
	global_store_b16 v[3:4], v5, off
.LBB175_494:
	s_mov_b32 s8, 0
.LBB175_495:
	s_delay_alu instid0(SALU_CYCLE_1)
	s_and_not1_b32 vcc_lo, exec_lo, s8
	s_cbranch_vccnz .LBB175_511
; %bb.496:
	v_cmp_lt_i16_e64 s8, s4, 2
	s_delay_alu instid0(VALU_DEP_1)
	s_and_b32 vcc_lo, exec_lo, s8
	s_mov_b32 s8, -1
	s_cbranch_vccnz .LBB175_506
; %bb.497:
	v_cmp_lt_i16_e64 s8, s4, 3
	s_delay_alu instid0(VALU_DEP_1)
	s_and_b32 vcc_lo, exec_lo, s8
	s_mov_b32 s8, -1
	s_cbranch_vccnz .LBB175_503
; %bb.498:
	v_cmp_gt_i16_e64 s8, s4, 3
	s_delay_alu instid0(VALU_DEP_1)
	s_and_b32 vcc_lo, exec_lo, s8
	s_mov_b32 s8, -1
	s_cbranch_vccz .LBB175_500
; %bb.499:
	v_dual_mov_b32 v6, s3 :: v_dual_mov_b32 v5, s2
	s_mov_b32 s8, 0
	global_store_b64 v[3:4], v[5:6], off
.LBB175_500:
	s_and_not1_b32 vcc_lo, exec_lo, s8
	s_cbranch_vccnz .LBB175_502
; %bb.501:
	v_mov_b32_e32 v5, s2
	global_store_b32 v[3:4], v5, off
.LBB175_502:
	s_mov_b32 s8, 0
.LBB175_503:
	s_delay_alu instid0(SALU_CYCLE_1)
	s_and_not1_b32 vcc_lo, exec_lo, s8
	s_cbranch_vccnz .LBB175_505
; %bb.504:
	v_mov_b32_e32 v5, s2
	global_store_b16 v[3:4], v5, off
.LBB175_505:
	s_mov_b32 s8, 0
.LBB175_506:
	s_delay_alu instid0(SALU_CYCLE_1)
	s_and_not1_b32 vcc_lo, exec_lo, s8
	s_cbranch_vccnz .LBB175_511
; %bb.507:
	v_cmp_gt_i16_e64 s8, s4, 0
	s_delay_alu instid0(VALU_DEP_1)
	s_and_b32 vcc_lo, exec_lo, s8
	s_mov_b32 s8, -1
	s_cbranch_vccz .LBB175_509
; %bb.508:
	v_mov_b32_e32 v5, s2
	s_mov_b32 s8, 0
	global_store_b8 v[3:4], v5, off
.LBB175_509:
	s_and_not1_b32 vcc_lo, exec_lo, s8
	s_cbranch_vccnz .LBB175_511
; %bb.510:
	v_mov_b32_e32 v5, s2
	global_store_b8 v[3:4], v5, off
.LBB175_511:
	s_mov_b32 s9, -1
.LBB175_512:
	s_delay_alu instid0(SALU_CYCLE_1)
	s_and_not1_b32 vcc_lo, exec_lo, s9
	s_cbranch_vccnz .LBB175_910
; %bb.513:
	v_cmp_lt_i16_e64 s8, s4, 11
	v_add_co_u32 v2, s9, s0, v2
	s_delay_alu instid0(VALU_DEP_1) | instskip(SKIP_1) | instid1(VALU_DEP_3)
	v_add_co_ci_u32_e64 v3, null, s1, 0, s9
	s_mov_b32 s10, 0
	s_and_b32 vcc_lo, exec_lo, s8
	s_mov_b32 s8, -1
	s_cbranch_vccnz .LBB175_729
; %bb.514:
	v_cmp_gt_i16_e64 s8, s4, 25
	s_mov_b32 s11, -1
	s_mov_b32 s9, 0
	s_delay_alu instid0(VALU_DEP_1)
	s_and_b32 vcc_lo, exec_lo, s8
	s_mov_b32 s8, 0
	s_cbranch_vccz .LBB175_556
; %bb.515:
	v_cmp_gt_i16_e64 s8, s4, 28
	s_delay_alu instid0(VALU_DEP_1)
	s_and_b32 vcc_lo, exec_lo, s8
	s_cbranch_vccz .LBB175_520
; %bb.516:
	v_cmp_gt_i16_e64 s8, s4, 43
	s_delay_alu instid0(VALU_DEP_1)
	s_and_b32 vcc_lo, exec_lo, s8
	;; [unrolled: 5-line block ×3, first 2 shown]
	s_cbranch_vccz .LBB175_524
; %bb.518:
	v_cmp_eq_u16_e64 s10, s4, 46
	s_mov_b32 s8, -1
	s_mov_b32 s11, 0
	s_delay_alu instid0(VALU_DEP_1)
	s_and_b32 vcc_lo, exec_lo, s10
	s_mov_b32 s10, 0
	s_cbranch_vccz .LBB175_525
; %bb.519:
	s_clz_i32_u32 s8, s3
	s_delay_alu instid0(SALU_CYCLE_1) | instskip(NEXT) | instid1(SALU_CYCLE_1)
	s_min_u32 s8, s8, 32
	s_lshl_b64 s[12:13], s[2:3], s8
	s_sub_i32 s8, 32, s8
	s_min_u32 s10, s12, 1
	s_delay_alu instid0(SALU_CYCLE_1) | instskip(NEXT) | instid1(SALU_CYCLE_1)
	s_or_b32 s10, s13, s10
	v_cvt_f32_u32_e32 v4, s10
	s_mov_b32 s10, -1
	s_delay_alu instid0(VALU_DEP_1) | instskip(SKIP_1) | instid1(VALU_DEP_1)
	v_ldexp_f32 v4, v4, s8
	s_mov_b32 s8, 0
	v_bfe_u32 v5, v4, 16, 1
	s_delay_alu instid0(VALU_DEP_1) | instskip(NEXT) | instid1(VALU_DEP_1)
	v_add_nc_u32_e32 v4, v4, v5
	v_add_nc_u32_e32 v4, 0x7fff, v4
	s_delay_alu instid0(VALU_DEP_1)
	v_lshrrev_b32_e32 v4, 16, v4
	global_store_b32 v[2:3], v4, off
	s_branch .LBB175_525
.LBB175_520:
	s_mov_b32 s8, 0
	s_branch .LBB175_535
.LBB175_521:
	s_mov_b32 s8, 0
	s_branch .LBB175_531
.LBB175_522:
	s_cbranch_execnz .LBB175_546
; %bb.523:
	s_or_b32 s5, s6, exec_lo
	s_cbranch_execz .LBB175_471
	s_branch .LBB175_472
.LBB175_524:
	s_mov_b32 s8, 0
.LBB175_525:
	s_and_b32 vcc_lo, exec_lo, s11
	s_cbranch_vccz .LBB175_530
; %bb.526:
	v_cmp_eq_u16_e64 s8, s4, 44
	s_delay_alu instid0(VALU_DEP_1)
	s_and_b32 vcc_lo, exec_lo, s8
	s_mov_b32 s8, -1
	s_cbranch_vccz .LBB175_530
; %bb.527:
	s_clz_i32_u32 s8, s3
	s_delay_alu instid0(SALU_CYCLE_1) | instskip(NEXT) | instid1(SALU_CYCLE_1)
	s_min_u32 s8, s8, 32
	s_lshl_b64 s[10:11], s[2:3], s8
	s_sub_i32 s8, 32, s8
	s_min_u32 s10, s10, 1
	s_delay_alu instid0(SALU_CYCLE_1) | instskip(NEXT) | instid1(SALU_CYCLE_1)
	s_or_b32 s10, s11, s10
	v_cvt_f32_u32_e32 v4, s10
	s_delay_alu instid0(VALU_DEP_1) | instskip(NEXT) | instid1(VALU_DEP_1)
	v_ldexp_f32 v4, v4, s8
	v_readfirstlane_b32 s10, v4
	v_mov_b32_e32 v4, 0xff
	s_delay_alu instid0(VALU_DEP_2) | instskip(NEXT) | instid1(SALU_CYCLE_1)
	s_lshr_b32 s8, s10, 23
	s_cmpk_eq_i32 s8, 0xff
	s_cbranch_scc1 .LBB175_529
; %bb.528:
	s_bitcmp1_b32 s10, 22
	s_cselect_b32 s11, -1, 0
	s_and_b32 s10, s10, 0x3fffff
	s_delay_alu instid0(SALU_CYCLE_1) | instskip(NEXT) | instid1(SALU_CYCLE_1)
	s_or_b32 s10, s8, s10
	s_cmp_lg_u32 s10, 0
	s_cselect_b32 s10, -1, 0
	s_delay_alu instid0(SALU_CYCLE_1) | instskip(NEXT) | instid1(SALU_CYCLE_1)
	s_and_b32 s10, s11, s10
	v_cndmask_b32_e64 v4, 0, 1, s10
	s_delay_alu instid0(VALU_DEP_1)
	v_add_nc_u32_e32 v4, s8, v4
.LBB175_529:
	s_mov_b32 s8, 0
	s_mov_b32 s10, -1
	global_store_b8 v[2:3], v4, off
.LBB175_530:
	s_mov_b32 s11, 0
.LBB175_531:
	s_delay_alu instid0(SALU_CYCLE_1)
	s_and_b32 vcc_lo, exec_lo, s11
	s_cbranch_vccz .LBB175_534
; %bb.532:
	v_cmp_eq_u16_e64 s8, s4, 29
	s_delay_alu instid0(VALU_DEP_1)
	s_and_b32 vcc_lo, exec_lo, s8
	s_mov_b32 s8, -1
	s_cbranch_vccz .LBB175_534
; %bb.533:
	v_dual_mov_b32 v5, s3 :: v_dual_mov_b32 v4, s2
	s_mov_b32 s8, 0
	s_mov_b32 s10, -1
	s_mov_b32 s11, 0
	global_store_b64 v[2:3], v[4:5], off
	s_branch .LBB175_535
.LBB175_534:
	s_mov_b32 s11, 0
.LBB175_535:
	s_delay_alu instid0(SALU_CYCLE_1)
	s_and_b32 vcc_lo, exec_lo, s11
	s_cbranch_vccz .LBB175_555
; %bb.536:
	v_cmp_lt_i16_e64 s10, s4, 27
	s_delay_alu instid0(VALU_DEP_1)
	s_and_b32 vcc_lo, exec_lo, s10
	s_mov_b32 s10, -1
	s_cbranch_vccnz .LBB175_542
; %bb.537:
	v_cmp_gt_i16_e64 s10, s4, 27
	s_delay_alu instid0(VALU_DEP_1)
	s_and_b32 vcc_lo, exec_lo, s10
	s_mov_b32 s10, -1
	s_cbranch_vccz .LBB175_539
; %bb.538:
	v_mov_b32_e32 v4, s2
	s_mov_b32 s10, 0
	global_store_b32 v[2:3], v4, off
.LBB175_539:
	s_and_not1_b32 vcc_lo, exec_lo, s10
	s_cbranch_vccnz .LBB175_541
; %bb.540:
	v_mov_b32_e32 v4, s2
	global_store_b16 v[2:3], v4, off
.LBB175_541:
	s_mov_b32 s10, 0
.LBB175_542:
	s_delay_alu instid0(SALU_CYCLE_1)
	s_and_not1_b32 vcc_lo, exec_lo, s10
	s_cbranch_vccnz .LBB175_554
; %bb.543:
	s_clz_i32_u32 s10, s3
	v_mov_b32_e32 v6, 0x80
	s_min_u32 s12, s10, 32
	s_delay_alu instid0(SALU_CYCLE_1) | instskip(NEXT) | instid1(SALU_CYCLE_1)
	s_lshl_b64 s[10:11], s[2:3], s12
	s_min_u32 s10, s10, 1
	s_delay_alu instid0(SALU_CYCLE_1) | instskip(NEXT) | instid1(SALU_CYCLE_1)
	s_or_b32 s10, s11, s10
	v_cvt_f32_u32_e32 v4, s10
	s_sub_i32 s10, 32, s12
	s_delay_alu instid0(VALU_DEP_1) | instid1(SALU_CYCLE_1)
	v_ldexp_f32 v4, v4, s10
	s_delay_alu instid0(VALU_DEP_1)
	v_cmp_lt_u32_e32 vcc_lo, 0x437fffff, v4
	v_readfirstlane_b32 s10, v4
	s_cbranch_vccnz .LBB175_553
; %bb.544:
	s_delay_alu instid0(VALU_DEP_1)
	s_cmp_gt_u32 s10, 0x3bffffff
	s_cbranch_scc0 .LBB175_548
; %bb.545:
	s_bfe_u32 s11, s10, 0x10014
	s_delay_alu instid0(SALU_CYCLE_1) | instskip(SKIP_2) | instid1(SALU_CYCLE_1)
	s_add_i32 s10, s10, s11
	s_mov_b32 s11, 0
	s_add_i32 s10, s10, 0x487ffff
	s_lshr_b32 s12, s10, 20
	s_mov_b32 s10, -1
	s_branch .LBB175_549
.LBB175_546:
	s_trap 2
	s_sendmsg_rtn_b32 s0, sendmsg(MSG_RTN_GET_DOORBELL)
	s_mov_b32 ttmp2, m0
	s_waitcnt lgkmcnt(0)
	s_and_b32 s0, s0, 0x3ff
	s_delay_alu instid0(SALU_CYCLE_1) | instskip(NEXT) | instid1(SALU_CYCLE_1)
	s_bitset1_b32 s0, 10
	s_mov_b32 m0, s0
	s_sendmsg sendmsg(MSG_INTERRUPT)
	s_mov_b32 m0, ttmp2
.LBB175_547:                            ; =>This Inner Loop Header: Depth=1
	s_sethalt 5
	s_branch .LBB175_547
.LBB175_548:
	s_mov_b32 s11, -1
	s_mov_b32 s10, 0
                                        ; implicit-def: $sgpr12
.LBB175_549:
	v_mov_b32_e32 v5, s12
	s_and_not1_b32 vcc_lo, exec_lo, s11
                                        ; implicit-def: $sgpr11
	s_cbranch_vccnz .LBB175_551
; %bb.550:
	v_add_f32_e32 v4, 0x46000000, v4
	s_mov_b32 s11, 0
	s_delay_alu instid0(VALU_DEP_1) | instskip(NEXT) | instid1(VALU_DEP_1)
	v_and_b32_e32 v5, 0xff, v4
	v_cmp_ne_u32_e64 s10, 0, v5
.LBB175_551:
	v_mov_b32_e32 v6, s11
	s_delay_alu instid0(VALU_DEP_2)
	s_and_not1_b32 vcc_lo, exec_lo, s10
	s_cbranch_vccnz .LBB175_553
; %bb.552:
	v_mov_b32_e32 v6, v5
.LBB175_553:
	global_store_b8 v[2:3], v6, off
.LBB175_554:
	s_mov_b32 s10, -1
.LBB175_555:
	s_mov_b32 s11, 0
.LBB175_556:
	s_delay_alu instid0(SALU_CYCLE_1)
	s_and_b32 vcc_lo, exec_lo, s11
	s_cbranch_vccz .LBB175_725
; %bb.557:
	v_cmp_gt_i16_e64 s9, s4, 22
	s_delay_alu instid0(VALU_DEP_1)
	s_and_b32 vcc_lo, exec_lo, s9
	s_mov_b32 s9, -1
	s_cbranch_vccz .LBB175_718
; %bb.558:
	v_cmp_lt_i16_e64 s9, s4, 24
	s_delay_alu instid0(VALU_DEP_1)
	s_and_b32 vcc_lo, exec_lo, s9
	s_mov_b32 s9, -1
	s_cbranch_vccnz .LBB175_705
; %bb.559:
	v_cmp_gt_i16_e64 s9, s4, 24
	s_delay_alu instid0(VALU_DEP_1)
	s_and_b32 vcc_lo, exec_lo, s9
	s_mov_b32 s9, -1
	s_cbranch_vccz .LBB175_692
; %bb.560:
	s_clz_i32_u32 s9, s3
	v_mov_b32_e32 v6, 0x80
	s_min_u32 s9, s9, 32
	s_delay_alu instid0(SALU_CYCLE_1) | instskip(SKIP_2) | instid1(SALU_CYCLE_1)
	s_lshl_b64 s[10:11], s[2:3], s9
	s_sub_i32 s9, 32, s9
	s_min_u32 s10, s10, 1
	s_or_b32 s10, s11, s10
	s_delay_alu instid0(SALU_CYCLE_1) | instskip(NEXT) | instid1(VALU_DEP_1)
	v_cvt_f32_u32_e32 v4, s10
	v_ldexp_f32 v4, v4, s9
	s_delay_alu instid0(VALU_DEP_1)
	v_cmp_lt_u32_e32 vcc_lo, 0x477fffff, v4
	v_readfirstlane_b32 s9, v4
	s_cbranch_vccnz .LBB175_691
; %bb.561:
	s_delay_alu instid0(VALU_DEP_1)
	s_cmp_gt_u32 s9, 0x37ffffff
	s_cbranch_scc0 .LBB175_686
; %bb.562:
	s_bfe_u32 s10, s9, 0x10015
	s_delay_alu instid0(SALU_CYCLE_1) | instskip(SKIP_2) | instid1(SALU_CYCLE_1)
	s_add_i32 s9, s9, s10
	s_mov_b32 s10, 0
	s_add_i32 s9, s9, 0x88fffff
	s_lshr_b32 s11, s9, 21
	s_mov_b32 s9, -1
	s_branch .LBB175_687
.LBB175_563:
	s_mov_b32 s26, s44
.LBB175_564:
	s_and_b32 vcc_lo, exec_lo, s28
	s_cbranch_vccz .LBB175_567
; %bb.565:
	v_cmp_eq_u16_e32 vcc_lo, 44, v24
	s_mov_b32 s26, -1
	s_cbranch_vccz .LBB175_567
; %bb.566:
	v_cndmask_b32_e64 v2, v23, 0xff, s10
	s_mov_b32 s27, -1
	s_mov_b32 s26, 0
	global_store_b8 v[6:7], v2, off
.LBB175_567:
	s_mov_b32 s28, 0
.LBB175_568:
	s_delay_alu instid0(SALU_CYCLE_1)
	s_and_b32 vcc_lo, exec_lo, s28
	s_cbranch_vccz .LBB175_571
; %bb.569:
	v_cmp_eq_u16_e32 vcc_lo, 29, v24
	s_mov_b32 s26, -1
	s_cbranch_vccz .LBB175_571
; %bb.570:
	v_dual_mov_b32 v2, s14 :: v_dual_mov_b32 v3, s15
	s_mov_b32 s27, -1
	s_mov_b32 s26, 0
	s_mov_b32 s28, 0
	global_store_b64 v[6:7], v[2:3], off
	s_branch .LBB175_572
.LBB175_571:
	s_mov_b32 s28, 0
.LBB175_572:
	s_delay_alu instid0(SALU_CYCLE_1)
	s_and_b32 vcc_lo, exec_lo, s28
	s_cbranch_vccz .LBB175_585
; %bb.573:
	v_cmp_gt_i16_e32 vcc_lo, 27, v24
	s_mov_b32 s27, -1
	s_cbranch_vccnz .LBB175_579
; %bb.574:
	v_cmp_lt_i16_e32 vcc_lo, 27, v24
	s_cbranch_vccz .LBB175_576
; %bb.575:
	v_mov_b32_e32 v2, s14
	s_mov_b32 s27, 0
	global_store_b32 v[6:7], v2, off
.LBB175_576:
	s_and_not1_b32 vcc_lo, exec_lo, s27
	s_cbranch_vccnz .LBB175_578
; %bb.577:
	v_mov_b32_e32 v2, s14
	global_store_b16 v[6:7], v2, off
.LBB175_578:
	s_mov_b32 s27, 0
.LBB175_579:
	s_delay_alu instid0(SALU_CYCLE_1)
	s_and_not1_b32 vcc_lo, exec_lo, s27
	s_cbranch_vccnz .LBB175_584
; %bb.580:
	v_mov_b32_e32 v2, 0x80
	s_and_not1_b32 vcc_lo, exec_lo, s9
	s_cbranch_vccnz .LBB175_583
; %bb.581:
	v_mov_b32_e32 v2, 0
	s_or_b32 s27, s8, s36
	s_delay_alu instid0(SALU_CYCLE_1)
	s_and_not1_b32 vcc_lo, exec_lo, s27
	s_cbranch_vccnz .LBB175_583
; %bb.582:
	v_cndmask_b32_e64 v2, v21, v22, s8
.LBB175_583:
	global_store_b8 v[6:7], v2, off
.LBB175_584:
	s_mov_b32 s27, -1
.LBB175_585:
	s_mov_b32 s28, 0
.LBB175_586:
	s_delay_alu instid0(SALU_CYCLE_1)
	s_and_b32 vcc_lo, exec_lo, s28
	s_cbranch_vccz .LBB175_608
; %bb.587:
	v_cmp_lt_i16_e32 vcc_lo, 22, v24
	s_mov_b32 s28, -1
	s_cbranch_vccz .LBB175_600
; %bb.588:
	v_cmp_gt_i16_e32 vcc_lo, 24, v24
	s_mov_b32 s27, -1
	s_cbranch_vccnz .LBB175_597
; %bb.589:
	v_cmp_lt_i16_e32 vcc_lo, 24, v24
	s_cbranch_vccz .LBB175_594
; %bb.590:
	v_mov_b32_e32 v2, 0x80
	s_and_not1_b32 vcc_lo, exec_lo, s7
	s_cbranch_vccnz .LBB175_593
; %bb.591:
	v_mov_b32_e32 v2, 0
	s_or_b32 s27, s6, s35
	s_delay_alu instid0(SALU_CYCLE_1)
	s_and_not1_b32 vcc_lo, exec_lo, s27
	s_cbranch_vccnz .LBB175_593
; %bb.592:
	v_cndmask_b32_e64 v2, v16, v20, s6
.LBB175_593:
	s_mov_b32 s27, 0
	global_store_b8 v[6:7], v2, off
.LBB175_594:
	s_and_b32 vcc_lo, exec_lo, s27
	s_cbranch_vccz .LBB175_596
; %bb.595:
	v_cndmask_b32_e64 v2, v17, v18, s5
	s_delay_alu instid0(VALU_DEP_1)
	v_cndmask_b32_e64 v2, v2, v19, s4
	global_store_b8 v[6:7], v2, off
.LBB175_596:
	s_mov_b32 s27, 0
.LBB175_597:
	s_delay_alu instid0(SALU_CYCLE_1)
	s_and_not1_b32 vcc_lo, exec_lo, s27
	s_cbranch_vccnz .LBB175_599
; %bb.598:
	v_cndmask_b32_e64 v2, v13, v14, s3
	s_delay_alu instid0(VALU_DEP_1)
	v_cndmask_b32_e64 v2, v2, v15, s2
	global_store_b8 v[6:7], v2, off
.LBB175_599:
	s_mov_b32 s28, 0
	s_mov_b32 s27, -1
.LBB175_600:
	s_and_not1_b32 vcc_lo, exec_lo, s28
	s_cbranch_vccnz .LBB175_608
; %bb.601:
	v_cmp_lt_i16_e32 vcc_lo, 14, v24
	s_mov_b32 s28, -1
	s_cbranch_vccz .LBB175_605
; %bb.602:
	v_cmp_eq_u16_e32 vcc_lo, 15, v24
	s_mov_b32 s26, -1
	s_cbranch_vccz .LBB175_604
; %bb.603:
	s_mov_b32 s27, -1
	s_mov_b32 s26, 0
	global_store_b16 v[6:7], v12, off
.LBB175_604:
	s_mov_b32 s28, 0
.LBB175_605:
	s_delay_alu instid0(SALU_CYCLE_1)
	s_and_b32 vcc_lo, exec_lo, s28
	s_cbranch_vccz .LBB175_608
; %bb.606:
	v_cmp_eq_u16_e32 vcc_lo, 11, v24
	s_mov_b32 s26, -1
	s_cbranch_vccz .LBB175_608
; %bb.607:
	s_mov_b32 s27, -1
	s_mov_b32 s26, 0
	global_store_b8 v[6:7], v11, off
.LBB175_608:
.LBB175_609:
	s_and_not1_b32 vcc_lo, exec_lo, s27
	s_cbranch_vccnz .LBB175_426
.LBB175_610:
	v_add_nc_u32_e32 v9, 0x80, v9
	s_mov_b32 s27, -1
.LBB175_611:
	s_and_not1_b32 s28, s44, exec_lo
	s_and_b32 s26, s26, exec_lo
	s_or_not1_b32 s47, s27, exec_lo
	s_or_b32 s28, s28, s26
.LBB175_612:
	s_or_b32 exec_lo, exec_lo, s46
	s_mov_b32 s26, 0
	s_mov_b32 s27, 0
                                        ; implicit-def: $vgpr24
                                        ; implicit-def: $vgpr6_vgpr7
	s_and_saveexec_b32 s29, s47
	s_cbranch_execz .LBB175_680
; %bb.613:
	v_cmp_gt_i32_e32 vcc_lo, s39, v9
	s_mov_b32 s46, s28
                                        ; implicit-def: $vgpr24
                                        ; implicit-def: $vgpr6_vgpr7
	s_and_saveexec_b32 s39, vcc_lo
	s_cbranch_execz .LBB175_679
; %bb.614:
	s_and_not1_b32 vcc_lo, exec_lo, s33
	s_cbranch_vccnz .LBB175_619
; %bb.615:
	v_mov_b32_e32 v2, 0
	s_and_not1_b32 vcc_lo, exec_lo, s41
	s_cbranch_vccnz .LBB175_624
; %bb.616:
	s_add_i32 s41, s40, 1
	s_cmp_eq_u32 s30, 2
	s_mov_b32 s40, 0
	s_cbranch_scc1 .LBB175_620
; %bb.617:
	v_dual_mov_b32 v2, 0 :: v_dual_mov_b32 v3, v9
	s_and_b32 s40, s41, 28
	s_mov_b32 s46, 0
	s_mov_b64 s[26:27], s[0:1]
.LBB175_618:                            ; =>This Inner Loop Header: Depth=1
	s_clause 0x1
	s_load_b256 s[48:55], s[26:27], 0x4
	s_load_b128 s[56:59], s[26:27], 0x24
	s_load_b128 s[60:63], s[24:25], 0x0
	s_add_u32 s26, s26, 48
	s_addc_u32 s27, s27, 0
	s_add_i32 s46, s46, 4
	s_add_u32 s24, s24, 16
	s_addc_u32 s25, s25, 0
	s_cmp_eq_u32 s40, s46
	s_waitcnt lgkmcnt(0)
	v_mul_hi_u32 v5, s49, v3
	s_delay_alu instid0(VALU_DEP_1) | instskip(NEXT) | instid1(VALU_DEP_1)
	v_add_nc_u32_e32 v5, v3, v5
	v_lshrrev_b32_e32 v5, s50, v5
	s_delay_alu instid0(VALU_DEP_1) | instskip(SKIP_1) | instid1(VALU_DEP_2)
	v_mul_hi_u32 v6, s52, v5
	v_mul_lo_u32 v25, v5, s48
	v_add_nc_u32_e32 v6, v5, v6
	s_delay_alu instid0(VALU_DEP_2) | instskip(NEXT) | instid1(VALU_DEP_2)
	v_sub_nc_u32_e32 v25, v3, v25
	v_lshrrev_b32_e32 v6, s53, v6
	s_delay_alu instid0(VALU_DEP_2) | instskip(NEXT) | instid1(VALU_DEP_2)
	v_mul_lo_u32 v25, v25, s60
	v_mul_hi_u32 v7, s55, v6
	v_mul_lo_u32 v26, v6, s51
	s_delay_alu instid0(VALU_DEP_2) | instskip(NEXT) | instid1(VALU_DEP_2)
	v_add_nc_u32_e32 v7, v6, v7
	v_sub_nc_u32_e32 v5, v5, v26
	s_delay_alu instid0(VALU_DEP_2) | instskip(NEXT) | instid1(VALU_DEP_2)
	v_lshrrev_b32_e32 v7, s56, v7
	v_mul_lo_u32 v5, v5, s61
	s_delay_alu instid0(VALU_DEP_2) | instskip(NEXT) | instid1(VALU_DEP_2)
	v_mul_hi_u32 v24, s58, v7
	v_add3_u32 v2, v25, v2, v5
	s_delay_alu instid0(VALU_DEP_2) | instskip(NEXT) | instid1(VALU_DEP_1)
	v_add_nc_u32_e32 v24, v7, v24
	v_lshrrev_b32_e32 v3, s59, v24
	v_mul_lo_u32 v24, v7, s54
	s_delay_alu instid0(VALU_DEP_2) | instskip(NEXT) | instid1(VALU_DEP_2)
	v_mul_lo_u32 v27, v3, s57
	v_sub_nc_u32_e32 v6, v6, v24
	s_delay_alu instid0(VALU_DEP_2) | instskip(NEXT) | instid1(VALU_DEP_2)
	v_sub_nc_u32_e32 v7, v7, v27
	v_mul_lo_u32 v6, v6, s62
	s_delay_alu instid0(VALU_DEP_2) | instskip(NEXT) | instid1(VALU_DEP_1)
	v_mul_lo_u32 v7, v7, s63
	v_add3_u32 v2, v6, v2, v7
	s_cbranch_scc0 .LBB175_618
	s_branch .LBB175_621
.LBB175_619:
	s_mov_b32 s24, -1
                                        ; implicit-def: $vgpr2
	s_branch .LBB175_625
.LBB175_620:
	v_mov_b32_e32 v3, v9
.LBB175_621:
	s_and_b32 s41, s41, 3
	s_delay_alu instid0(SALU_CYCLE_1)
	s_cmp_eq_u32 s41, 0
	s_cbranch_scc1 .LBB175_624
; %bb.622:
	s_lshl_b32 s24, s40, 2
	s_mul_i32 s26, s40, 12
	s_add_u32 s24, s24, s0
	s_addc_u32 s25, s1, 0
	s_add_u32 s24, s24, 0xc4
	s_addc_u32 s25, s25, 0
	;; [unrolled: 2-line block ×3, first 2 shown]
.LBB175_623:                            ; =>This Inner Loop Header: Depth=1
	s_clause 0x1
	s_load_b64 s[46:47], s[26:27], 0x4
	s_load_b32 s40, s[26:27], 0xc
	s_add_u32 s26, s26, 12
	s_addc_u32 s27, s27, 0
	s_waitcnt lgkmcnt(0)
	v_mul_hi_u32 v5, s47, v3
	s_load_b32 s47, s[24:25], 0x0
	s_add_u32 s24, s24, 4
	s_addc_u32 s25, s25, 0
	s_add_i32 s41, s41, -1
	s_delay_alu instid0(SALU_CYCLE_1) | instskip(NEXT) | instid1(VALU_DEP_1)
	s_cmp_lg_u32 s41, 0
	v_add_nc_u32_e32 v5, v3, v5
	s_delay_alu instid0(VALU_DEP_1) | instskip(NEXT) | instid1(VALU_DEP_1)
	v_lshrrev_b32_e32 v7, s40, v5
	v_mul_lo_u32 v5, v7, s46
	s_delay_alu instid0(VALU_DEP_1) | instskip(SKIP_1) | instid1(VALU_DEP_1)
	v_sub_nc_u32_e32 v3, v3, v5
	s_waitcnt lgkmcnt(0)
	v_mad_u64_u32 v[5:6], null, v3, s47, v[2:3]
	s_delay_alu instid0(VALU_DEP_1)
	v_dual_mov_b32 v3, v7 :: v_dual_mov_b32 v2, v5
	s_cbranch_scc1 .LBB175_623
.LBB175_624:
	s_mov_b32 s24, 0
.LBB175_625:
	s_delay_alu instid0(SALU_CYCLE_1)
	s_and_not1_b32 vcc_lo, exec_lo, s24
	s_cbranch_vccnz .LBB175_628
; %bb.626:
	v_mul_hi_u32 v2, s17, v9
	s_and_not1_b32 vcc_lo, exec_lo, s38
	s_delay_alu instid0(VALU_DEP_1) | instskip(NEXT) | instid1(VALU_DEP_1)
	v_add_nc_u32_e32 v2, v9, v2
	v_lshrrev_b32_e32 v3, s18, v2
	s_delay_alu instid0(VALU_DEP_1) | instskip(NEXT) | instid1(VALU_DEP_1)
	v_mul_lo_u32 v2, v3, s16
	v_sub_nc_u32_e32 v2, v9, v2
	s_delay_alu instid0(VALU_DEP_1)
	v_mul_lo_u32 v2, v2, s20
	s_cbranch_vccnz .LBB175_628
; %bb.627:
	v_mul_hi_u32 v5, s22, v3
	s_delay_alu instid0(VALU_DEP_1) | instskip(NEXT) | instid1(VALU_DEP_1)
	v_add_nc_u32_e32 v5, v3, v5
	v_lshrrev_b32_e32 v5, s23, v5
	s_delay_alu instid0(VALU_DEP_1) | instskip(NEXT) | instid1(VALU_DEP_1)
	v_mul_lo_u32 v5, v5, s19
	v_sub_nc_u32_e32 v3, v3, v5
	s_delay_alu instid0(VALU_DEP_1) | instskip(NEXT) | instid1(VALU_DEP_1)
	v_mad_u64_u32 v[5:6], null, v3, s21, v[2:3]
	v_mov_b32_e32 v2, v5
.LBB175_628:
	v_and_b32_e64 v24, 0xff, s37
	s_delay_alu instid0(VALU_DEP_2) | instskip(NEXT) | instid1(VALU_DEP_1)
	v_add_co_u32 v6, s12, s12, v2
	v_add_co_ci_u32_e64 v7, null, s13, 0, s12
	s_delay_alu instid0(VALU_DEP_3)
	v_cmp_gt_i16_e32 vcc_lo, 11, v24
	s_mov_b32 s16, 0
	s_mov_b32 s13, -1
	s_mov_b32 s12, s28
	s_cbranch_vccnz .LBB175_678
; %bb.629:
	v_cmp_lt_i16_e32 vcc_lo, 25, v24
	s_mov_b32 s12, s28
	s_cbranch_vccz .LBB175_657
; %bb.630:
	v_cmp_lt_i16_e32 vcc_lo, 28, v24
	s_mov_b32 s12, s28
	s_cbranch_vccz .LBB175_644
	;; [unrolled: 4-line block ×4, first 2 shown]
; %bb.633:
	v_cmp_eq_u16_e32 vcc_lo, 46, v24
	s_mov_b32 s12, -1
	s_cbranch_vccz .LBB175_635
; %bb.634:
	s_mov_b32 s12, 0
	global_store_b32 v[6:7], v12, off
.LBB175_635:
	s_mov_b32 s13, 0
.LBB175_636:
	s_delay_alu instid0(SALU_CYCLE_1)
	s_and_b32 vcc_lo, exec_lo, s13
	s_cbranch_vccz .LBB175_639
; %bb.637:
	v_cmp_eq_u16_e32 vcc_lo, 44, v24
	s_mov_b32 s12, -1
	s_cbranch_vccz .LBB175_639
; %bb.638:
	v_cndmask_b32_e64 v2, v23, 0xff, s10
	s_mov_b32 s12, 0
	global_store_b8 v[6:7], v2, off
.LBB175_639:
	s_mov_b32 s13, 0
.LBB175_640:
	s_delay_alu instid0(SALU_CYCLE_1)
	s_and_b32 vcc_lo, exec_lo, s13
	s_cbranch_vccz .LBB175_643
; %bb.641:
	v_cmp_eq_u16_e32 vcc_lo, 29, v24
	s_mov_b32 s12, -1
	s_cbranch_vccz .LBB175_643
; %bb.642:
	v_dual_mov_b32 v2, s14 :: v_dual_mov_b32 v3, s15
	s_mov_b32 s12, 0
	global_store_b64 v[6:7], v[2:3], off
.LBB175_643:
	s_mov_b32 s13, 0
.LBB175_644:
	s_delay_alu instid0(SALU_CYCLE_1)
	s_and_b32 vcc_lo, exec_lo, s13
	s_cbranch_vccz .LBB175_656
; %bb.645:
	v_cmp_gt_i16_e32 vcc_lo, 27, v24
	s_mov_b32 s10, -1
	s_cbranch_vccnz .LBB175_651
; %bb.646:
	v_cmp_lt_i16_e32 vcc_lo, 27, v24
	s_cbranch_vccz .LBB175_648
; %bb.647:
	v_mov_b32_e32 v2, s14
	s_mov_b32 s10, 0
	global_store_b32 v[6:7], v2, off
.LBB175_648:
	s_and_not1_b32 vcc_lo, exec_lo, s10
	s_cbranch_vccnz .LBB175_650
; %bb.649:
	v_mov_b32_e32 v2, s14
	global_store_b16 v[6:7], v2, off
.LBB175_650:
	s_mov_b32 s10, 0
.LBB175_651:
	s_delay_alu instid0(SALU_CYCLE_1)
	s_and_not1_b32 vcc_lo, exec_lo, s10
	s_cbranch_vccnz .LBB175_656
; %bb.652:
	v_mov_b32_e32 v2, 0x80
	s_and_not1_b32 vcc_lo, exec_lo, s9
	s_cbranch_vccnz .LBB175_655
; %bb.653:
	v_mov_b32_e32 v2, 0
	s_or_b32 s9, s8, s36
	s_delay_alu instid0(SALU_CYCLE_1)
	s_and_not1_b32 vcc_lo, exec_lo, s9
	s_cbranch_vccnz .LBB175_655
; %bb.654:
	v_cndmask_b32_e64 v2, v21, v22, s8
.LBB175_655:
	global_store_b8 v[6:7], v2, off
.LBB175_656:
	s_mov_b32 s13, 0
.LBB175_657:
	s_delay_alu instid0(SALU_CYCLE_1)
	s_and_b32 vcc_lo, exec_lo, s13
	s_mov_b32 s13, 0
	s_cbranch_vccz .LBB175_678
; %bb.658:
	v_cmp_lt_i16_e32 vcc_lo, 22, v24
	s_mov_b32 s8, -1
	s_cbranch_vccz .LBB175_671
; %bb.659:
	v_cmp_gt_i16_e32 vcc_lo, 24, v24
	s_cbranch_vccnz .LBB175_668
; %bb.660:
	v_cmp_lt_i16_e32 vcc_lo, 24, v24
	s_cbranch_vccz .LBB175_665
; %bb.661:
	v_mov_b32_e32 v2, 0x80
	s_and_not1_b32 vcc_lo, exec_lo, s7
	s_cbranch_vccnz .LBB175_664
; %bb.662:
	v_mov_b32_e32 v2, 0
	s_or_b32 s7, s6, s35
	s_delay_alu instid0(SALU_CYCLE_1)
	s_and_not1_b32 vcc_lo, exec_lo, s7
	s_cbranch_vccnz .LBB175_664
; %bb.663:
	v_cndmask_b32_e64 v2, v16, v20, s6
.LBB175_664:
	s_mov_b32 s8, 0
	global_store_b8 v[6:7], v2, off
.LBB175_665:
	s_and_b32 vcc_lo, exec_lo, s8
	s_cbranch_vccz .LBB175_667
; %bb.666:
	v_cndmask_b32_e64 v2, v17, v18, s5
	s_delay_alu instid0(VALU_DEP_1)
	v_cndmask_b32_e64 v2, v2, v19, s4
	global_store_b8 v[6:7], v2, off
.LBB175_667:
	s_mov_b32 s8, 0
.LBB175_668:
	s_delay_alu instid0(SALU_CYCLE_1)
	s_and_not1_b32 vcc_lo, exec_lo, s8
	s_cbranch_vccnz .LBB175_670
; %bb.669:
	v_cndmask_b32_e64 v2, v13, v14, s3
	s_delay_alu instid0(VALU_DEP_1)
	v_cndmask_b32_e64 v2, v2, v15, s2
	global_store_b8 v[6:7], v2, off
.LBB175_670:
	s_mov_b32 s8, 0
.LBB175_671:
	s_delay_alu instid0(SALU_CYCLE_1)
	s_and_not1_b32 vcc_lo, exec_lo, s8
	s_cbranch_vccnz .LBB175_678
; %bb.672:
	v_cmp_lt_i16_e32 vcc_lo, 14, v24
	s_mov_b32 s2, -1
	s_cbranch_vccz .LBB175_676
; %bb.673:
	v_cmp_eq_u16_e32 vcc_lo, 15, v24
	s_mov_b32 s12, -1
	s_cbranch_vccz .LBB175_675
; %bb.674:
	s_mov_b32 s12, 0
	global_store_b16 v[6:7], v12, off
.LBB175_675:
	s_mov_b32 s2, 0
.LBB175_676:
	s_delay_alu instid0(SALU_CYCLE_1)
	s_and_b32 vcc_lo, exec_lo, s2
	s_cbranch_vccz .LBB175_678
; %bb.677:
	v_cmp_ne_u16_e32 vcc_lo, 11, v24
	s_and_not1_b32 s2, s12, exec_lo
	s_mov_b32 s16, -1
	s_and_b32 s3, vcc_lo, exec_lo
	s_delay_alu instid0(SALU_CYCLE_1)
	s_or_b32 s12, s2, s3
.LBB175_678:
	s_and_not1_b32 s2, s28, exec_lo
	s_and_b32 s3, s12, exec_lo
	s_and_b32 s27, s13, exec_lo
	;; [unrolled: 1-line block ×3, first 2 shown]
	s_or_b32 s46, s2, s3
.LBB175_679:
	s_or_b32 exec_lo, exec_lo, s39
	s_delay_alu instid0(SALU_CYCLE_1)
	s_and_not1_b32 s2, s28, exec_lo
	s_and_b32 s3, s46, exec_lo
	s_and_b32 s27, s27, exec_lo
	;; [unrolled: 1-line block ×3, first 2 shown]
	s_or_b32 s28, s2, s3
.LBB175_680:
	s_or_b32 exec_lo, exec_lo, s29
	s_delay_alu instid0(SALU_CYCLE_1)
	s_and_not1_b32 s2, s44, exec_lo
	s_and_b32 s3, s28, exec_lo
	s_and_b32 s27, s27, exec_lo
	;; [unrolled: 1-line block ×3, first 2 shown]
	s_or_b32 s44, s2, s3
.LBB175_681:
	s_or_b32 exec_lo, exec_lo, s45
	s_delay_alu instid0(SALU_CYCLE_1)
	s_and_not1_b32 s2, s42, exec_lo
	s_and_b32 s3, s44, exec_lo
	s_and_b32 s27, s27, exec_lo
	;; [unrolled: 1-line block ×3, first 2 shown]
	s_or_b32 s42, s2, s3
	s_or_b32 exec_lo, exec_lo, s43
	s_mov_b32 s2, 0
	s_and_saveexec_b32 s3, s42
	s_cbranch_execz .LBB175_118
.LBB175_682:
	s_cbranch_execnz .LBB175_684
; %bb.683:
	s_mov_b32 s2, exec_lo
	s_and_not1_b32 s44, s44, exec_lo
	s_or_b32 exec_lo, exec_lo, s3
	s_and_saveexec_b32 s3, s44
	s_delay_alu instid0(SALU_CYCLE_1)
	s_xor_b32 s3, exec_lo, s3
	s_cbranch_execnz .LBB175_119
	s_branch .LBB175_120
.LBB175_684:
	s_trap 2
	s_sendmsg_rtn_b32 s0, sendmsg(MSG_RTN_GET_DOORBELL)
	s_mov_b32 ttmp2, m0
	s_waitcnt lgkmcnt(0)
	s_and_b32 s0, s0, 0x3ff
	s_delay_alu instid0(SALU_CYCLE_1) | instskip(NEXT) | instid1(SALU_CYCLE_1)
	s_bitset1_b32 s0, 10
	s_mov_b32 m0, s0
	s_sendmsg sendmsg(MSG_INTERRUPT)
	s_mov_b32 m0, ttmp2
.LBB175_685:                            ; =>This Inner Loop Header: Depth=1
	s_sethalt 5
	s_branch .LBB175_685
.LBB175_686:
	s_mov_b32 s10, -1
	s_mov_b32 s9, 0
                                        ; implicit-def: $sgpr11
.LBB175_687:
	v_mov_b32_e32 v5, s11
	s_and_not1_b32 vcc_lo, exec_lo, s10
                                        ; implicit-def: $sgpr10
	s_cbranch_vccnz .LBB175_689
; %bb.688:
	v_add_f32_e32 v4, 0x42800000, v4
	s_mov_b32 s10, 0
	s_delay_alu instid0(VALU_DEP_1) | instskip(NEXT) | instid1(VALU_DEP_1)
	v_and_b32_e32 v5, 0xff, v4
	v_cmp_ne_u32_e64 s9, 0, v5
.LBB175_689:
	v_mov_b32_e32 v6, s10
	s_delay_alu instid0(VALU_DEP_2)
	s_and_not1_b32 vcc_lo, exec_lo, s9
	s_cbranch_vccnz .LBB175_691
; %bb.690:
	v_mov_b32_e32 v6, v5
.LBB175_691:
	s_mov_b32 s9, 0
	global_store_b8 v[2:3], v6, off
.LBB175_692:
	s_and_b32 vcc_lo, exec_lo, s9
	s_cbranch_vccz .LBB175_704
; %bb.693:
	s_clz_i32_u32 s9, s3
	s_delay_alu instid0(SALU_CYCLE_1) | instskip(NEXT) | instid1(SALU_CYCLE_1)
	s_min_u32 s9, s9, 32
	s_lshl_b64 s[10:11], s[2:3], s9
	s_sub_i32 s9, 32, s9
	s_min_u32 s10, s10, 1
	s_delay_alu instid0(SALU_CYCLE_1) | instskip(NEXT) | instid1(SALU_CYCLE_1)
	s_or_b32 s10, s11, s10
	v_cvt_f32_u32_e32 v4, s10
	s_delay_alu instid0(VALU_DEP_1) | instskip(NEXT) | instid1(VALU_DEP_1)
	v_ldexp_f32 v4, v4, s9
	v_cmp_gt_u32_e32 vcc_lo, 0x43f00000, v4
	v_readfirstlane_b32 s9, v4
	s_cbranch_vccz .LBB175_696
; %bb.694:
	s_delay_alu instid0(VALU_DEP_1)
	s_cmp_gt_u32 s9, 0x3c7fffff
	s_cbranch_scc0 .LBB175_697
; %bb.695:
	s_bfe_u32 s10, s9, 0x10014
	s_delay_alu instid0(SALU_CYCLE_1) | instskip(NEXT) | instid1(SALU_CYCLE_1)
	s_add_i32 s10, s9, s10
	s_add_i32 s10, s10, 0x407ffff
	s_delay_alu instid0(SALU_CYCLE_1)
	s_and_b32 s11, s10, 0xff00000
	s_lshr_b32 s10, s10, 20
	s_cmp_lg_u32 s11, 0x7f00000
	s_cselect_b32 s11, s10, 0x7e
	s_mov_b32 s10, 0
	s_branch .LBB175_698
.LBB175_696:
	s_mov_b32 s10, -1
                                        ; implicit-def: $vgpr5
	s_branch .LBB175_701
.LBB175_697:
	s_mov_b32 s10, -1
                                        ; implicit-def: $sgpr11
.LBB175_698:
	v_mov_b32_e32 v5, s11
	s_and_not1_b32 vcc_lo, exec_lo, s10
	s_cbranch_vccnz .LBB175_700
; %bb.699:
	v_add_f32_e32 v5, 0x46800000, v4
.LBB175_700:
	s_mov_b32 s10, 0
.LBB175_701:
	s_delay_alu instid0(SALU_CYCLE_1)
	s_and_not1_b32 vcc_lo, exec_lo, s10
	s_cbranch_vccnz .LBB175_703
; %bb.702:
	s_cmp_gt_u32 s9, 0x7f800000
	s_movk_i32 s9, 0x7f
	s_delay_alu instid0(SALU_CYCLE_1) | instskip(NEXT) | instid1(SALU_CYCLE_1)
	s_cselect_b32 s9, s9, 0x7e
	v_mov_b32_e32 v5, s9
.LBB175_703:
	global_store_b8 v[2:3], v5, off
.LBB175_704:
	s_mov_b32 s9, 0
.LBB175_705:
	s_delay_alu instid0(SALU_CYCLE_1)
	s_and_not1_b32 vcc_lo, exec_lo, s9
	s_cbranch_vccnz .LBB175_717
; %bb.706:
	s_clz_i32_u32 s9, s3
	s_delay_alu instid0(SALU_CYCLE_1) | instskip(NEXT) | instid1(SALU_CYCLE_1)
	s_min_u32 s9, s9, 32
	s_lshl_b64 s[10:11], s[2:3], s9
	s_sub_i32 s9, 32, s9
	s_min_u32 s10, s10, 1
	s_delay_alu instid0(SALU_CYCLE_1) | instskip(NEXT) | instid1(SALU_CYCLE_1)
	s_or_b32 s10, s11, s10
	v_cvt_f32_u32_e32 v4, s10
	s_delay_alu instid0(VALU_DEP_1) | instskip(NEXT) | instid1(VALU_DEP_1)
	v_ldexp_f32 v4, v4, s9
	v_cmp_gt_u32_e32 vcc_lo, 0x47800000, v4
	v_readfirstlane_b32 s9, v4
	s_cbranch_vccz .LBB175_709
; %bb.707:
	s_delay_alu instid0(VALU_DEP_1)
	s_cmp_gt_u32 s9, 0x387fffff
	s_cbranch_scc0 .LBB175_710
; %bb.708:
	s_bfe_u32 s10, s9, 0x10015
	s_delay_alu instid0(SALU_CYCLE_1) | instskip(NEXT) | instid1(SALU_CYCLE_1)
	s_add_i32 s10, s9, s10
	s_add_i32 s10, s10, 0x80fffff
	s_delay_alu instid0(SALU_CYCLE_1)
	s_lshr_b32 s11, s10, 21
	s_mov_b32 s10, 0
	s_branch .LBB175_711
.LBB175_709:
	s_mov_b32 s10, -1
                                        ; implicit-def: $vgpr5
	s_branch .LBB175_714
.LBB175_710:
	s_mov_b32 s10, -1
                                        ; implicit-def: $sgpr11
.LBB175_711:
	v_mov_b32_e32 v5, s11
	s_and_not1_b32 vcc_lo, exec_lo, s10
	s_cbranch_vccnz .LBB175_713
; %bb.712:
	v_add_f32_e32 v5, 0x43000000, v4
.LBB175_713:
	s_mov_b32 s10, 0
.LBB175_714:
	s_delay_alu instid0(SALU_CYCLE_1)
	s_and_not1_b32 vcc_lo, exec_lo, s10
	s_cbranch_vccnz .LBB175_716
; %bb.715:
	s_cmp_gt_u32 s9, 0x7f800000
	s_movk_i32 s9, 0x7f
	s_delay_alu instid0(SALU_CYCLE_1) | instskip(NEXT) | instid1(SALU_CYCLE_1)
	s_cselect_b32 s9, s9, 0x7c
	v_mov_b32_e32 v5, s9
.LBB175_716:
	global_store_b8 v[2:3], v5, off
.LBB175_717:
	s_mov_b32 s9, 0
	s_mov_b32 s10, -1
.LBB175_718:
	s_and_not1_b32 vcc_lo, exec_lo, s9
	s_mov_b32 s9, 0
	s_cbranch_vccnz .LBB175_725
; %bb.719:
	v_cmp_gt_i16_e64 s9, s4, 14
	s_delay_alu instid0(VALU_DEP_1)
	s_and_b32 vcc_lo, exec_lo, s9
	s_mov_b32 s9, -1
	s_cbranch_vccz .LBB175_723
; %bb.720:
	v_cmp_eq_u16_e64 s8, s4, 15
	s_delay_alu instid0(VALU_DEP_1)
	s_and_b32 vcc_lo, exec_lo, s8
	s_mov_b32 s8, -1
	s_cbranch_vccz .LBB175_722
; %bb.721:
	s_clz_i32_u32 s8, s3
	s_delay_alu instid0(SALU_CYCLE_1) | instskip(NEXT) | instid1(SALU_CYCLE_1)
	s_min_u32 s10, s8, 32
	s_lshl_b64 s[8:9], s[2:3], s10
	s_delay_alu instid0(SALU_CYCLE_1) | instskip(NEXT) | instid1(SALU_CYCLE_1)
	s_min_u32 s8, s8, 1
	s_or_b32 s8, s9, s8
	s_delay_alu instid0(SALU_CYCLE_1) | instskip(SKIP_2) | instid1(VALU_DEP_1)
	v_cvt_f32_u32_e32 v4, s8
	s_sub_i32 s8, 32, s10
	s_mov_b32 s10, -1
	v_ldexp_f32 v4, v4, s8
	s_mov_b32 s8, 0
	s_delay_alu instid0(VALU_DEP_1) | instskip(NEXT) | instid1(VALU_DEP_1)
	v_bfe_u32 v5, v4, 16, 1
	v_add_nc_u32_e32 v4, v4, v5
	s_delay_alu instid0(VALU_DEP_1)
	v_add_nc_u32_e32 v4, 0x7fff, v4
	global_store_d16_hi_b16 v[2:3], v4, off
.LBB175_722:
	s_mov_b32 s9, 0
.LBB175_723:
	s_delay_alu instid0(SALU_CYCLE_1)
	s_and_b32 vcc_lo, exec_lo, s9
	s_mov_b32 s9, 0
	s_cbranch_vccz .LBB175_725
; %bb.724:
	v_cmp_ne_u16_e64 s8, s4, 11
	s_mov_b32 s9, -1
.LBB175_725:
	s_delay_alu instid0(VALU_DEP_1)
	s_and_b32 vcc_lo, exec_lo, s8
	s_cbranch_vccnz .LBB175_778
; %bb.726:
	s_and_not1_b32 vcc_lo, exec_lo, s9
	s_cbranch_vccnz .LBB175_728
.LBB175_727:
	s_cmp_lg_u64 s[2:3], 0
	s_mov_b32 s10, -1
	s_cselect_b32 s8, -1, 0
	s_delay_alu instid0(SALU_CYCLE_1)
	v_cndmask_b32_e64 v4, 0, 1, s8
	global_store_b8 v[2:3], v4, off
.LBB175_728:
	s_mov_b32 s8, 0
.LBB175_729:
	s_delay_alu instid0(SALU_CYCLE_1)
	s_and_b32 vcc_lo, exec_lo, s8
	s_cbranch_vccz .LBB175_768
; %bb.730:
	v_cmp_lt_i16_e64 s8, s4, 5
	s_delay_alu instid0(VALU_DEP_1)
	s_and_b32 vcc_lo, exec_lo, s8
	s_mov_b32 s8, -1
	s_cbranch_vccnz .LBB175_751
; %bb.731:
	v_cmp_lt_i16_e64 s8, s4, 8
	s_delay_alu instid0(VALU_DEP_1)
	s_and_b32 vcc_lo, exec_lo, s8
	s_mov_b32 s8, -1
	s_cbranch_vccnz .LBB175_741
; %bb.732:
	v_cmp_lt_i16_e64 s8, s4, 9
	s_delay_alu instid0(VALU_DEP_1)
	s_and_b32 vcc_lo, exec_lo, s8
	s_mov_b32 s8, -1
	s_cbranch_vccnz .LBB175_738
; %bb.733:
	v_cmp_gt_i16_e64 s8, s4, 9
	s_delay_alu instid0(VALU_DEP_1)
	s_and_b32 vcc_lo, exec_lo, s8
	s_mov_b32 s8, -1
	s_cbranch_vccz .LBB175_735
; %bb.734:
	v_cvt_f64_u32_e32 v[4:5], s3
	v_cvt_f64_u32_e32 v[6:7], s2
	s_mov_b32 s8, 0
	s_delay_alu instid0(VALU_DEP_2) | instskip(NEXT) | instid1(VALU_DEP_1)
	v_ldexp_f64 v[4:5], v[4:5], 32
	v_add_f64 v[4:5], v[4:5], v[6:7]
	v_mov_b32_e32 v6, 0
	s_delay_alu instid0(VALU_DEP_1)
	v_mov_b32_e32 v7, v6
	global_store_b128 v[2:3], v[4:7], off
.LBB175_735:
	s_and_not1_b32 vcc_lo, exec_lo, s8
	s_cbranch_vccnz .LBB175_737
; %bb.736:
	s_clz_i32_u32 s8, s3
	v_mov_b32_e32 v5, 0
	s_min_u32 s10, s8, 32
	s_delay_alu instid0(SALU_CYCLE_1) | instskip(NEXT) | instid1(SALU_CYCLE_1)
	s_lshl_b64 s[8:9], s[2:3], s10
	s_min_u32 s8, s8, 1
	s_delay_alu instid0(SALU_CYCLE_1) | instskip(NEXT) | instid1(SALU_CYCLE_1)
	s_or_b32 s8, s9, s8
	v_cvt_f32_u32_e32 v4, s8
	s_sub_i32 s8, 32, s10
	s_delay_alu instid0(VALU_DEP_1) | instid1(SALU_CYCLE_1)
	v_ldexp_f32 v4, v4, s8
	global_store_b64 v[2:3], v[4:5], off
.LBB175_737:
	s_mov_b32 s8, 0
.LBB175_738:
	s_delay_alu instid0(SALU_CYCLE_1)
	s_and_not1_b32 vcc_lo, exec_lo, s8
	s_cbranch_vccnz .LBB175_740
; %bb.739:
	s_clz_i32_u32 s8, s3
	s_delay_alu instid0(SALU_CYCLE_1) | instskip(NEXT) | instid1(SALU_CYCLE_1)
	s_min_u32 s10, s8, 32
	s_lshl_b64 s[8:9], s[2:3], s10
	s_delay_alu instid0(SALU_CYCLE_1) | instskip(NEXT) | instid1(SALU_CYCLE_1)
	s_min_u32 s8, s8, 1
	s_or_b32 s8, s9, s8
	s_delay_alu instid0(SALU_CYCLE_1)
	v_cvt_f32_u32_e32 v4, s8
	s_sub_i32 s8, 32, s10
	s_delay_alu instid0(VALU_DEP_1) | instid1(SALU_CYCLE_1)
	v_ldexp_f32 v4, v4, s8
	s_delay_alu instid0(VALU_DEP_1) | instskip(NEXT) | instid1(VALU_DEP_1)
	v_cvt_f16_f32_e32 v4, v4
	v_and_b32_e32 v4, 0xffff, v4
	global_store_b32 v[2:3], v4, off
.LBB175_740:
	s_mov_b32 s8, 0
.LBB175_741:
	s_delay_alu instid0(SALU_CYCLE_1)
	s_and_not1_b32 vcc_lo, exec_lo, s8
	s_cbranch_vccnz .LBB175_750
; %bb.742:
	v_cmp_lt_i16_e64 s8, s4, 6
	s_delay_alu instid0(VALU_DEP_1)
	s_and_b32 vcc_lo, exec_lo, s8
	s_mov_b32 s8, -1
	s_cbranch_vccnz .LBB175_748
; %bb.743:
	v_cmp_gt_i16_e64 s8, s4, 6
	s_delay_alu instid0(VALU_DEP_1)
	s_and_b32 vcc_lo, exec_lo, s8
	s_mov_b32 s8, -1
	s_cbranch_vccz .LBB175_745
; %bb.744:
	v_cvt_f64_u32_e32 v[4:5], s3
	v_cvt_f64_u32_e32 v[6:7], s2
	s_mov_b32 s8, 0
	s_delay_alu instid0(VALU_DEP_2) | instskip(NEXT) | instid1(VALU_DEP_1)
	v_ldexp_f64 v[4:5], v[4:5], 32
	v_add_f64 v[4:5], v[4:5], v[6:7]
	global_store_b64 v[2:3], v[4:5], off
.LBB175_745:
	s_and_not1_b32 vcc_lo, exec_lo, s8
	s_cbranch_vccnz .LBB175_747
; %bb.746:
	s_clz_i32_u32 s8, s3
	s_delay_alu instid0(SALU_CYCLE_1) | instskip(NEXT) | instid1(SALU_CYCLE_1)
	s_min_u32 s10, s8, 32
	s_lshl_b64 s[8:9], s[2:3], s10
	s_delay_alu instid0(SALU_CYCLE_1) | instskip(NEXT) | instid1(SALU_CYCLE_1)
	s_min_u32 s8, s8, 1
	s_or_b32 s8, s9, s8
	s_delay_alu instid0(SALU_CYCLE_1)
	v_cvt_f32_u32_e32 v4, s8
	s_sub_i32 s8, 32, s10
	s_delay_alu instid0(VALU_DEP_1) | instid1(SALU_CYCLE_1)
	v_ldexp_f32 v4, v4, s8
	global_store_b32 v[2:3], v4, off
.LBB175_747:
	s_mov_b32 s8, 0
.LBB175_748:
	s_delay_alu instid0(SALU_CYCLE_1)
	s_and_not1_b32 vcc_lo, exec_lo, s8
	s_cbranch_vccnz .LBB175_750
; %bb.749:
	s_clz_i32_u32 s8, s3
	s_delay_alu instid0(SALU_CYCLE_1) | instskip(NEXT) | instid1(SALU_CYCLE_1)
	s_min_u32 s10, s8, 32
	s_lshl_b64 s[8:9], s[2:3], s10
	s_delay_alu instid0(SALU_CYCLE_1) | instskip(NEXT) | instid1(SALU_CYCLE_1)
	s_min_u32 s8, s8, 1
	s_or_b32 s8, s9, s8
	s_delay_alu instid0(SALU_CYCLE_1)
	v_cvt_f32_u32_e32 v4, s8
	s_sub_i32 s8, 32, s10
	s_delay_alu instid0(VALU_DEP_1) | instid1(SALU_CYCLE_1)
	v_ldexp_f32 v4, v4, s8
	s_delay_alu instid0(VALU_DEP_1)
	v_cvt_f16_f32_e32 v4, v4
	global_store_b16 v[2:3], v4, off
.LBB175_750:
	s_mov_b32 s8, 0
.LBB175_751:
	s_delay_alu instid0(SALU_CYCLE_1)
	s_and_not1_b32 vcc_lo, exec_lo, s8
	s_cbranch_vccnz .LBB175_767
; %bb.752:
	v_cmp_lt_i16_e64 s8, s4, 2
	s_delay_alu instid0(VALU_DEP_1)
	s_and_b32 vcc_lo, exec_lo, s8
	s_mov_b32 s8, -1
	s_cbranch_vccnz .LBB175_762
; %bb.753:
	v_cmp_lt_i16_e64 s8, s4, 3
	s_delay_alu instid0(VALU_DEP_1)
	s_and_b32 vcc_lo, exec_lo, s8
	s_mov_b32 s8, -1
	s_cbranch_vccnz .LBB175_759
; %bb.754:
	v_cmp_gt_i16_e64 s8, s4, 3
	s_delay_alu instid0(VALU_DEP_1)
	s_and_b32 vcc_lo, exec_lo, s8
	s_mov_b32 s8, -1
	s_cbranch_vccz .LBB175_756
; %bb.755:
	v_dual_mov_b32 v5, s3 :: v_dual_mov_b32 v4, s2
	s_mov_b32 s8, 0
	global_store_b64 v[2:3], v[4:5], off
.LBB175_756:
	s_and_not1_b32 vcc_lo, exec_lo, s8
	s_cbranch_vccnz .LBB175_758
; %bb.757:
	v_mov_b32_e32 v4, s2
	global_store_b32 v[2:3], v4, off
.LBB175_758:
	s_mov_b32 s8, 0
.LBB175_759:
	s_delay_alu instid0(SALU_CYCLE_1)
	s_and_not1_b32 vcc_lo, exec_lo, s8
	s_cbranch_vccnz .LBB175_761
; %bb.760:
	v_mov_b32_e32 v4, s2
	global_store_b16 v[2:3], v4, off
.LBB175_761:
	s_mov_b32 s8, 0
.LBB175_762:
	s_delay_alu instid0(SALU_CYCLE_1)
	s_and_not1_b32 vcc_lo, exec_lo, s8
	s_cbranch_vccnz .LBB175_767
; %bb.763:
	v_cmp_gt_i16_e64 s8, s4, 0
	s_delay_alu instid0(VALU_DEP_1)
	s_and_b32 vcc_lo, exec_lo, s8
	s_mov_b32 s8, -1
	s_cbranch_vccz .LBB175_765
; %bb.764:
	v_mov_b32_e32 v4, s2
	s_mov_b32 s8, 0
	global_store_b8 v[2:3], v4, off
.LBB175_765:
	s_and_not1_b32 vcc_lo, exec_lo, s8
	s_cbranch_vccnz .LBB175_767
; %bb.766:
	v_mov_b32_e32 v4, s2
	global_store_b8 v[2:3], v4, off
.LBB175_767:
	s_mov_b32 s10, -1
.LBB175_768:
	s_delay_alu instid0(SALU_CYCLE_1)
	s_and_not1_b32 vcc_lo, exec_lo, s10
	s_cbranch_vccnz .LBB175_910
; %bb.769:
	v_cmp_lt_i16_e64 s8, s4, 11
	v_add_co_u32 v1, s9, s0, v1
	s_delay_alu instid0(VALU_DEP_1) | instskip(SKIP_1) | instid1(VALU_DEP_3)
	v_add_co_ci_u32_e64 v2, null, s1, 0, s9
	s_mov_b32 s10, 0
	s_and_b32 vcc_lo, exec_lo, s8
	s_mov_b32 s8, -1
	s_cbranch_vccnz .LBB175_862
; %bb.770:
	v_cmp_gt_i16_e64 s8, s4, 25
	s_mov_b32 s11, -1
	s_mov_b32 s9, 0
	s_delay_alu instid0(VALU_DEP_1)
	s_and_b32 vcc_lo, exec_lo, s8
	s_mov_b32 s8, 0
	s_cbranch_vccz .LBB175_812
; %bb.771:
	v_cmp_gt_i16_e64 s8, s4, 28
	s_delay_alu instid0(VALU_DEP_1)
	s_and_b32 vcc_lo, exec_lo, s8
	s_cbranch_vccz .LBB175_776
; %bb.772:
	v_cmp_gt_i16_e64 s8, s4, 43
	s_delay_alu instid0(VALU_DEP_1)
	s_and_b32 vcc_lo, exec_lo, s8
	;; [unrolled: 5-line block ×3, first 2 shown]
	s_cbranch_vccz .LBB175_780
; %bb.774:
	v_cmp_eq_u16_e64 s10, s4, 46
	s_mov_b32 s8, -1
	s_mov_b32 s11, 0
	s_delay_alu instid0(VALU_DEP_1)
	s_and_b32 vcc_lo, exec_lo, s10
	s_mov_b32 s10, 0
	s_cbranch_vccz .LBB175_781
; %bb.775:
	s_clz_i32_u32 s8, s3
	s_delay_alu instid0(SALU_CYCLE_1) | instskip(NEXT) | instid1(SALU_CYCLE_1)
	s_min_u32 s8, s8, 32
	s_lshl_b64 s[12:13], s[2:3], s8
	s_sub_i32 s8, 32, s8
	s_min_u32 s10, s12, 1
	s_delay_alu instid0(SALU_CYCLE_1) | instskip(NEXT) | instid1(SALU_CYCLE_1)
	s_or_b32 s10, s13, s10
	v_cvt_f32_u32_e32 v3, s10
	s_mov_b32 s10, -1
	s_delay_alu instid0(VALU_DEP_1) | instskip(SKIP_1) | instid1(VALU_DEP_1)
	v_ldexp_f32 v3, v3, s8
	s_mov_b32 s8, 0
	v_bfe_u32 v4, v3, 16, 1
	s_delay_alu instid0(VALU_DEP_1) | instskip(NEXT) | instid1(VALU_DEP_1)
	v_add_nc_u32_e32 v3, v3, v4
	v_add_nc_u32_e32 v3, 0x7fff, v3
	s_delay_alu instid0(VALU_DEP_1)
	v_lshrrev_b32_e32 v3, 16, v3
	global_store_b32 v[1:2], v3, off
	s_branch .LBB175_781
.LBB175_776:
	s_mov_b32 s8, 0
	s_branch .LBB175_791
.LBB175_777:
	s_mov_b32 s8, 0
	s_branch .LBB175_787
.LBB175_778:
	s_cbranch_execnz .LBB175_802
; %bb.779:
	s_or_b32 s5, s5, exec_lo
	s_cbranch_execz .LBB175_727
	s_branch .LBB175_728
.LBB175_780:
	s_mov_b32 s8, 0
.LBB175_781:
	s_and_b32 vcc_lo, exec_lo, s11
	s_cbranch_vccz .LBB175_786
; %bb.782:
	v_cmp_eq_u16_e64 s8, s4, 44
	s_delay_alu instid0(VALU_DEP_1)
	s_and_b32 vcc_lo, exec_lo, s8
	s_mov_b32 s8, -1
	s_cbranch_vccz .LBB175_786
; %bb.783:
	s_clz_i32_u32 s8, s3
	s_delay_alu instid0(SALU_CYCLE_1) | instskip(NEXT) | instid1(SALU_CYCLE_1)
	s_min_u32 s8, s8, 32
	s_lshl_b64 s[10:11], s[2:3], s8
	s_sub_i32 s8, 32, s8
	s_min_u32 s10, s10, 1
	s_delay_alu instid0(SALU_CYCLE_1) | instskip(NEXT) | instid1(SALU_CYCLE_1)
	s_or_b32 s10, s11, s10
	v_cvt_f32_u32_e32 v3, s10
	s_delay_alu instid0(VALU_DEP_1) | instskip(NEXT) | instid1(VALU_DEP_1)
	v_ldexp_f32 v3, v3, s8
	v_readfirstlane_b32 s10, v3
	v_mov_b32_e32 v3, 0xff
	s_delay_alu instid0(VALU_DEP_2) | instskip(NEXT) | instid1(SALU_CYCLE_1)
	s_lshr_b32 s8, s10, 23
	s_cmpk_eq_i32 s8, 0xff
	s_cbranch_scc1 .LBB175_785
; %bb.784:
	s_bitcmp1_b32 s10, 22
	s_cselect_b32 s11, -1, 0
	s_and_b32 s10, s10, 0x3fffff
	s_delay_alu instid0(SALU_CYCLE_1) | instskip(NEXT) | instid1(SALU_CYCLE_1)
	s_or_b32 s10, s8, s10
	s_cmp_lg_u32 s10, 0
	s_cselect_b32 s10, -1, 0
	s_delay_alu instid0(SALU_CYCLE_1) | instskip(NEXT) | instid1(SALU_CYCLE_1)
	s_and_b32 s10, s11, s10
	v_cndmask_b32_e64 v3, 0, 1, s10
	s_delay_alu instid0(VALU_DEP_1)
	v_add_nc_u32_e32 v3, s8, v3
.LBB175_785:
	s_mov_b32 s8, 0
	s_mov_b32 s10, -1
	global_store_b8 v[1:2], v3, off
.LBB175_786:
	s_mov_b32 s11, 0
.LBB175_787:
	s_delay_alu instid0(SALU_CYCLE_1)
	s_and_b32 vcc_lo, exec_lo, s11
	s_cbranch_vccz .LBB175_790
; %bb.788:
	v_cmp_eq_u16_e64 s8, s4, 29
	s_delay_alu instid0(VALU_DEP_1)
	s_and_b32 vcc_lo, exec_lo, s8
	s_mov_b32 s8, -1
	s_cbranch_vccz .LBB175_790
; %bb.789:
	v_dual_mov_b32 v4, s3 :: v_dual_mov_b32 v3, s2
	s_mov_b32 s8, 0
	s_mov_b32 s10, -1
	s_mov_b32 s11, 0
	global_store_b64 v[1:2], v[3:4], off
	s_branch .LBB175_791
.LBB175_790:
	s_mov_b32 s11, 0
.LBB175_791:
	s_delay_alu instid0(SALU_CYCLE_1)
	s_and_b32 vcc_lo, exec_lo, s11
	s_cbranch_vccz .LBB175_811
; %bb.792:
	v_cmp_lt_i16_e64 s10, s4, 27
	s_delay_alu instid0(VALU_DEP_1)
	s_and_b32 vcc_lo, exec_lo, s10
	s_mov_b32 s10, -1
	s_cbranch_vccnz .LBB175_798
; %bb.793:
	v_cmp_gt_i16_e64 s10, s4, 27
	s_delay_alu instid0(VALU_DEP_1)
	s_and_b32 vcc_lo, exec_lo, s10
	s_mov_b32 s10, -1
	s_cbranch_vccz .LBB175_795
; %bb.794:
	v_mov_b32_e32 v3, s2
	s_mov_b32 s10, 0
	global_store_b32 v[1:2], v3, off
.LBB175_795:
	s_and_not1_b32 vcc_lo, exec_lo, s10
	s_cbranch_vccnz .LBB175_797
; %bb.796:
	v_mov_b32_e32 v3, s2
	global_store_b16 v[1:2], v3, off
.LBB175_797:
	s_mov_b32 s10, 0
.LBB175_798:
	s_delay_alu instid0(SALU_CYCLE_1)
	s_and_not1_b32 vcc_lo, exec_lo, s10
	s_cbranch_vccnz .LBB175_810
; %bb.799:
	s_clz_i32_u32 s10, s3
	v_mov_b32_e32 v5, 0x80
	s_min_u32 s12, s10, 32
	s_delay_alu instid0(SALU_CYCLE_1) | instskip(NEXT) | instid1(SALU_CYCLE_1)
	s_lshl_b64 s[10:11], s[2:3], s12
	s_min_u32 s10, s10, 1
	s_delay_alu instid0(SALU_CYCLE_1) | instskip(NEXT) | instid1(SALU_CYCLE_1)
	s_or_b32 s10, s11, s10
	v_cvt_f32_u32_e32 v3, s10
	s_sub_i32 s10, 32, s12
	s_delay_alu instid0(VALU_DEP_1) | instid1(SALU_CYCLE_1)
	v_ldexp_f32 v3, v3, s10
	s_delay_alu instid0(VALU_DEP_1)
	v_cmp_lt_u32_e32 vcc_lo, 0x437fffff, v3
	v_readfirstlane_b32 s10, v3
	s_cbranch_vccnz .LBB175_809
; %bb.800:
	s_delay_alu instid0(VALU_DEP_1)
	s_cmp_gt_u32 s10, 0x3bffffff
	s_cbranch_scc0 .LBB175_804
; %bb.801:
	s_bfe_u32 s11, s10, 0x10014
	s_delay_alu instid0(SALU_CYCLE_1) | instskip(SKIP_2) | instid1(SALU_CYCLE_1)
	s_add_i32 s10, s10, s11
	s_mov_b32 s11, 0
	s_add_i32 s10, s10, 0x487ffff
	s_lshr_b32 s12, s10, 20
	s_mov_b32 s10, -1
	s_branch .LBB175_805
.LBB175_802:
	s_trap 2
	s_sendmsg_rtn_b32 s0, sendmsg(MSG_RTN_GET_DOORBELL)
	s_mov_b32 ttmp2, m0
	s_waitcnt lgkmcnt(0)
	s_and_b32 s0, s0, 0x3ff
	s_delay_alu instid0(SALU_CYCLE_1) | instskip(NEXT) | instid1(SALU_CYCLE_1)
	s_bitset1_b32 s0, 10
	s_mov_b32 m0, s0
	s_sendmsg sendmsg(MSG_INTERRUPT)
	s_mov_b32 m0, ttmp2
.LBB175_803:                            ; =>This Inner Loop Header: Depth=1
	s_sethalt 5
	s_branch .LBB175_803
.LBB175_804:
	s_mov_b32 s11, -1
	s_mov_b32 s10, 0
                                        ; implicit-def: $sgpr12
.LBB175_805:
	v_mov_b32_e32 v4, s12
	s_and_not1_b32 vcc_lo, exec_lo, s11
                                        ; implicit-def: $sgpr11
	s_cbranch_vccnz .LBB175_807
; %bb.806:
	v_add_f32_e32 v3, 0x46000000, v3
	s_mov_b32 s11, 0
	s_delay_alu instid0(VALU_DEP_1) | instskip(NEXT) | instid1(VALU_DEP_1)
	v_and_b32_e32 v4, 0xff, v3
	v_cmp_ne_u32_e64 s10, 0, v4
.LBB175_807:
	v_mov_b32_e32 v5, s11
	s_delay_alu instid0(VALU_DEP_2)
	s_and_not1_b32 vcc_lo, exec_lo, s10
	s_cbranch_vccnz .LBB175_809
; %bb.808:
	v_mov_b32_e32 v5, v4
.LBB175_809:
	global_store_b8 v[1:2], v5, off
.LBB175_810:
	s_mov_b32 s10, -1
.LBB175_811:
	s_mov_b32 s11, 0
.LBB175_812:
	s_delay_alu instid0(SALU_CYCLE_1)
	s_and_b32 vcc_lo, exec_lo, s11
	s_cbranch_vccz .LBB175_858
; %bb.813:
	v_cmp_gt_i16_e64 s9, s4, 22
	s_delay_alu instid0(VALU_DEP_1)
	s_and_b32 vcc_lo, exec_lo, s9
	s_mov_b32 s9, -1
	s_cbranch_vccz .LBB175_851
; %bb.814:
	v_cmp_lt_i16_e64 s9, s4, 24
	s_delay_alu instid0(VALU_DEP_1)
	s_and_b32 vcc_lo, exec_lo, s9
	s_mov_b32 s9, -1
	s_cbranch_vccnz .LBB175_838
; %bb.815:
	v_cmp_gt_i16_e64 s9, s4, 24
	s_delay_alu instid0(VALU_DEP_1)
	s_and_b32 vcc_lo, exec_lo, s9
	s_mov_b32 s9, -1
	s_cbranch_vccz .LBB175_825
; %bb.816:
	s_clz_i32_u32 s9, s3
	v_mov_b32_e32 v5, 0x80
	s_min_u32 s9, s9, 32
	s_delay_alu instid0(SALU_CYCLE_1) | instskip(SKIP_2) | instid1(SALU_CYCLE_1)
	s_lshl_b64 s[10:11], s[2:3], s9
	s_sub_i32 s9, 32, s9
	s_min_u32 s10, s10, 1
	s_or_b32 s10, s11, s10
	s_delay_alu instid0(SALU_CYCLE_1) | instskip(NEXT) | instid1(VALU_DEP_1)
	v_cvt_f32_u32_e32 v3, s10
	v_ldexp_f32 v3, v3, s9
	s_delay_alu instid0(VALU_DEP_1)
	v_cmp_lt_u32_e32 vcc_lo, 0x477fffff, v3
	v_readfirstlane_b32 s9, v3
	s_cbranch_vccnz .LBB175_824
; %bb.817:
	s_delay_alu instid0(VALU_DEP_1)
	s_cmp_gt_u32 s9, 0x37ffffff
	s_cbranch_scc0 .LBB175_819
; %bb.818:
	s_bfe_u32 s10, s9, 0x10015
	s_delay_alu instid0(SALU_CYCLE_1) | instskip(SKIP_2) | instid1(SALU_CYCLE_1)
	s_add_i32 s9, s9, s10
	s_mov_b32 s10, 0
	s_add_i32 s9, s9, 0x88fffff
	s_lshr_b32 s11, s9, 21
	s_mov_b32 s9, -1
	s_branch .LBB175_820
.LBB175_819:
	s_mov_b32 s10, -1
	s_mov_b32 s9, 0
                                        ; implicit-def: $sgpr11
.LBB175_820:
	v_mov_b32_e32 v4, s11
	s_and_not1_b32 vcc_lo, exec_lo, s10
                                        ; implicit-def: $sgpr10
	s_cbranch_vccnz .LBB175_822
; %bb.821:
	v_add_f32_e32 v3, 0x42800000, v3
	s_mov_b32 s10, 0
	s_delay_alu instid0(VALU_DEP_1) | instskip(NEXT) | instid1(VALU_DEP_1)
	v_and_b32_e32 v4, 0xff, v3
	v_cmp_ne_u32_e64 s9, 0, v4
.LBB175_822:
	v_mov_b32_e32 v5, s10
	s_delay_alu instid0(VALU_DEP_2)
	s_and_not1_b32 vcc_lo, exec_lo, s9
	s_cbranch_vccnz .LBB175_824
; %bb.823:
	v_mov_b32_e32 v5, v4
.LBB175_824:
	s_mov_b32 s9, 0
	global_store_b8 v[1:2], v5, off
.LBB175_825:
	s_and_b32 vcc_lo, exec_lo, s9
	s_cbranch_vccz .LBB175_837
; %bb.826:
	s_clz_i32_u32 s9, s3
	s_delay_alu instid0(SALU_CYCLE_1) | instskip(NEXT) | instid1(SALU_CYCLE_1)
	s_min_u32 s9, s9, 32
	s_lshl_b64 s[10:11], s[2:3], s9
	s_sub_i32 s9, 32, s9
	s_min_u32 s10, s10, 1
	s_delay_alu instid0(SALU_CYCLE_1) | instskip(NEXT) | instid1(SALU_CYCLE_1)
	s_or_b32 s10, s11, s10
	v_cvt_f32_u32_e32 v3, s10
	s_delay_alu instid0(VALU_DEP_1) | instskip(NEXT) | instid1(VALU_DEP_1)
	v_ldexp_f32 v3, v3, s9
	v_cmp_gt_u32_e32 vcc_lo, 0x43f00000, v3
	v_readfirstlane_b32 s9, v3
	s_cbranch_vccz .LBB175_829
; %bb.827:
	s_delay_alu instid0(VALU_DEP_1)
	s_cmp_gt_u32 s9, 0x3c7fffff
	s_cbranch_scc0 .LBB175_830
; %bb.828:
	s_bfe_u32 s10, s9, 0x10014
	s_delay_alu instid0(SALU_CYCLE_1) | instskip(NEXT) | instid1(SALU_CYCLE_1)
	s_add_i32 s10, s9, s10
	s_add_i32 s10, s10, 0x407ffff
	s_delay_alu instid0(SALU_CYCLE_1)
	s_and_b32 s11, s10, 0xff00000
	s_lshr_b32 s10, s10, 20
	s_cmp_lg_u32 s11, 0x7f00000
	s_cselect_b32 s11, s10, 0x7e
	s_mov_b32 s10, 0
	s_branch .LBB175_831
.LBB175_829:
	s_mov_b32 s10, -1
                                        ; implicit-def: $vgpr4
	s_branch .LBB175_834
.LBB175_830:
	s_mov_b32 s10, -1
                                        ; implicit-def: $sgpr11
.LBB175_831:
	v_mov_b32_e32 v4, s11
	s_and_not1_b32 vcc_lo, exec_lo, s10
	s_cbranch_vccnz .LBB175_833
; %bb.832:
	v_add_f32_e32 v4, 0x46800000, v3
.LBB175_833:
	s_mov_b32 s10, 0
.LBB175_834:
	s_delay_alu instid0(SALU_CYCLE_1)
	s_and_not1_b32 vcc_lo, exec_lo, s10
	s_cbranch_vccnz .LBB175_836
; %bb.835:
	s_cmp_gt_u32 s9, 0x7f800000
	s_movk_i32 s9, 0x7f
	s_delay_alu instid0(SALU_CYCLE_1) | instskip(NEXT) | instid1(SALU_CYCLE_1)
	s_cselect_b32 s9, s9, 0x7e
	v_mov_b32_e32 v4, s9
.LBB175_836:
	global_store_b8 v[1:2], v4, off
.LBB175_837:
	s_mov_b32 s9, 0
.LBB175_838:
	s_delay_alu instid0(SALU_CYCLE_1)
	s_and_not1_b32 vcc_lo, exec_lo, s9
	s_cbranch_vccnz .LBB175_850
; %bb.839:
	s_clz_i32_u32 s9, s3
	s_delay_alu instid0(SALU_CYCLE_1) | instskip(NEXT) | instid1(SALU_CYCLE_1)
	s_min_u32 s9, s9, 32
	s_lshl_b64 s[10:11], s[2:3], s9
	s_sub_i32 s9, 32, s9
	s_min_u32 s10, s10, 1
	s_delay_alu instid0(SALU_CYCLE_1) | instskip(NEXT) | instid1(SALU_CYCLE_1)
	s_or_b32 s10, s11, s10
	v_cvt_f32_u32_e32 v3, s10
	s_delay_alu instid0(VALU_DEP_1) | instskip(NEXT) | instid1(VALU_DEP_1)
	v_ldexp_f32 v3, v3, s9
	v_cmp_gt_u32_e32 vcc_lo, 0x47800000, v3
	v_readfirstlane_b32 s9, v3
	s_cbranch_vccz .LBB175_842
; %bb.840:
	s_delay_alu instid0(VALU_DEP_1)
	s_cmp_gt_u32 s9, 0x387fffff
	s_cbranch_scc0 .LBB175_843
; %bb.841:
	s_bfe_u32 s10, s9, 0x10015
	s_delay_alu instid0(SALU_CYCLE_1) | instskip(NEXT) | instid1(SALU_CYCLE_1)
	s_add_i32 s10, s9, s10
	s_add_i32 s10, s10, 0x80fffff
	s_delay_alu instid0(SALU_CYCLE_1)
	s_lshr_b32 s11, s10, 21
	s_mov_b32 s10, 0
	s_branch .LBB175_844
.LBB175_842:
	s_mov_b32 s10, -1
                                        ; implicit-def: $vgpr4
	s_branch .LBB175_847
.LBB175_843:
	s_mov_b32 s10, -1
                                        ; implicit-def: $sgpr11
.LBB175_844:
	v_mov_b32_e32 v4, s11
	s_and_not1_b32 vcc_lo, exec_lo, s10
	s_cbranch_vccnz .LBB175_846
; %bb.845:
	v_add_f32_e32 v4, 0x43000000, v3
.LBB175_846:
	s_mov_b32 s10, 0
.LBB175_847:
	s_delay_alu instid0(SALU_CYCLE_1)
	s_and_not1_b32 vcc_lo, exec_lo, s10
	s_cbranch_vccnz .LBB175_849
; %bb.848:
	s_cmp_gt_u32 s9, 0x7f800000
	s_movk_i32 s9, 0x7f
	s_delay_alu instid0(SALU_CYCLE_1) | instskip(NEXT) | instid1(SALU_CYCLE_1)
	s_cselect_b32 s9, s9, 0x7c
	v_mov_b32_e32 v4, s9
.LBB175_849:
	global_store_b8 v[1:2], v4, off
.LBB175_850:
	s_mov_b32 s9, 0
	s_mov_b32 s10, -1
.LBB175_851:
	s_and_not1_b32 vcc_lo, exec_lo, s9
	s_mov_b32 s9, 0
	s_cbranch_vccnz .LBB175_858
; %bb.852:
	v_cmp_gt_i16_e64 s9, s4, 14
	s_delay_alu instid0(VALU_DEP_1)
	s_and_b32 vcc_lo, exec_lo, s9
	s_mov_b32 s9, -1
	s_cbranch_vccz .LBB175_856
; %bb.853:
	v_cmp_eq_u16_e64 s8, s4, 15
	s_delay_alu instid0(VALU_DEP_1)
	s_and_b32 vcc_lo, exec_lo, s8
	s_mov_b32 s8, -1
	s_cbranch_vccz .LBB175_855
; %bb.854:
	s_clz_i32_u32 s8, s3
	s_delay_alu instid0(SALU_CYCLE_1) | instskip(NEXT) | instid1(SALU_CYCLE_1)
	s_min_u32 s10, s8, 32
	s_lshl_b64 s[8:9], s[2:3], s10
	s_delay_alu instid0(SALU_CYCLE_1) | instskip(NEXT) | instid1(SALU_CYCLE_1)
	s_min_u32 s8, s8, 1
	s_or_b32 s8, s9, s8
	s_delay_alu instid0(SALU_CYCLE_1) | instskip(SKIP_2) | instid1(VALU_DEP_1)
	v_cvt_f32_u32_e32 v3, s8
	s_sub_i32 s8, 32, s10
	s_mov_b32 s10, -1
	v_ldexp_f32 v3, v3, s8
	s_mov_b32 s8, 0
	s_delay_alu instid0(VALU_DEP_1) | instskip(NEXT) | instid1(VALU_DEP_1)
	v_bfe_u32 v4, v3, 16, 1
	v_add_nc_u32_e32 v3, v3, v4
	s_delay_alu instid0(VALU_DEP_1)
	v_add_nc_u32_e32 v3, 0x7fff, v3
	global_store_d16_hi_b16 v[1:2], v3, off
.LBB175_855:
	s_mov_b32 s9, 0
.LBB175_856:
	s_delay_alu instid0(SALU_CYCLE_1)
	s_and_b32 vcc_lo, exec_lo, s9
	s_mov_b32 s9, 0
	s_cbranch_vccz .LBB175_858
; %bb.857:
	v_cmp_ne_u16_e64 s8, s4, 11
	s_mov_b32 s9, -1
.LBB175_858:
	s_delay_alu instid0(VALU_DEP_1)
	s_and_b32 vcc_lo, exec_lo, s8
	s_cbranch_vccnz .LBB175_957
; %bb.859:
	s_and_not1_b32 vcc_lo, exec_lo, s9
	s_cbranch_vccnz .LBB175_861
.LBB175_860:
	s_cmp_lg_u64 s[2:3], 0
	s_mov_b32 s10, -1
	s_cselect_b32 s8, -1, 0
	s_delay_alu instid0(SALU_CYCLE_1)
	v_cndmask_b32_e64 v3, 0, 1, s8
	global_store_b8 v[1:2], v3, off
.LBB175_861:
	s_mov_b32 s8, 0
.LBB175_862:
	s_delay_alu instid0(SALU_CYCLE_1)
	s_and_b32 vcc_lo, exec_lo, s8
	s_cbranch_vccz .LBB175_901
; %bb.863:
	v_cmp_lt_i16_e64 s8, s4, 5
	s_delay_alu instid0(VALU_DEP_1)
	s_and_b32 vcc_lo, exec_lo, s8
	s_mov_b32 s8, -1
	s_cbranch_vccnz .LBB175_884
; %bb.864:
	v_cmp_lt_i16_e64 s8, s4, 8
	s_delay_alu instid0(VALU_DEP_1)
	s_and_b32 vcc_lo, exec_lo, s8
	s_mov_b32 s8, -1
	s_cbranch_vccnz .LBB175_874
	;; [unrolled: 6-line block ×3, first 2 shown]
; %bb.866:
	v_cmp_gt_i16_e64 s8, s4, 9
	s_delay_alu instid0(VALU_DEP_1)
	s_and_b32 vcc_lo, exec_lo, s8
	s_mov_b32 s8, -1
	s_cbranch_vccz .LBB175_868
; %bb.867:
	v_cvt_f64_u32_e32 v[3:4], s3
	v_cvt_f64_u32_e32 v[5:6], s2
	s_mov_b32 s8, 0
	s_delay_alu instid0(VALU_DEP_2) | instskip(NEXT) | instid1(VALU_DEP_1)
	v_ldexp_f64 v[3:4], v[3:4], 32
	v_add_f64 v[3:4], v[3:4], v[5:6]
	v_mov_b32_e32 v5, 0
	s_delay_alu instid0(VALU_DEP_1)
	v_mov_b32_e32 v6, v5
	global_store_b128 v[1:2], v[3:6], off
.LBB175_868:
	s_and_not1_b32 vcc_lo, exec_lo, s8
	s_cbranch_vccnz .LBB175_870
; %bb.869:
	s_clz_i32_u32 s8, s3
	v_mov_b32_e32 v4, 0
	s_min_u32 s10, s8, 32
	s_delay_alu instid0(SALU_CYCLE_1) | instskip(NEXT) | instid1(SALU_CYCLE_1)
	s_lshl_b64 s[8:9], s[2:3], s10
	s_min_u32 s8, s8, 1
	s_delay_alu instid0(SALU_CYCLE_1) | instskip(NEXT) | instid1(SALU_CYCLE_1)
	s_or_b32 s8, s9, s8
	v_cvt_f32_u32_e32 v3, s8
	s_sub_i32 s8, 32, s10
	s_delay_alu instid0(VALU_DEP_1) | instid1(SALU_CYCLE_1)
	v_ldexp_f32 v3, v3, s8
	global_store_b64 v[1:2], v[3:4], off
.LBB175_870:
	s_mov_b32 s8, 0
.LBB175_871:
	s_delay_alu instid0(SALU_CYCLE_1)
	s_and_not1_b32 vcc_lo, exec_lo, s8
	s_cbranch_vccnz .LBB175_873
; %bb.872:
	s_clz_i32_u32 s8, s3
	s_delay_alu instid0(SALU_CYCLE_1) | instskip(NEXT) | instid1(SALU_CYCLE_1)
	s_min_u32 s10, s8, 32
	s_lshl_b64 s[8:9], s[2:3], s10
	s_delay_alu instid0(SALU_CYCLE_1) | instskip(NEXT) | instid1(SALU_CYCLE_1)
	s_min_u32 s8, s8, 1
	s_or_b32 s8, s9, s8
	s_delay_alu instid0(SALU_CYCLE_1)
	v_cvt_f32_u32_e32 v3, s8
	s_sub_i32 s8, 32, s10
	s_delay_alu instid0(VALU_DEP_1) | instid1(SALU_CYCLE_1)
	v_ldexp_f32 v3, v3, s8
	s_delay_alu instid0(VALU_DEP_1) | instskip(NEXT) | instid1(VALU_DEP_1)
	v_cvt_f16_f32_e32 v3, v3
	v_and_b32_e32 v3, 0xffff, v3
	global_store_b32 v[1:2], v3, off
.LBB175_873:
	s_mov_b32 s8, 0
.LBB175_874:
	s_delay_alu instid0(SALU_CYCLE_1)
	s_and_not1_b32 vcc_lo, exec_lo, s8
	s_cbranch_vccnz .LBB175_883
; %bb.875:
	v_cmp_lt_i16_e64 s8, s4, 6
	s_delay_alu instid0(VALU_DEP_1)
	s_and_b32 vcc_lo, exec_lo, s8
	s_mov_b32 s8, -1
	s_cbranch_vccnz .LBB175_881
; %bb.876:
	v_cmp_gt_i16_e64 s8, s4, 6
	s_delay_alu instid0(VALU_DEP_1)
	s_and_b32 vcc_lo, exec_lo, s8
	s_mov_b32 s8, -1
	s_cbranch_vccz .LBB175_878
; %bb.877:
	v_cvt_f64_u32_e32 v[3:4], s3
	v_cvt_f64_u32_e32 v[5:6], s2
	s_mov_b32 s8, 0
	s_delay_alu instid0(VALU_DEP_2) | instskip(NEXT) | instid1(VALU_DEP_1)
	v_ldexp_f64 v[3:4], v[3:4], 32
	v_add_f64 v[3:4], v[3:4], v[5:6]
	global_store_b64 v[1:2], v[3:4], off
.LBB175_878:
	s_and_not1_b32 vcc_lo, exec_lo, s8
	s_cbranch_vccnz .LBB175_880
; %bb.879:
	s_clz_i32_u32 s8, s3
	s_delay_alu instid0(SALU_CYCLE_1) | instskip(NEXT) | instid1(SALU_CYCLE_1)
	s_min_u32 s10, s8, 32
	s_lshl_b64 s[8:9], s[2:3], s10
	s_delay_alu instid0(SALU_CYCLE_1) | instskip(NEXT) | instid1(SALU_CYCLE_1)
	s_min_u32 s8, s8, 1
	s_or_b32 s8, s9, s8
	s_delay_alu instid0(SALU_CYCLE_1)
	v_cvt_f32_u32_e32 v3, s8
	s_sub_i32 s8, 32, s10
	s_delay_alu instid0(VALU_DEP_1) | instid1(SALU_CYCLE_1)
	v_ldexp_f32 v3, v3, s8
	global_store_b32 v[1:2], v3, off
.LBB175_880:
	s_mov_b32 s8, 0
.LBB175_881:
	s_delay_alu instid0(SALU_CYCLE_1)
	s_and_not1_b32 vcc_lo, exec_lo, s8
	s_cbranch_vccnz .LBB175_883
; %bb.882:
	s_clz_i32_u32 s8, s3
	s_delay_alu instid0(SALU_CYCLE_1) | instskip(NEXT) | instid1(SALU_CYCLE_1)
	s_min_u32 s10, s8, 32
	s_lshl_b64 s[8:9], s[2:3], s10
	s_delay_alu instid0(SALU_CYCLE_1) | instskip(NEXT) | instid1(SALU_CYCLE_1)
	s_min_u32 s8, s8, 1
	s_or_b32 s8, s9, s8
	s_delay_alu instid0(SALU_CYCLE_1)
	v_cvt_f32_u32_e32 v3, s8
	s_sub_i32 s8, 32, s10
	s_delay_alu instid0(VALU_DEP_1) | instid1(SALU_CYCLE_1)
	v_ldexp_f32 v3, v3, s8
	s_delay_alu instid0(VALU_DEP_1)
	v_cvt_f16_f32_e32 v3, v3
	global_store_b16 v[1:2], v3, off
.LBB175_883:
	s_mov_b32 s8, 0
.LBB175_884:
	s_delay_alu instid0(SALU_CYCLE_1)
	s_and_not1_b32 vcc_lo, exec_lo, s8
	s_cbranch_vccnz .LBB175_900
; %bb.885:
	v_cmp_lt_i16_e64 s8, s4, 2
	s_delay_alu instid0(VALU_DEP_1)
	s_and_b32 vcc_lo, exec_lo, s8
	s_mov_b32 s8, -1
	s_cbranch_vccnz .LBB175_895
; %bb.886:
	v_cmp_lt_i16_e64 s8, s4, 3
	s_delay_alu instid0(VALU_DEP_1)
	s_and_b32 vcc_lo, exec_lo, s8
	s_mov_b32 s8, -1
	s_cbranch_vccnz .LBB175_892
; %bb.887:
	v_cmp_gt_i16_e64 s8, s4, 3
	s_delay_alu instid0(VALU_DEP_1)
	s_and_b32 vcc_lo, exec_lo, s8
	s_mov_b32 s8, -1
	s_cbranch_vccz .LBB175_889
; %bb.888:
	v_dual_mov_b32 v4, s3 :: v_dual_mov_b32 v3, s2
	s_mov_b32 s8, 0
	global_store_b64 v[1:2], v[3:4], off
.LBB175_889:
	s_and_not1_b32 vcc_lo, exec_lo, s8
	s_cbranch_vccnz .LBB175_891
; %bb.890:
	v_mov_b32_e32 v3, s2
	global_store_b32 v[1:2], v3, off
.LBB175_891:
	s_mov_b32 s8, 0
.LBB175_892:
	s_delay_alu instid0(SALU_CYCLE_1)
	s_and_not1_b32 vcc_lo, exec_lo, s8
	s_cbranch_vccnz .LBB175_894
; %bb.893:
	v_mov_b32_e32 v3, s2
	global_store_b16 v[1:2], v3, off
.LBB175_894:
	s_mov_b32 s8, 0
.LBB175_895:
	s_delay_alu instid0(SALU_CYCLE_1)
	s_and_not1_b32 vcc_lo, exec_lo, s8
	s_cbranch_vccnz .LBB175_900
; %bb.896:
	v_cmp_gt_i16_e64 s8, s4, 0
	s_delay_alu instid0(VALU_DEP_1)
	s_and_b32 vcc_lo, exec_lo, s8
	s_mov_b32 s8, -1
	s_cbranch_vccz .LBB175_898
; %bb.897:
	v_mov_b32_e32 v3, s2
	s_mov_b32 s8, 0
	global_store_b8 v[1:2], v3, off
.LBB175_898:
	s_and_not1_b32 vcc_lo, exec_lo, s8
	s_cbranch_vccnz .LBB175_900
; %bb.899:
	v_mov_b32_e32 v3, s2
	global_store_b8 v[1:2], v3, off
.LBB175_900:
	s_mov_b32 s10, -1
.LBB175_901:
	s_delay_alu instid0(SALU_CYCLE_1)
	s_and_not1_b32 vcc_lo, exec_lo, s10
	s_cbranch_vccnz .LBB175_910
; %bb.902:
	v_cmp_lt_i16_e64 s9, s4, 11
	v_add_co_u32 v0, s0, s0, v0
	s_delay_alu instid0(VALU_DEP_1) | instskip(SKIP_1) | instid1(VALU_DEP_3)
	v_add_co_ci_u32_e64 v1, null, s1, 0, s0
	s_mov_b32 s8, 0
	s_and_b32 vcc_lo, exec_lo, s9
	s_mov_b32 s0, -1
	s_cbranch_vccnz .LBB175_911
; %bb.903:
	v_cmp_gt_i16_e64 s0, s4, 25
	s_mov_b32 s1, -1
	s_delay_alu instid0(VALU_DEP_1)
	s_and_b32 vcc_lo, exec_lo, s0
	s_mov_b32 s0, 0
	s_cbranch_vccz .LBB175_990
; %bb.904:
	v_cmp_gt_i16_e64 s0, s4, 28
	s_delay_alu instid0(VALU_DEP_1)
	s_and_b32 vcc_lo, exec_lo, s0
	s_cbranch_vccz .LBB175_955
; %bb.905:
	v_cmp_gt_i16_e64 s0, s4, 43
	s_delay_alu instid0(VALU_DEP_1)
	s_and_b32 vcc_lo, exec_lo, s0
	;; [unrolled: 5-line block ×3, first 2 shown]
	s_cbranch_vccz .LBB175_959
; %bb.907:
	v_cmp_eq_u16_e64 s0, s4, 46
	s_delay_alu instid0(VALU_DEP_1)
	s_and_b32 vcc_lo, exec_lo, s0
	s_mov_b32 s0, -1
	s_cbranch_vccz .LBB175_909
; %bb.908:
	s_clz_i32_u32 s0, s3
	s_delay_alu instid0(SALU_CYCLE_1) | instskip(NEXT) | instid1(SALU_CYCLE_1)
	s_min_u32 s9, s0, 32
	s_lshl_b64 s[0:1], s[2:3], s9
	s_delay_alu instid0(SALU_CYCLE_1) | instskip(NEXT) | instid1(SALU_CYCLE_1)
	s_min_u32 s0, s0, 1
	s_or_b32 s0, s1, s0
	s_delay_alu instid0(SALU_CYCLE_1)
	v_cvt_f32_u32_e32 v2, s0
	s_sub_i32 s0, 32, s9
	s_delay_alu instid0(VALU_DEP_1) | instid1(SALU_CYCLE_1)
	v_ldexp_f32 v2, v2, s0
	s_mov_b32 s0, 0
	s_delay_alu instid0(VALU_DEP_1) | instskip(NEXT) | instid1(VALU_DEP_1)
	v_bfe_u32 v3, v2, 16, 1
	v_add_nc_u32_e32 v2, v2, v3
	s_delay_alu instid0(VALU_DEP_1) | instskip(NEXT) | instid1(VALU_DEP_1)
	v_add_nc_u32_e32 v2, 0x7fff, v2
	v_lshrrev_b32_e32 v2, 16, v2
	global_store_b32 v[0:1], v2, off
.LBB175_909:
	s_mov_b32 s1, 0
	s_branch .LBB175_960
.LBB175_910:
	s_mov_b32 s0, 0
	s_mov_b32 s8, 0
                                        ; implicit-def: $sgpr4
                                        ; implicit-def: $vgpr0_vgpr1
.LBB175_911:
	s_and_b32 s9, s0, exec_lo
	s_and_not1_b32 s0, s6, exec_lo
	s_and_b32 s1, s5, exec_lo
	s_and_b32 s31, s8, exec_lo
	s_or_b32 s6, s0, s1
.LBB175_912:
	s_or_b32 exec_lo, exec_lo, s7
	s_and_saveexec_b32 s0, s6
	s_cbranch_execz .LBB175_915
; %bb.913:
	; divergent unreachable
	s_or_b32 exec_lo, exec_lo, s0
	s_and_saveexec_b32 s0, s31
	s_delay_alu instid0(SALU_CYCLE_1)
	s_xor_b32 s0, exec_lo, s0
	s_cbranch_execnz .LBB175_916
.LBB175_914:
	s_or_b32 exec_lo, exec_lo, s0
	s_and_saveexec_b32 s0, s9
	s_cbranch_execnz .LBB175_917
	s_branch .LBB175_954
.LBB175_915:
	s_or_b32 exec_lo, exec_lo, s0
	s_and_saveexec_b32 s0, s31
	s_delay_alu instid0(SALU_CYCLE_1)
	s_xor_b32 s0, exec_lo, s0
	s_cbranch_execz .LBB175_914
.LBB175_916:
	s_cmp_lg_u64 s[2:3], 0
	s_cselect_b32 s1, -1, 0
	s_delay_alu instid0(SALU_CYCLE_1)
	v_cndmask_b32_e64 v2, 0, 1, s1
	global_store_b8 v[0:1], v2, off
	s_or_b32 exec_lo, exec_lo, s0
	s_and_saveexec_b32 s0, s9
	s_cbranch_execz .LBB175_954
.LBB175_917:
	v_cmp_lt_i16_e64 s0, s4, 5
	s_delay_alu instid0(VALU_DEP_1)
	s_and_b32 vcc_lo, exec_lo, s0
	s_mov_b32 s0, -1
	s_cbranch_vccnz .LBB175_938
; %bb.918:
	v_cmp_lt_i16_e64 s0, s4, 8
	s_delay_alu instid0(VALU_DEP_1)
	s_and_b32 vcc_lo, exec_lo, s0
	s_mov_b32 s0, -1
	s_cbranch_vccnz .LBB175_928
; %bb.919:
	;; [unrolled: 6-line block ×3, first 2 shown]
	v_cmp_gt_i16_e64 s0, s4, 9
	s_delay_alu instid0(VALU_DEP_1)
	s_and_b32 vcc_lo, exec_lo, s0
	s_mov_b32 s0, -1
	s_cbranch_vccz .LBB175_922
; %bb.921:
	v_cvt_f64_u32_e32 v[2:3], s3
	v_cvt_f64_u32_e32 v[4:5], s2
	s_mov_b32 s0, 0
	s_delay_alu instid0(VALU_DEP_2) | instskip(NEXT) | instid1(VALU_DEP_1)
	v_ldexp_f64 v[2:3], v[2:3], 32
	v_add_f64 v[2:3], v[2:3], v[4:5]
	v_mov_b32_e32 v4, 0
	s_delay_alu instid0(VALU_DEP_1)
	v_mov_b32_e32 v5, v4
	global_store_b128 v[0:1], v[2:5], off
.LBB175_922:
	s_and_not1_b32 vcc_lo, exec_lo, s0
	s_cbranch_vccnz .LBB175_924
; %bb.923:
	s_clz_i32_u32 s0, s3
	v_mov_b32_e32 v3, 0
	s_min_u32 s5, s0, 32
	s_delay_alu instid0(SALU_CYCLE_1) | instskip(NEXT) | instid1(SALU_CYCLE_1)
	s_lshl_b64 s[0:1], s[2:3], s5
	s_min_u32 s0, s0, 1
	s_delay_alu instid0(SALU_CYCLE_1) | instskip(NEXT) | instid1(SALU_CYCLE_1)
	s_or_b32 s0, s1, s0
	v_cvt_f32_u32_e32 v2, s0
	s_sub_i32 s0, 32, s5
	s_delay_alu instid0(VALU_DEP_1) | instid1(SALU_CYCLE_1)
	v_ldexp_f32 v2, v2, s0
	global_store_b64 v[0:1], v[2:3], off
.LBB175_924:
	s_mov_b32 s0, 0
.LBB175_925:
	s_delay_alu instid0(SALU_CYCLE_1)
	s_and_not1_b32 vcc_lo, exec_lo, s0
	s_cbranch_vccnz .LBB175_927
; %bb.926:
	s_clz_i32_u32 s0, s3
	s_delay_alu instid0(SALU_CYCLE_1) | instskip(NEXT) | instid1(SALU_CYCLE_1)
	s_min_u32 s5, s0, 32
	s_lshl_b64 s[0:1], s[2:3], s5
	s_delay_alu instid0(SALU_CYCLE_1) | instskip(NEXT) | instid1(SALU_CYCLE_1)
	s_min_u32 s0, s0, 1
	s_or_b32 s0, s1, s0
	s_delay_alu instid0(SALU_CYCLE_1)
	v_cvt_f32_u32_e32 v2, s0
	s_sub_i32 s0, 32, s5
	s_delay_alu instid0(VALU_DEP_1) | instid1(SALU_CYCLE_1)
	v_ldexp_f32 v2, v2, s0
	s_delay_alu instid0(VALU_DEP_1) | instskip(NEXT) | instid1(VALU_DEP_1)
	v_cvt_f16_f32_e32 v2, v2
	v_and_b32_e32 v2, 0xffff, v2
	global_store_b32 v[0:1], v2, off
.LBB175_927:
	s_mov_b32 s0, 0
.LBB175_928:
	s_delay_alu instid0(SALU_CYCLE_1)
	s_and_not1_b32 vcc_lo, exec_lo, s0
	s_cbranch_vccnz .LBB175_937
; %bb.929:
	v_cmp_lt_i16_e64 s0, s4, 6
	s_delay_alu instid0(VALU_DEP_1)
	s_and_b32 vcc_lo, exec_lo, s0
	s_mov_b32 s0, -1
	s_cbranch_vccnz .LBB175_935
; %bb.930:
	v_cmp_gt_i16_e64 s0, s4, 6
	s_delay_alu instid0(VALU_DEP_1)
	s_and_b32 vcc_lo, exec_lo, s0
	s_mov_b32 s0, -1
	s_cbranch_vccz .LBB175_932
; %bb.931:
	v_cvt_f64_u32_e32 v[2:3], s3
	v_cvt_f64_u32_e32 v[4:5], s2
	s_mov_b32 s0, 0
	s_delay_alu instid0(VALU_DEP_2) | instskip(NEXT) | instid1(VALU_DEP_1)
	v_ldexp_f64 v[2:3], v[2:3], 32
	v_add_f64 v[2:3], v[2:3], v[4:5]
	global_store_b64 v[0:1], v[2:3], off
.LBB175_932:
	s_and_not1_b32 vcc_lo, exec_lo, s0
	s_cbranch_vccnz .LBB175_934
; %bb.933:
	s_clz_i32_u32 s0, s3
	s_delay_alu instid0(SALU_CYCLE_1) | instskip(NEXT) | instid1(SALU_CYCLE_1)
	s_min_u32 s5, s0, 32
	s_lshl_b64 s[0:1], s[2:3], s5
	s_delay_alu instid0(SALU_CYCLE_1) | instskip(NEXT) | instid1(SALU_CYCLE_1)
	s_min_u32 s0, s0, 1
	s_or_b32 s0, s1, s0
	s_delay_alu instid0(SALU_CYCLE_1)
	v_cvt_f32_u32_e32 v2, s0
	s_sub_i32 s0, 32, s5
	s_delay_alu instid0(VALU_DEP_1) | instid1(SALU_CYCLE_1)
	v_ldexp_f32 v2, v2, s0
	global_store_b32 v[0:1], v2, off
.LBB175_934:
	s_mov_b32 s0, 0
.LBB175_935:
	s_delay_alu instid0(SALU_CYCLE_1)
	s_and_not1_b32 vcc_lo, exec_lo, s0
	s_cbranch_vccnz .LBB175_937
; %bb.936:
	s_clz_i32_u32 s0, s3
	s_delay_alu instid0(SALU_CYCLE_1) | instskip(NEXT) | instid1(SALU_CYCLE_1)
	s_min_u32 s5, s0, 32
	s_lshl_b64 s[0:1], s[2:3], s5
	s_delay_alu instid0(SALU_CYCLE_1) | instskip(NEXT) | instid1(SALU_CYCLE_1)
	s_min_u32 s0, s0, 1
	s_or_b32 s0, s1, s0
	s_delay_alu instid0(SALU_CYCLE_1)
	v_cvt_f32_u32_e32 v2, s0
	s_sub_i32 s0, 32, s5
	s_delay_alu instid0(VALU_DEP_1) | instid1(SALU_CYCLE_1)
	v_ldexp_f32 v2, v2, s0
	s_delay_alu instid0(VALU_DEP_1)
	v_cvt_f16_f32_e32 v2, v2
	global_store_b16 v[0:1], v2, off
.LBB175_937:
	s_mov_b32 s0, 0
.LBB175_938:
	s_delay_alu instid0(SALU_CYCLE_1)
	s_and_not1_b32 vcc_lo, exec_lo, s0
	s_cbranch_vccnz .LBB175_954
; %bb.939:
	v_cmp_lt_i16_e64 s0, s4, 2
	s_delay_alu instid0(VALU_DEP_1)
	s_and_b32 vcc_lo, exec_lo, s0
	s_mov_b32 s0, -1
	s_cbranch_vccnz .LBB175_949
; %bb.940:
	v_cmp_lt_i16_e64 s0, s4, 3
	s_delay_alu instid0(VALU_DEP_1)
	s_and_b32 vcc_lo, exec_lo, s0
	s_mov_b32 s0, -1
	s_cbranch_vccnz .LBB175_946
; %bb.941:
	v_cmp_gt_i16_e64 s0, s4, 3
	s_delay_alu instid0(VALU_DEP_1)
	s_and_b32 vcc_lo, exec_lo, s0
	s_mov_b32 s0, -1
	s_cbranch_vccz .LBB175_943
; %bb.942:
	v_dual_mov_b32 v2, s2 :: v_dual_mov_b32 v3, s3
	s_mov_b32 s0, 0
	global_store_b64 v[0:1], v[2:3], off
.LBB175_943:
	s_and_not1_b32 vcc_lo, exec_lo, s0
	s_cbranch_vccnz .LBB175_945
; %bb.944:
	v_mov_b32_e32 v2, s2
	global_store_b32 v[0:1], v2, off
.LBB175_945:
	s_mov_b32 s0, 0
.LBB175_946:
	s_delay_alu instid0(SALU_CYCLE_1)
	s_and_not1_b32 vcc_lo, exec_lo, s0
	s_cbranch_vccnz .LBB175_948
; %bb.947:
	v_mov_b32_e32 v2, s2
	global_store_b16 v[0:1], v2, off
.LBB175_948:
	s_mov_b32 s0, 0
.LBB175_949:
	s_delay_alu instid0(SALU_CYCLE_1)
	s_and_not1_b32 vcc_lo, exec_lo, s0
	s_cbranch_vccnz .LBB175_954
; %bb.950:
	v_cmp_gt_i16_e64 s0, s4, 0
	s_delay_alu instid0(VALU_DEP_1)
	s_and_b32 vcc_lo, exec_lo, s0
	s_mov_b32 s0, -1
	s_cbranch_vccz .LBB175_952
; %bb.951:
	v_mov_b32_e32 v2, s2
	s_mov_b32 s0, 0
	global_store_b8 v[0:1], v2, off
.LBB175_952:
	s_and_not1_b32 vcc_lo, exec_lo, s0
	s_cbranch_vccnz .LBB175_954
; %bb.953:
	v_mov_b32_e32 v2, s2
	global_store_b8 v[0:1], v2, off
	s_nop 0
	s_sendmsg sendmsg(MSG_DEALLOC_VGPRS)
	s_endpgm
.LBB175_954:
	s_nop 0
	s_sendmsg sendmsg(MSG_DEALLOC_VGPRS)
	s_endpgm
.LBB175_955:
	s_mov_b32 s0, 0
	s_branch .LBB175_970
.LBB175_956:
	s_mov_b32 s0, 0
	s_branch .LBB175_966
.LBB175_957:
	s_cbranch_execnz .LBB175_981
; %bb.958:
	s_or_b32 s5, s5, exec_lo
	s_cbranch_execz .LBB175_860
	s_branch .LBB175_861
.LBB175_959:
	s_mov_b32 s0, 0
.LBB175_960:
	s_and_b32 vcc_lo, exec_lo, s1
	s_cbranch_vccz .LBB175_965
; %bb.961:
	v_cmp_eq_u16_e64 s0, s4, 44
	s_delay_alu instid0(VALU_DEP_1)
	s_and_b32 vcc_lo, exec_lo, s0
	s_mov_b32 s0, -1
	s_cbranch_vccz .LBB175_965
; %bb.962:
	s_clz_i32_u32 s0, s3
	s_delay_alu instid0(SALU_CYCLE_1) | instskip(NEXT) | instid1(SALU_CYCLE_1)
	s_min_u32 s9, s0, 32
	s_lshl_b64 s[0:1], s[2:3], s9
	s_delay_alu instid0(SALU_CYCLE_1) | instskip(NEXT) | instid1(SALU_CYCLE_1)
	s_min_u32 s0, s0, 1
	s_or_b32 s0, s1, s0
	s_delay_alu instid0(SALU_CYCLE_1)
	v_cvt_f32_u32_e32 v2, s0
	s_sub_i32 s0, 32, s9
	s_delay_alu instid0(VALU_DEP_1) | instid1(SALU_CYCLE_1)
	v_ldexp_f32 v2, v2, s0
	s_delay_alu instid0(VALU_DEP_1) | instskip(SKIP_1) | instid1(VALU_DEP_2)
	v_readfirstlane_b32 s1, v2
	v_mov_b32_e32 v2, 0xff
	s_lshr_b32 s0, s1, 23
	s_delay_alu instid0(SALU_CYCLE_1)
	s_cmpk_eq_i32 s0, 0xff
	s_cbranch_scc1 .LBB175_964
; %bb.963:
	s_bitcmp1_b32 s1, 22
	s_cselect_b32 s9, -1, 0
	s_and_b32 s1, s1, 0x3fffff
	s_delay_alu instid0(SALU_CYCLE_1) | instskip(NEXT) | instid1(SALU_CYCLE_1)
	s_or_b32 s1, s0, s1
	s_cmp_lg_u32 s1, 0
	s_cselect_b32 s1, -1, 0
	s_delay_alu instid0(SALU_CYCLE_1) | instskip(NEXT) | instid1(SALU_CYCLE_1)
	s_and_b32 s1, s9, s1
	v_cndmask_b32_e64 v2, 0, 1, s1
	s_delay_alu instid0(VALU_DEP_1)
	v_add_nc_u32_e32 v2, s0, v2
.LBB175_964:
	s_mov_b32 s0, 0
	global_store_b8 v[0:1], v2, off
.LBB175_965:
	s_mov_b32 s1, 0
.LBB175_966:
	s_delay_alu instid0(SALU_CYCLE_1)
	s_and_b32 vcc_lo, exec_lo, s1
	s_cbranch_vccz .LBB175_969
; %bb.967:
	v_cmp_eq_u16_e64 s0, s4, 29
	s_delay_alu instid0(VALU_DEP_1)
	s_and_b32 vcc_lo, exec_lo, s0
	s_mov_b32 s0, -1
	s_cbranch_vccz .LBB175_969
; %bb.968:
	v_dual_mov_b32 v2, s2 :: v_dual_mov_b32 v3, s3
	s_mov_b32 s0, 0
	global_store_b64 v[0:1], v[2:3], off
.LBB175_969:
	s_mov_b32 s1, 0
.LBB175_970:
	s_delay_alu instid0(SALU_CYCLE_1)
	s_and_b32 vcc_lo, exec_lo, s1
	s_cbranch_vccz .LBB175_989
; %bb.971:
	v_cmp_lt_i16_e64 s1, s4, 27
	s_delay_alu instid0(VALU_DEP_1)
	s_and_b32 vcc_lo, exec_lo, s1
	s_mov_b32 s1, -1
	s_cbranch_vccnz .LBB175_977
; %bb.972:
	v_cmp_gt_i16_e64 s1, s4, 27
	s_delay_alu instid0(VALU_DEP_1)
	s_and_b32 vcc_lo, exec_lo, s1
	s_mov_b32 s1, -1
	s_cbranch_vccz .LBB175_974
; %bb.973:
	v_mov_b32_e32 v2, s2
	s_mov_b32 s1, 0
	global_store_b32 v[0:1], v2, off
.LBB175_974:
	s_and_not1_b32 vcc_lo, exec_lo, s1
	s_cbranch_vccnz .LBB175_976
; %bb.975:
	v_mov_b32_e32 v2, s2
	global_store_b16 v[0:1], v2, off
.LBB175_976:
	s_mov_b32 s1, 0
.LBB175_977:
	s_delay_alu instid0(SALU_CYCLE_1)
	s_and_not1_b32 vcc_lo, exec_lo, s1
	s_cbranch_vccnz .LBB175_989
; %bb.978:
	s_clz_i32_u32 s1, s3
	v_mov_b32_e32 v4, 0x80
	s_min_u32 s1, s1, 32
	s_delay_alu instid0(SALU_CYCLE_1) | instskip(SKIP_2) | instid1(SALU_CYCLE_1)
	s_lshl_b64 s[10:11], s[2:3], s1
	s_sub_i32 s1, 32, s1
	s_min_u32 s9, s10, 1
	s_or_b32 s9, s11, s9
	s_delay_alu instid0(SALU_CYCLE_1) | instskip(NEXT) | instid1(VALU_DEP_1)
	v_cvt_f32_u32_e32 v2, s9
	v_ldexp_f32 v2, v2, s1
	s_delay_alu instid0(VALU_DEP_1)
	v_cmp_lt_u32_e32 vcc_lo, 0x437fffff, v2
	v_readfirstlane_b32 s1, v2
	s_cbranch_vccnz .LBB175_988
; %bb.979:
	s_delay_alu instid0(VALU_DEP_1)
	s_cmp_gt_u32 s1, 0x3bffffff
	s_cbranch_scc0 .LBB175_983
; %bb.980:
	s_bfe_u32 s9, s1, 0x10014
	s_delay_alu instid0(SALU_CYCLE_1) | instskip(SKIP_2) | instid1(SALU_CYCLE_1)
	s_add_i32 s1, s1, s9
	s_mov_b32 s9, 0
	s_add_i32 s1, s1, 0x487ffff
	s_lshr_b32 s10, s1, 20
	s_mov_b32 s1, -1
	s_branch .LBB175_984
.LBB175_981:
	s_trap 2
	s_sendmsg_rtn_b32 s0, sendmsg(MSG_RTN_GET_DOORBELL)
	s_mov_b32 ttmp2, m0
	s_waitcnt lgkmcnt(0)
	s_and_b32 s0, s0, 0x3ff
	s_delay_alu instid0(SALU_CYCLE_1) | instskip(NEXT) | instid1(SALU_CYCLE_1)
	s_bitset1_b32 s0, 10
	s_mov_b32 m0, s0
	s_sendmsg sendmsg(MSG_INTERRUPT)
	s_mov_b32 m0, ttmp2
.LBB175_982:                            ; =>This Inner Loop Header: Depth=1
	s_sethalt 5
	s_branch .LBB175_982
.LBB175_983:
	s_mov_b32 s9, -1
	s_mov_b32 s1, 0
                                        ; implicit-def: $sgpr10
.LBB175_984:
	v_mov_b32_e32 v3, s10
	s_and_not1_b32 vcc_lo, exec_lo, s9
                                        ; implicit-def: $sgpr9
	s_cbranch_vccnz .LBB175_986
; %bb.985:
	v_add_f32_e32 v2, 0x46000000, v2
	s_mov_b32 s9, 0
	s_delay_alu instid0(VALU_DEP_1) | instskip(NEXT) | instid1(VALU_DEP_1)
	v_and_b32_e32 v3, 0xff, v2
	v_cmp_ne_u32_e64 s1, 0, v3
.LBB175_986:
	v_mov_b32_e32 v4, s9
	s_delay_alu instid0(VALU_DEP_2)
	s_and_not1_b32 vcc_lo, exec_lo, s1
	s_cbranch_vccnz .LBB175_988
; %bb.987:
	v_mov_b32_e32 v4, v3
.LBB175_988:
	global_store_b8 v[0:1], v4, off
.LBB175_989:
	s_mov_b32 s1, 0
.LBB175_990:
	s_delay_alu instid0(SALU_CYCLE_1)
	s_and_b32 vcc_lo, exec_lo, s1
	s_cbranch_vccz .LBB175_1036
; %bb.991:
	v_cmp_gt_i16_e64 s1, s4, 22
	s_delay_alu instid0(VALU_DEP_1)
	s_and_b32 vcc_lo, exec_lo, s1
	s_mov_b32 s1, -1
	s_cbranch_vccz .LBB175_1029
; %bb.992:
	v_cmp_lt_i16_e64 s1, s4, 24
	s_delay_alu instid0(VALU_DEP_1)
	s_and_b32 vcc_lo, exec_lo, s1
	s_mov_b32 s1, -1
	s_cbranch_vccnz .LBB175_1016
; %bb.993:
	v_cmp_gt_i16_e64 s1, s4, 24
	s_delay_alu instid0(VALU_DEP_1)
	s_and_b32 vcc_lo, exec_lo, s1
	s_mov_b32 s1, -1
	s_cbranch_vccz .LBB175_1003
; %bb.994:
	s_clz_i32_u32 s1, s3
	v_mov_b32_e32 v4, 0x80
	s_min_u32 s1, s1, 32
	s_delay_alu instid0(SALU_CYCLE_1) | instskip(SKIP_2) | instid1(SALU_CYCLE_1)
	s_lshl_b64 s[8:9], s[2:3], s1
	s_sub_i32 s1, 32, s1
	s_min_u32 s8, s8, 1
	s_or_b32 s8, s9, s8
	s_delay_alu instid0(SALU_CYCLE_1) | instskip(NEXT) | instid1(VALU_DEP_1)
	v_cvt_f32_u32_e32 v2, s8
	v_ldexp_f32 v2, v2, s1
	s_delay_alu instid0(VALU_DEP_1)
	v_cmp_lt_u32_e32 vcc_lo, 0x477fffff, v2
	v_readfirstlane_b32 s1, v2
	s_cbranch_vccnz .LBB175_1002
; %bb.995:
	s_delay_alu instid0(VALU_DEP_1)
	s_cmp_gt_u32 s1, 0x37ffffff
	s_cbranch_scc0 .LBB175_997
; %bb.996:
	s_bfe_u32 s8, s1, 0x10015
	s_delay_alu instid0(SALU_CYCLE_1) | instskip(SKIP_2) | instid1(SALU_CYCLE_1)
	s_add_i32 s1, s1, s8
	s_mov_b32 s8, 0
	s_add_i32 s1, s1, 0x88fffff
	s_lshr_b32 s9, s1, 21
	s_mov_b32 s1, -1
	s_branch .LBB175_998
.LBB175_997:
	s_mov_b32 s8, -1
	s_mov_b32 s1, 0
                                        ; implicit-def: $sgpr9
.LBB175_998:
	v_mov_b32_e32 v3, s9
	s_and_not1_b32 vcc_lo, exec_lo, s8
                                        ; implicit-def: $sgpr8
	s_cbranch_vccnz .LBB175_1000
; %bb.999:
	v_add_f32_e32 v2, 0x42800000, v2
	s_mov_b32 s8, 0
	s_delay_alu instid0(VALU_DEP_1) | instskip(NEXT) | instid1(VALU_DEP_1)
	v_and_b32_e32 v3, 0xff, v2
	v_cmp_ne_u32_e64 s1, 0, v3
.LBB175_1000:
	v_mov_b32_e32 v4, s8
	s_delay_alu instid0(VALU_DEP_2)
	s_and_not1_b32 vcc_lo, exec_lo, s1
	s_cbranch_vccnz .LBB175_1002
; %bb.1001:
	v_mov_b32_e32 v4, v3
.LBB175_1002:
	s_mov_b32 s1, 0
	global_store_b8 v[0:1], v4, off
.LBB175_1003:
	s_and_b32 vcc_lo, exec_lo, s1
	s_cbranch_vccz .LBB175_1015
; %bb.1004:
	s_clz_i32_u32 s1, s3
	s_delay_alu instid0(SALU_CYCLE_1) | instskip(NEXT) | instid1(SALU_CYCLE_1)
	s_min_u32 s1, s1, 32
	s_lshl_b64 s[8:9], s[2:3], s1
	s_sub_i32 s1, 32, s1
	s_min_u32 s8, s8, 1
	s_delay_alu instid0(SALU_CYCLE_1) | instskip(NEXT) | instid1(SALU_CYCLE_1)
	s_or_b32 s8, s9, s8
	v_cvt_f32_u32_e32 v2, s8
	s_delay_alu instid0(VALU_DEP_1) | instskip(NEXT) | instid1(VALU_DEP_1)
	v_ldexp_f32 v2, v2, s1
	v_cmp_gt_u32_e32 vcc_lo, 0x43f00000, v2
	v_readfirstlane_b32 s1, v2
	s_cbranch_vccz .LBB175_1007
; %bb.1005:
	s_delay_alu instid0(VALU_DEP_1)
	s_cmp_gt_u32 s1, 0x3c7fffff
	s_cbranch_scc0 .LBB175_1008
; %bb.1006:
	s_bfe_u32 s8, s1, 0x10014
	s_delay_alu instid0(SALU_CYCLE_1) | instskip(NEXT) | instid1(SALU_CYCLE_1)
	s_add_i32 s8, s1, s8
	s_add_i32 s8, s8, 0x407ffff
	s_delay_alu instid0(SALU_CYCLE_1)
	s_and_b32 s9, s8, 0xff00000
	s_lshr_b32 s8, s8, 20
	s_cmp_lg_u32 s9, 0x7f00000
	s_cselect_b32 s9, s8, 0x7e
	s_mov_b32 s8, 0
	s_branch .LBB175_1009
.LBB175_1007:
	s_mov_b32 s8, -1
                                        ; implicit-def: $vgpr3
	s_branch .LBB175_1012
.LBB175_1008:
	s_mov_b32 s8, -1
                                        ; implicit-def: $sgpr9
.LBB175_1009:
	v_mov_b32_e32 v3, s9
	s_and_not1_b32 vcc_lo, exec_lo, s8
	s_cbranch_vccnz .LBB175_1011
; %bb.1010:
	v_add_f32_e32 v3, 0x46800000, v2
.LBB175_1011:
	s_mov_b32 s8, 0
.LBB175_1012:
	s_delay_alu instid0(SALU_CYCLE_1)
	s_and_not1_b32 vcc_lo, exec_lo, s8
	s_cbranch_vccnz .LBB175_1014
; %bb.1013:
	s_cmp_gt_u32 s1, 0x7f800000
	s_movk_i32 s1, 0x7f
	s_delay_alu instid0(SALU_CYCLE_1) | instskip(NEXT) | instid1(SALU_CYCLE_1)
	s_cselect_b32 s1, s1, 0x7e
	v_mov_b32_e32 v3, s1
.LBB175_1014:
	global_store_b8 v[0:1], v3, off
.LBB175_1015:
	s_mov_b32 s1, 0
.LBB175_1016:
	s_delay_alu instid0(SALU_CYCLE_1)
	s_and_not1_b32 vcc_lo, exec_lo, s1
	s_cbranch_vccnz .LBB175_1028
; %bb.1017:
	s_clz_i32_u32 s1, s3
	s_delay_alu instid0(SALU_CYCLE_1) | instskip(NEXT) | instid1(SALU_CYCLE_1)
	s_min_u32 s1, s1, 32
	s_lshl_b64 s[8:9], s[2:3], s1
	s_sub_i32 s1, 32, s1
	s_min_u32 s8, s8, 1
	s_delay_alu instid0(SALU_CYCLE_1) | instskip(NEXT) | instid1(SALU_CYCLE_1)
	s_or_b32 s8, s9, s8
	v_cvt_f32_u32_e32 v2, s8
	s_delay_alu instid0(VALU_DEP_1) | instskip(NEXT) | instid1(VALU_DEP_1)
	v_ldexp_f32 v2, v2, s1
	v_cmp_gt_u32_e32 vcc_lo, 0x47800000, v2
	v_readfirstlane_b32 s1, v2
	s_cbranch_vccz .LBB175_1020
; %bb.1018:
	s_delay_alu instid0(VALU_DEP_1)
	s_cmp_gt_u32 s1, 0x387fffff
	s_cbranch_scc0 .LBB175_1021
; %bb.1019:
	s_bfe_u32 s8, s1, 0x10015
	s_delay_alu instid0(SALU_CYCLE_1) | instskip(NEXT) | instid1(SALU_CYCLE_1)
	s_add_i32 s8, s1, s8
	s_add_i32 s8, s8, 0x80fffff
	s_delay_alu instid0(SALU_CYCLE_1)
	s_lshr_b32 s9, s8, 21
	s_mov_b32 s8, 0
	s_branch .LBB175_1022
.LBB175_1020:
	s_mov_b32 s8, -1
                                        ; implicit-def: $vgpr3
	s_branch .LBB175_1025
.LBB175_1021:
	s_mov_b32 s8, -1
                                        ; implicit-def: $sgpr9
.LBB175_1022:
	v_mov_b32_e32 v3, s9
	s_and_not1_b32 vcc_lo, exec_lo, s8
	s_cbranch_vccnz .LBB175_1024
; %bb.1023:
	v_add_f32_e32 v3, 0x43000000, v2
.LBB175_1024:
	s_mov_b32 s8, 0
.LBB175_1025:
	s_delay_alu instid0(SALU_CYCLE_1)
	s_and_not1_b32 vcc_lo, exec_lo, s8
	s_cbranch_vccnz .LBB175_1027
; %bb.1026:
	s_cmp_gt_u32 s1, 0x7f800000
	s_movk_i32 s1, 0x7f
	s_delay_alu instid0(SALU_CYCLE_1) | instskip(NEXT) | instid1(SALU_CYCLE_1)
	s_cselect_b32 s1, s1, 0x7c
	v_mov_b32_e32 v3, s1
.LBB175_1027:
	global_store_b8 v[0:1], v3, off
.LBB175_1028:
	s_mov_b32 s1, 0
.LBB175_1029:
	s_delay_alu instid0(SALU_CYCLE_1)
	s_and_not1_b32 vcc_lo, exec_lo, s1
	s_mov_b32 s8, 0
	s_cbranch_vccnz .LBB175_1036
; %bb.1030:
	v_cmp_gt_i16_e64 s1, s4, 14
	s_delay_alu instid0(VALU_DEP_1)
	s_and_b32 vcc_lo, exec_lo, s1
	s_mov_b32 s1, -1
	s_cbranch_vccz .LBB175_1034
; %bb.1031:
	v_cmp_eq_u16_e64 s0, s4, 15
	s_delay_alu instid0(VALU_DEP_1)
	s_and_b32 vcc_lo, exec_lo, s0
	s_mov_b32 s0, -1
	s_cbranch_vccz .LBB175_1033
; %bb.1032:
	s_clz_i32_u32 s0, s3
	s_delay_alu instid0(SALU_CYCLE_1) | instskip(NEXT) | instid1(SALU_CYCLE_1)
	s_min_u32 s8, s0, 32
	s_lshl_b64 s[0:1], s[2:3], s8
	s_delay_alu instid0(SALU_CYCLE_1) | instskip(NEXT) | instid1(SALU_CYCLE_1)
	s_min_u32 s0, s0, 1
	s_or_b32 s0, s1, s0
	s_delay_alu instid0(SALU_CYCLE_1)
	v_cvt_f32_u32_e32 v2, s0
	s_sub_i32 s0, 32, s8
	s_delay_alu instid0(VALU_DEP_1) | instid1(SALU_CYCLE_1)
	v_ldexp_f32 v2, v2, s0
	s_mov_b32 s0, 0
	s_delay_alu instid0(VALU_DEP_1) | instskip(NEXT) | instid1(VALU_DEP_1)
	v_bfe_u32 v3, v2, 16, 1
	v_add_nc_u32_e32 v2, v2, v3
	s_delay_alu instid0(VALU_DEP_1)
	v_add_nc_u32_e32 v2, 0x7fff, v2
	global_store_d16_hi_b16 v[0:1], v2, off
.LBB175_1033:
	s_mov_b32 s1, 0
.LBB175_1034:
	s_delay_alu instid0(SALU_CYCLE_1)
	s_and_b32 vcc_lo, exec_lo, s1
	s_mov_b32 s8, 0
	s_cbranch_vccz .LBB175_1036
; %bb.1035:
	v_cmp_ne_u16_e64 s0, s4, 11
	s_mov_b32 s8, -1
.LBB175_1036:
	s_delay_alu instid0(VALU_DEP_1)
	s_and_b32 vcc_lo, exec_lo, s0
	s_cbranch_vccnz .LBB175_1038
.LBB175_1037:
	s_mov_b32 s0, 0
	s_branch .LBB175_911
.LBB175_1038:
	s_cbranch_execnz .LBB175_1040
; %bb.1039:
	s_mov_b32 s8, 0
	s_or_b32 s5, s5, exec_lo
	s_branch .LBB175_1037
.LBB175_1040:
	s_trap 2
	s_sendmsg_rtn_b32 s0, sendmsg(MSG_RTN_GET_DOORBELL)
	s_mov_b32 ttmp2, m0
	s_waitcnt lgkmcnt(0)
	s_and_b32 s0, s0, 0x3ff
	s_delay_alu instid0(SALU_CYCLE_1) | instskip(NEXT) | instid1(SALU_CYCLE_1)
	s_bitset1_b32 s0, 10
	s_mov_b32 m0, s0
	s_sendmsg sendmsg(MSG_INTERRUPT)
	s_mov_b32 m0, ttmp2
.LBB175_1041:                           ; =>This Inner Loop Header: Depth=1
	s_sethalt 5
	s_branch .LBB175_1041
	.section	.rodata,"a",@progbits
	.p2align	6, 0x0
	.amdhsa_kernel _ZN2at6native32elementwise_kernel_manual_unrollILi128ELi4EZNS0_15gpu_kernel_implINS0_11FillFunctorImEEEEvRNS_18TensorIteratorBaseERKT_EUlibE0_EEviT1_
		.amdhsa_group_segment_fixed_size 0
		.amdhsa_private_segment_fixed_size 0
		.amdhsa_kernarg_size 296
		.amdhsa_user_sgpr_count 15
		.amdhsa_user_sgpr_dispatch_ptr 0
		.amdhsa_user_sgpr_queue_ptr 0
		.amdhsa_user_sgpr_kernarg_segment_ptr 1
		.amdhsa_user_sgpr_dispatch_id 0
		.amdhsa_user_sgpr_private_segment_size 0
		.amdhsa_wavefront_size32 1
		.amdhsa_uses_dynamic_stack 0
		.amdhsa_enable_private_segment 0
		.amdhsa_system_sgpr_workgroup_id_x 1
		.amdhsa_system_sgpr_workgroup_id_y 0
		.amdhsa_system_sgpr_workgroup_id_z 0
		.amdhsa_system_sgpr_workgroup_info 0
		.amdhsa_system_vgpr_workitem_id 0
		.amdhsa_next_free_vgpr 28
		.amdhsa_next_free_sgpr 68
		.amdhsa_reserve_vcc 1
		.amdhsa_float_round_mode_32 0
		.amdhsa_float_round_mode_16_64 0
		.amdhsa_float_denorm_mode_32 3
		.amdhsa_float_denorm_mode_16_64 3
		.amdhsa_dx10_clamp 1
		.amdhsa_ieee_mode 1
		.amdhsa_fp16_overflow 0
		.amdhsa_workgroup_processor_mode 1
		.amdhsa_memory_ordered 1
		.amdhsa_forward_progress 0
		.amdhsa_shared_vgpr_count 0
		.amdhsa_exception_fp_ieee_invalid_op 0
		.amdhsa_exception_fp_denorm_src 0
		.amdhsa_exception_fp_ieee_div_zero 0
		.amdhsa_exception_fp_ieee_overflow 0
		.amdhsa_exception_fp_ieee_underflow 0
		.amdhsa_exception_fp_ieee_inexact 0
		.amdhsa_exception_int_div_zero 0
	.end_amdhsa_kernel
	.section	.text._ZN2at6native32elementwise_kernel_manual_unrollILi128ELi4EZNS0_15gpu_kernel_implINS0_11FillFunctorImEEEEvRNS_18TensorIteratorBaseERKT_EUlibE0_EEviT1_,"axG",@progbits,_ZN2at6native32elementwise_kernel_manual_unrollILi128ELi4EZNS0_15gpu_kernel_implINS0_11FillFunctorImEEEEvRNS_18TensorIteratorBaseERKT_EUlibE0_EEviT1_,comdat
.Lfunc_end175:
	.size	_ZN2at6native32elementwise_kernel_manual_unrollILi128ELi4EZNS0_15gpu_kernel_implINS0_11FillFunctorImEEEEvRNS_18TensorIteratorBaseERKT_EUlibE0_EEviT1_, .Lfunc_end175-_ZN2at6native32elementwise_kernel_manual_unrollILi128ELi4EZNS0_15gpu_kernel_implINS0_11FillFunctorImEEEEvRNS_18TensorIteratorBaseERKT_EUlibE0_EEviT1_
                                        ; -- End function
	.section	.AMDGPU.csdata,"",@progbits
; Kernel info:
; codeLenInByte = 22036
; NumSgprs: 70
; NumVgprs: 28
; ScratchSize: 0
; MemoryBound: 0
; FloatMode: 240
; IeeeMode: 1
; LDSByteSize: 0 bytes/workgroup (compile time only)
; SGPRBlocks: 8
; VGPRBlocks: 3
; NumSGPRsForWavesPerEU: 70
; NumVGPRsForWavesPerEU: 28
; Occupancy: 16
; WaveLimiterHint : 1
; COMPUTE_PGM_RSRC2:SCRATCH_EN: 0
; COMPUTE_PGM_RSRC2:USER_SGPR: 15
; COMPUTE_PGM_RSRC2:TRAP_HANDLER: 0
; COMPUTE_PGM_RSRC2:TGID_X_EN: 1
; COMPUTE_PGM_RSRC2:TGID_Y_EN: 0
; COMPUTE_PGM_RSRC2:TGID_Z_EN: 0
; COMPUTE_PGM_RSRC2:TIDIG_COMP_CNT: 0
	.text
	.p2alignl 7, 3214868480
	.fill 96, 4, 3214868480
	.type	__hip_cuid_951523556dc87701,@object ; @__hip_cuid_951523556dc87701
	.section	.bss,"aw",@nobits
	.globl	__hip_cuid_951523556dc87701
__hip_cuid_951523556dc87701:
	.byte	0                               ; 0x0
	.size	__hip_cuid_951523556dc87701, 1

	.ident	"AMD clang version 19.0.0git (https://github.com/RadeonOpenCompute/llvm-project roc-6.4.0 25133 c7fe45cf4b819c5991fe208aaa96edf142730f1d)"
	.section	".note.GNU-stack","",@progbits
	.addrsig
	.addrsig_sym __hip_cuid_951523556dc87701
	.amdgpu_metadata
---
amdhsa.kernels:
  - .args:
      - .offset:         0
        .size:           4
        .value_kind:     by_value
      - .offset:         4
        .size:           1
        .value_kind:     by_value
      - .address_space:  global
        .offset:         8
        .size:           8
        .value_kind:     global_buffer
    .group_segment_fixed_size: 0
    .kernarg_segment_align: 8
    .kernarg_segment_size: 16
    .language:       OpenCL C
    .language_version:
      - 2
      - 0
    .max_flat_workgroup_size: 256
    .name:           _ZN2at6native29vectorized_elementwise_kernelILi16ENS0_11FillFunctorIhEESt5arrayIPcLm1EEEEviT0_T1_
    .private_segment_fixed_size: 0
    .sgpr_count:     18
    .sgpr_spill_count: 0
    .symbol:         _ZN2at6native29vectorized_elementwise_kernelILi16ENS0_11FillFunctorIhEESt5arrayIPcLm1EEEEviT0_T1_.kd
    .uniform_work_group_size: 1
    .uses_dynamic_stack: false
    .vgpr_count:     16
    .vgpr_spill_count: 0
    .wavefront_size: 32
    .workgroup_processor_mode: 1
  - .args:
      - .offset:         0
        .size:           4
        .value_kind:     by_value
      - .offset:         4
        .size:           1
        .value_kind:     by_value
      - .address_space:  global
        .offset:         8
        .size:           8
        .value_kind:     global_buffer
    .group_segment_fixed_size: 0
    .kernarg_segment_align: 8
    .kernarg_segment_size: 16
    .language:       OpenCL C
    .language_version:
      - 2
      - 0
    .max_flat_workgroup_size: 256
    .name:           _ZN2at6native29vectorized_elementwise_kernelILi8ENS0_11FillFunctorIhEESt5arrayIPcLm1EEEEviT0_T1_
    .private_segment_fixed_size: 0
    .sgpr_count:     18
    .sgpr_spill_count: 0
    .symbol:         _ZN2at6native29vectorized_elementwise_kernelILi8ENS0_11FillFunctorIhEESt5arrayIPcLm1EEEEviT0_T1_.kd
    .uniform_work_group_size: 1
    .uses_dynamic_stack: false
    .vgpr_count:     16
    .vgpr_spill_count: 0
    .wavefront_size: 32
    .workgroup_processor_mode: 1
  - .args:
      - .offset:         0
        .size:           4
        .value_kind:     by_value
      - .offset:         4
        .size:           1
        .value_kind:     by_value
      - .address_space:  global
        .offset:         8
        .size:           8
        .value_kind:     global_buffer
    .group_segment_fixed_size: 0
    .kernarg_segment_align: 8
    .kernarg_segment_size: 16
    .language:       OpenCL C
    .language_version:
      - 2
      - 0
    .max_flat_workgroup_size: 256
    .name:           _ZN2at6native29vectorized_elementwise_kernelILi4ENS0_11FillFunctorIhEESt5arrayIPcLm1EEEEviT0_T1_
    .private_segment_fixed_size: 0
    .sgpr_count:     18
    .sgpr_spill_count: 0
    .symbol:         _ZN2at6native29vectorized_elementwise_kernelILi4ENS0_11FillFunctorIhEESt5arrayIPcLm1EEEEviT0_T1_.kd
    .uniform_work_group_size: 1
    .uses_dynamic_stack: false
    .vgpr_count:     16
    .vgpr_spill_count: 0
    .wavefront_size: 32
    .workgroup_processor_mode: 1
  - .args:
      - .offset:         0
        .size:           4
        .value_kind:     by_value
      - .offset:         4
        .size:           1
        .value_kind:     by_value
      - .address_space:  global
        .offset:         8
        .size:           8
        .value_kind:     global_buffer
    .group_segment_fixed_size: 0
    .kernarg_segment_align: 8
    .kernarg_segment_size: 16
    .language:       OpenCL C
    .language_version:
      - 2
      - 0
    .max_flat_workgroup_size: 256
    .name:           _ZN2at6native29vectorized_elementwise_kernelILi2ENS0_11FillFunctorIhEESt5arrayIPcLm1EEEEviT0_T1_
    .private_segment_fixed_size: 0
    .sgpr_count:     18
    .sgpr_spill_count: 0
    .symbol:         _ZN2at6native29vectorized_elementwise_kernelILi2ENS0_11FillFunctorIhEESt5arrayIPcLm1EEEEviT0_T1_.kd
    .uniform_work_group_size: 1
    .uses_dynamic_stack: false
    .vgpr_count:     18
    .vgpr_spill_count: 0
    .wavefront_size: 32
    .workgroup_processor_mode: 1
  - .args:
      - .offset:         0
        .size:           4
        .value_kind:     by_value
      - .offset:         4
        .size:           1
        .value_kind:     by_value
      - .address_space:  global
        .offset:         8
        .size:           8
        .value_kind:     global_buffer
      - .offset:         16
        .size:           1
        .value_kind:     by_value
      - .offset:         17
        .size:           1
        .value_kind:     by_value
      - .offset:         18
        .size:           1
        .value_kind:     by_value
      - .offset:         19
        .size:           1
        .value_kind:     by_value
    .group_segment_fixed_size: 0
    .kernarg_segment_align: 8
    .kernarg_segment_size: 20
    .language:       OpenCL C
    .language_version:
      - 2
      - 0
    .max_flat_workgroup_size: 256
    .name:           _ZN2at6native27unrolled_elementwise_kernelINS0_11FillFunctorIhEESt5arrayIPcLm1EELi4E23TrivialOffsetCalculatorILi0EjES7_ILi1EjENS0_6memory15LoadWithoutCastENSA_16StoreWithoutCastEEEviT_T0_T2_T3_T4_T5_
    .private_segment_fixed_size: 0
    .sgpr_count:     18
    .sgpr_spill_count: 0
    .symbol:         _ZN2at6native27unrolled_elementwise_kernelINS0_11FillFunctorIhEESt5arrayIPcLm1EELi4E23TrivialOffsetCalculatorILi0EjES7_ILi1EjENS0_6memory15LoadWithoutCastENSA_16StoreWithoutCastEEEviT_T0_T2_T3_T4_T5_.kd
    .uniform_work_group_size: 1
    .uses_dynamic_stack: false
    .vgpr_count:     6
    .vgpr_spill_count: 0
    .wavefront_size: 32
    .workgroup_processor_mode: 1
  - .args:
      - .offset:         0
        .size:           4
        .value_kind:     by_value
      - .offset:         8
        .size:           280
        .value_kind:     by_value
    .group_segment_fixed_size: 0
    .kernarg_segment_align: 8
    .kernarg_segment_size: 288
    .language:       OpenCL C
    .language_version:
      - 2
      - 0
    .max_flat_workgroup_size: 128
    .name:           _ZN2at6native32elementwise_kernel_manual_unrollILi128ELi8EZNS0_22gpu_kernel_impl_nocastINS0_11FillFunctorIhEEEEvRNS_18TensorIteratorBaseERKT_EUlibE_EEviT1_
    .private_segment_fixed_size: 0
    .sgpr_count:     54
    .sgpr_spill_count: 0
    .symbol:         _ZN2at6native32elementwise_kernel_manual_unrollILi128ELi8EZNS0_22gpu_kernel_impl_nocastINS0_11FillFunctorIhEEEEvRNS_18TensorIteratorBaseERKT_EUlibE_EEviT1_.kd
    .uniform_work_group_size: 1
    .uses_dynamic_stack: false
    .vgpr_count:     18
    .vgpr_spill_count: 0
    .wavefront_size: 32
    .workgroup_processor_mode: 1
  - .args:
      - .offset:         0
        .size:           4
        .value_kind:     by_value
      - .offset:         8
        .size:           16
        .value_kind:     by_value
    .group_segment_fixed_size: 0
    .kernarg_segment_align: 8
    .kernarg_segment_size: 24
    .language:       OpenCL C
    .language_version:
      - 2
      - 0
    .max_flat_workgroup_size: 128
    .name:           _ZN2at6native32elementwise_kernel_manual_unrollILi128ELi4EZNS0_15gpu_kernel_implINS0_11FillFunctorIhEEEEvRNS_18TensorIteratorBaseERKT_EUlibE_EEviT1_
    .private_segment_fixed_size: 0
    .sgpr_count:     31
    .sgpr_spill_count: 0
    .symbol:         _ZN2at6native32elementwise_kernel_manual_unrollILi128ELi4EZNS0_15gpu_kernel_implINS0_11FillFunctorIhEEEEvRNS_18TensorIteratorBaseERKT_EUlibE_EEviT1_.kd
    .uniform_work_group_size: 1
    .uses_dynamic_stack: false
    .vgpr_count:     26
    .vgpr_spill_count: 0
    .wavefront_size: 32
    .workgroup_processor_mode: 1
  - .args:
      - .offset:         0
        .size:           4
        .value_kind:     by_value
      - .offset:         8
        .size:           280
        .value_kind:     by_value
    .group_segment_fixed_size: 0
    .kernarg_segment_align: 8
    .kernarg_segment_size: 288
    .language:       OpenCL C
    .language_version:
      - 2
      - 0
    .max_flat_workgroup_size: 128
    .name:           _ZN2at6native32elementwise_kernel_manual_unrollILi128ELi4EZNS0_15gpu_kernel_implINS0_11FillFunctorIhEEEEvRNS_18TensorIteratorBaseERKT_EUlibE0_EEviT1_
    .private_segment_fixed_size: 0
    .sgpr_count:     70
    .sgpr_spill_count: 0
    .symbol:         _ZN2at6native32elementwise_kernel_manual_unrollILi128ELi4EZNS0_15gpu_kernel_implINS0_11FillFunctorIhEEEEvRNS_18TensorIteratorBaseERKT_EUlibE0_EEviT1_.kd
    .uniform_work_group_size: 1
    .uses_dynamic_stack: false
    .vgpr_count:     30
    .vgpr_spill_count: 0
    .wavefront_size: 32
    .workgroup_processor_mode: 1
  - .args:
      - .offset:         0
        .size:           4
        .value_kind:     by_value
      - .offset:         4
        .size:           1
        .value_kind:     by_value
      - .address_space:  global
        .offset:         8
        .size:           8
        .value_kind:     global_buffer
    .group_segment_fixed_size: 0
    .kernarg_segment_align: 8
    .kernarg_segment_size: 16
    .language:       OpenCL C
    .language_version:
      - 2
      - 0
    .max_flat_workgroup_size: 256
    .name:           _ZN2at6native29vectorized_elementwise_kernelILi16ENS0_11FillFunctorIaEESt5arrayIPcLm1EEEEviT0_T1_
    .private_segment_fixed_size: 0
    .sgpr_count:     18
    .sgpr_spill_count: 0
    .symbol:         _ZN2at6native29vectorized_elementwise_kernelILi16ENS0_11FillFunctorIaEESt5arrayIPcLm1EEEEviT0_T1_.kd
    .uniform_work_group_size: 1
    .uses_dynamic_stack: false
    .vgpr_count:     16
    .vgpr_spill_count: 0
    .wavefront_size: 32
    .workgroup_processor_mode: 1
  - .args:
      - .offset:         0
        .size:           4
        .value_kind:     by_value
      - .offset:         4
        .size:           1
        .value_kind:     by_value
      - .address_space:  global
        .offset:         8
        .size:           8
        .value_kind:     global_buffer
    .group_segment_fixed_size: 0
    .kernarg_segment_align: 8
    .kernarg_segment_size: 16
    .language:       OpenCL C
    .language_version:
      - 2
      - 0
    .max_flat_workgroup_size: 256
    .name:           _ZN2at6native29vectorized_elementwise_kernelILi8ENS0_11FillFunctorIaEESt5arrayIPcLm1EEEEviT0_T1_
    .private_segment_fixed_size: 0
    .sgpr_count:     18
    .sgpr_spill_count: 0
    .symbol:         _ZN2at6native29vectorized_elementwise_kernelILi8ENS0_11FillFunctorIaEESt5arrayIPcLm1EEEEviT0_T1_.kd
    .uniform_work_group_size: 1
    .uses_dynamic_stack: false
    .vgpr_count:     16
    .vgpr_spill_count: 0
    .wavefront_size: 32
    .workgroup_processor_mode: 1
  - .args:
      - .offset:         0
        .size:           4
        .value_kind:     by_value
      - .offset:         4
        .size:           1
        .value_kind:     by_value
      - .address_space:  global
        .offset:         8
        .size:           8
        .value_kind:     global_buffer
    .group_segment_fixed_size: 0
    .kernarg_segment_align: 8
    .kernarg_segment_size: 16
    .language:       OpenCL C
    .language_version:
      - 2
      - 0
    .max_flat_workgroup_size: 256
    .name:           _ZN2at6native29vectorized_elementwise_kernelILi4ENS0_11FillFunctorIaEESt5arrayIPcLm1EEEEviT0_T1_
    .private_segment_fixed_size: 0
    .sgpr_count:     18
    .sgpr_spill_count: 0
    .symbol:         _ZN2at6native29vectorized_elementwise_kernelILi4ENS0_11FillFunctorIaEESt5arrayIPcLm1EEEEviT0_T1_.kd
    .uniform_work_group_size: 1
    .uses_dynamic_stack: false
    .vgpr_count:     16
    .vgpr_spill_count: 0
    .wavefront_size: 32
    .workgroup_processor_mode: 1
  - .args:
      - .offset:         0
        .size:           4
        .value_kind:     by_value
      - .offset:         4
        .size:           1
        .value_kind:     by_value
      - .address_space:  global
        .offset:         8
        .size:           8
        .value_kind:     global_buffer
    .group_segment_fixed_size: 0
    .kernarg_segment_align: 8
    .kernarg_segment_size: 16
    .language:       OpenCL C
    .language_version:
      - 2
      - 0
    .max_flat_workgroup_size: 256
    .name:           _ZN2at6native29vectorized_elementwise_kernelILi2ENS0_11FillFunctorIaEESt5arrayIPcLm1EEEEviT0_T1_
    .private_segment_fixed_size: 0
    .sgpr_count:     18
    .sgpr_spill_count: 0
    .symbol:         _ZN2at6native29vectorized_elementwise_kernelILi2ENS0_11FillFunctorIaEESt5arrayIPcLm1EEEEviT0_T1_.kd
    .uniform_work_group_size: 1
    .uses_dynamic_stack: false
    .vgpr_count:     18
    .vgpr_spill_count: 0
    .wavefront_size: 32
    .workgroup_processor_mode: 1
  - .args:
      - .offset:         0
        .size:           4
        .value_kind:     by_value
      - .offset:         4
        .size:           1
        .value_kind:     by_value
      - .address_space:  global
        .offset:         8
        .size:           8
        .value_kind:     global_buffer
      - .offset:         16
        .size:           1
        .value_kind:     by_value
      - .offset:         17
        .size:           1
        .value_kind:     by_value
      - .offset:         18
        .size:           1
        .value_kind:     by_value
      - .offset:         19
        .size:           1
        .value_kind:     by_value
    .group_segment_fixed_size: 0
    .kernarg_segment_align: 8
    .kernarg_segment_size: 20
    .language:       OpenCL C
    .language_version:
      - 2
      - 0
    .max_flat_workgroup_size: 256
    .name:           _ZN2at6native27unrolled_elementwise_kernelINS0_11FillFunctorIaEESt5arrayIPcLm1EELi4E23TrivialOffsetCalculatorILi0EjES7_ILi1EjENS0_6memory15LoadWithoutCastENSA_16StoreWithoutCastEEEviT_T0_T2_T3_T4_T5_
    .private_segment_fixed_size: 0
    .sgpr_count:     18
    .sgpr_spill_count: 0
    .symbol:         _ZN2at6native27unrolled_elementwise_kernelINS0_11FillFunctorIaEESt5arrayIPcLm1EELi4E23TrivialOffsetCalculatorILi0EjES7_ILi1EjENS0_6memory15LoadWithoutCastENSA_16StoreWithoutCastEEEviT_T0_T2_T3_T4_T5_.kd
    .uniform_work_group_size: 1
    .uses_dynamic_stack: false
    .vgpr_count:     6
    .vgpr_spill_count: 0
    .wavefront_size: 32
    .workgroup_processor_mode: 1
  - .args:
      - .offset:         0
        .size:           4
        .value_kind:     by_value
      - .offset:         8
        .size:           280
        .value_kind:     by_value
    .group_segment_fixed_size: 0
    .kernarg_segment_align: 8
    .kernarg_segment_size: 288
    .language:       OpenCL C
    .language_version:
      - 2
      - 0
    .max_flat_workgroup_size: 128
    .name:           _ZN2at6native32elementwise_kernel_manual_unrollILi128ELi8EZNS0_22gpu_kernel_impl_nocastINS0_11FillFunctorIaEEEEvRNS_18TensorIteratorBaseERKT_EUlibE_EEviT1_
    .private_segment_fixed_size: 0
    .sgpr_count:     54
    .sgpr_spill_count: 0
    .symbol:         _ZN2at6native32elementwise_kernel_manual_unrollILi128ELi8EZNS0_22gpu_kernel_impl_nocastINS0_11FillFunctorIaEEEEvRNS_18TensorIteratorBaseERKT_EUlibE_EEviT1_.kd
    .uniform_work_group_size: 1
    .uses_dynamic_stack: false
    .vgpr_count:     18
    .vgpr_spill_count: 0
    .wavefront_size: 32
    .workgroup_processor_mode: 1
  - .args:
      - .offset:         0
        .size:           4
        .value_kind:     by_value
      - .offset:         8
        .size:           16
        .value_kind:     by_value
    .group_segment_fixed_size: 0
    .kernarg_segment_align: 8
    .kernarg_segment_size: 24
    .language:       OpenCL C
    .language_version:
      - 2
      - 0
    .max_flat_workgroup_size: 128
    .name:           _ZN2at6native32elementwise_kernel_manual_unrollILi128ELi4EZNS0_15gpu_kernel_implINS0_11FillFunctorIaEEEEvRNS_18TensorIteratorBaseERKT_EUlibE_EEviT1_
    .private_segment_fixed_size: 0
    .sgpr_count:     40
    .sgpr_spill_count: 0
    .symbol:         _ZN2at6native32elementwise_kernel_manual_unrollILi128ELi4EZNS0_15gpu_kernel_implINS0_11FillFunctorIaEEEEvRNS_18TensorIteratorBaseERKT_EUlibE_EEviT1_.kd
    .uniform_work_group_size: 1
    .uses_dynamic_stack: false
    .vgpr_count:     20
    .vgpr_spill_count: 0
    .wavefront_size: 32
    .workgroup_processor_mode: 1
  - .args:
      - .offset:         0
        .size:           4
        .value_kind:     by_value
      - .offset:         8
        .size:           280
        .value_kind:     by_value
    .group_segment_fixed_size: 0
    .kernarg_segment_align: 8
    .kernarg_segment_size: 288
    .language:       OpenCL C
    .language_version:
      - 2
      - 0
    .max_flat_workgroup_size: 128
    .name:           _ZN2at6native32elementwise_kernel_manual_unrollILi128ELi4EZNS0_15gpu_kernel_implINS0_11FillFunctorIaEEEEvRNS_18TensorIteratorBaseERKT_EUlibE0_EEviT1_
    .private_segment_fixed_size: 0
    .sgpr_count:     78
    .sgpr_spill_count: 0
    .symbol:         _ZN2at6native32elementwise_kernel_manual_unrollILi128ELi4EZNS0_15gpu_kernel_implINS0_11FillFunctorIaEEEEvRNS_18TensorIteratorBaseERKT_EUlibE0_EEviT1_.kd
    .uniform_work_group_size: 1
    .uses_dynamic_stack: false
    .vgpr_count:     22
    .vgpr_spill_count: 0
    .wavefront_size: 32
    .workgroup_processor_mode: 1
  - .args:
      - .offset:         0
        .size:           4
        .value_kind:     by_value
      - .offset:         4
        .size:           4
        .value_kind:     by_value
      - .address_space:  global
        .offset:         8
        .size:           8
        .value_kind:     global_buffer
    .group_segment_fixed_size: 0
    .kernarg_segment_align: 8
    .kernarg_segment_size: 16
    .language:       OpenCL C
    .language_version:
      - 2
      - 0
    .max_flat_workgroup_size: 256
    .name:           _ZN2at6native29vectorized_elementwise_kernelILi16ENS0_11FillFunctorIiEESt5arrayIPcLm1EEEEviT0_T1_
    .private_segment_fixed_size: 0
    .sgpr_count:     18
    .sgpr_spill_count: 0
    .symbol:         _ZN2at6native29vectorized_elementwise_kernelILi16ENS0_11FillFunctorIiEESt5arrayIPcLm1EEEEviT0_T1_.kd
    .uniform_work_group_size: 1
    .uses_dynamic_stack: false
    .vgpr_count:     6
    .vgpr_spill_count: 0
    .wavefront_size: 32
    .workgroup_processor_mode: 1
  - .args:
      - .offset:         0
        .size:           4
        .value_kind:     by_value
      - .offset:         4
        .size:           4
        .value_kind:     by_value
      - .address_space:  global
        .offset:         8
        .size:           8
        .value_kind:     global_buffer
    .group_segment_fixed_size: 0
    .kernarg_segment_align: 8
    .kernarg_segment_size: 16
    .language:       OpenCL C
    .language_version:
      - 2
      - 0
    .max_flat_workgroup_size: 256
    .name:           _ZN2at6native29vectorized_elementwise_kernelILi8ENS0_11FillFunctorIiEESt5arrayIPcLm1EEEEviT0_T1_
    .private_segment_fixed_size: 0
    .sgpr_count:     18
    .sgpr_spill_count: 0
    .symbol:         _ZN2at6native29vectorized_elementwise_kernelILi8ENS0_11FillFunctorIiEESt5arrayIPcLm1EEEEviT0_T1_.kd
    .uniform_work_group_size: 1
    .uses_dynamic_stack: false
    .vgpr_count:     6
    .vgpr_spill_count: 0
    .wavefront_size: 32
    .workgroup_processor_mode: 1
  - .args:
      - .offset:         0
        .size:           4
        .value_kind:     by_value
      - .offset:         4
        .size:           4
        .value_kind:     by_value
      - .address_space:  global
        .offset:         8
        .size:           8
        .value_kind:     global_buffer
    .group_segment_fixed_size: 0
    .kernarg_segment_align: 8
    .kernarg_segment_size: 16
    .language:       OpenCL C
    .language_version:
      - 2
      - 0
    .max_flat_workgroup_size: 256
    .name:           _ZN2at6native29vectorized_elementwise_kernelILi4ENS0_11FillFunctorIiEESt5arrayIPcLm1EEEEviT0_T1_
    .private_segment_fixed_size: 0
    .sgpr_count:     18
    .sgpr_spill_count: 0
    .symbol:         _ZN2at6native29vectorized_elementwise_kernelILi4ENS0_11FillFunctorIiEESt5arrayIPcLm1EEEEviT0_T1_.kd
    .uniform_work_group_size: 1
    .uses_dynamic_stack: false
    .vgpr_count:     6
    .vgpr_spill_count: 0
    .wavefront_size: 32
    .workgroup_processor_mode: 1
  - .args:
      - .offset:         0
        .size:           4
        .value_kind:     by_value
      - .offset:         4
        .size:           4
        .value_kind:     by_value
      - .address_space:  global
        .offset:         8
        .size:           8
        .value_kind:     global_buffer
    .group_segment_fixed_size: 0
    .kernarg_segment_align: 8
    .kernarg_segment_size: 16
    .language:       OpenCL C
    .language_version:
      - 2
      - 0
    .max_flat_workgroup_size: 256
    .name:           _ZN2at6native29vectorized_elementwise_kernelILi2ENS0_11FillFunctorIiEESt5arrayIPcLm1EEEEviT0_T1_
    .private_segment_fixed_size: 0
    .sgpr_count:     18
    .sgpr_spill_count: 0
    .symbol:         _ZN2at6native29vectorized_elementwise_kernelILi2ENS0_11FillFunctorIiEESt5arrayIPcLm1EEEEviT0_T1_.kd
    .uniform_work_group_size: 1
    .uses_dynamic_stack: false
    .vgpr_count:     4
    .vgpr_spill_count: 0
    .wavefront_size: 32
    .workgroup_processor_mode: 1
  - .args:
      - .offset:         0
        .size:           4
        .value_kind:     by_value
      - .offset:         4
        .size:           4
        .value_kind:     by_value
      - .address_space:  global
        .offset:         8
        .size:           8
        .value_kind:     global_buffer
      - .offset:         16
        .size:           1
        .value_kind:     by_value
      - .offset:         17
        .size:           1
        .value_kind:     by_value
      - .offset:         18
        .size:           1
        .value_kind:     by_value
      - .offset:         19
        .size:           1
        .value_kind:     by_value
    .group_segment_fixed_size: 0
    .kernarg_segment_align: 8
    .kernarg_segment_size: 20
    .language:       OpenCL C
    .language_version:
      - 2
      - 0
    .max_flat_workgroup_size: 256
    .name:           _ZN2at6native27unrolled_elementwise_kernelINS0_11FillFunctorIiEESt5arrayIPcLm1EELi4E23TrivialOffsetCalculatorILi0EjES7_ILi1EjENS0_6memory15LoadWithoutCastENSA_16StoreWithoutCastEEEviT_T0_T2_T3_T4_T5_
    .private_segment_fixed_size: 0
    .sgpr_count:     18
    .sgpr_spill_count: 0
    .symbol:         _ZN2at6native27unrolled_elementwise_kernelINS0_11FillFunctorIiEESt5arrayIPcLm1EELi4E23TrivialOffsetCalculatorILi0EjES7_ILi1EjENS0_6memory15LoadWithoutCastENSA_16StoreWithoutCastEEEviT_T0_T2_T3_T4_T5_.kd
    .uniform_work_group_size: 1
    .uses_dynamic_stack: false
    .vgpr_count:     4
    .vgpr_spill_count: 0
    .wavefront_size: 32
    .workgroup_processor_mode: 1
  - .args:
      - .offset:         0
        .size:           4
        .value_kind:     by_value
      - .offset:         8
        .size:           280
        .value_kind:     by_value
    .group_segment_fixed_size: 0
    .kernarg_segment_align: 8
    .kernarg_segment_size: 288
    .language:       OpenCL C
    .language_version:
      - 2
      - 0
    .max_flat_workgroup_size: 128
    .name:           _ZN2at6native32elementwise_kernel_manual_unrollILi128ELi4EZNS0_22gpu_kernel_impl_nocastINS0_11FillFunctorIiEEEEvRNS_18TensorIteratorBaseERKT_EUlibE_EEviT1_
    .private_segment_fixed_size: 0
    .sgpr_count:     54
    .sgpr_spill_count: 0
    .symbol:         _ZN2at6native32elementwise_kernel_manual_unrollILi128ELi4EZNS0_22gpu_kernel_impl_nocastINS0_11FillFunctorIiEEEEvRNS_18TensorIteratorBaseERKT_EUlibE_EEviT1_.kd
    .uniform_work_group_size: 1
    .uses_dynamic_stack: false
    .vgpr_count:     14
    .vgpr_spill_count: 0
    .wavefront_size: 32
    .workgroup_processor_mode: 1
  - .args:
      - .offset:         0
        .size:           4
        .value_kind:     by_value
      - .offset:         8
        .size:           24
        .value_kind:     by_value
    .group_segment_fixed_size: 0
    .kernarg_segment_align: 8
    .kernarg_segment_size: 32
    .language:       OpenCL C
    .language_version:
      - 2
      - 0
    .max_flat_workgroup_size: 128
    .name:           _ZN2at6native32elementwise_kernel_manual_unrollILi128ELi4EZNS0_15gpu_kernel_implINS0_11FillFunctorIiEEEEvRNS_18TensorIteratorBaseERKT_EUlibE_EEviT1_
    .private_segment_fixed_size: 0
    .sgpr_count:     41
    .sgpr_spill_count: 0
    .symbol:         _ZN2at6native32elementwise_kernel_manual_unrollILi128ELi4EZNS0_15gpu_kernel_implINS0_11FillFunctorIiEEEEvRNS_18TensorIteratorBaseERKT_EUlibE_EEviT1_.kd
    .uniform_work_group_size: 1
    .uses_dynamic_stack: false
    .vgpr_count:     18
    .vgpr_spill_count: 0
    .wavefront_size: 32
    .workgroup_processor_mode: 1
  - .args:
      - .offset:         0
        .size:           4
        .value_kind:     by_value
      - .offset:         8
        .size:           280
        .value_kind:     by_value
    .group_segment_fixed_size: 0
    .kernarg_segment_align: 8
    .kernarg_segment_size: 288
    .language:       OpenCL C
    .language_version:
      - 2
      - 0
    .max_flat_workgroup_size: 128
    .name:           _ZN2at6native32elementwise_kernel_manual_unrollILi128ELi4EZNS0_15gpu_kernel_implINS0_11FillFunctorIiEEEEvRNS_18TensorIteratorBaseERKT_EUlibE0_EEviT1_
    .private_segment_fixed_size: 0
    .sgpr_count:     78
    .sgpr_spill_count: 0
    .symbol:         _ZN2at6native32elementwise_kernel_manual_unrollILi128ELi4EZNS0_15gpu_kernel_implINS0_11FillFunctorIiEEEEvRNS_18TensorIteratorBaseERKT_EUlibE0_EEviT1_.kd
    .uniform_work_group_size: 1
    .uses_dynamic_stack: false
    .vgpr_count:     21
    .vgpr_spill_count: 0
    .wavefront_size: 32
    .workgroup_processor_mode: 1
  - .args:
      - .offset:         0
        .size:           4
        .value_kind:     by_value
      - .offset:         8
        .size:           8
        .value_kind:     by_value
      - .address_space:  global
        .offset:         16
        .size:           8
        .value_kind:     global_buffer
    .group_segment_fixed_size: 0
    .kernarg_segment_align: 8
    .kernarg_segment_size: 24
    .language:       OpenCL C
    .language_version:
      - 2
      - 0
    .max_flat_workgroup_size: 256
    .name:           _ZN2at6native29vectorized_elementwise_kernelILi16ENS0_11FillFunctorIlEESt5arrayIPcLm1EEEEviT0_T1_
    .private_segment_fixed_size: 0
    .sgpr_count:     18
    .sgpr_spill_count: 0
    .symbol:         _ZN2at6native29vectorized_elementwise_kernelILi16ENS0_11FillFunctorIlEESt5arrayIPcLm1EEEEviT0_T1_.kd
    .uniform_work_group_size: 1
    .uses_dynamic_stack: false
    .vgpr_count:     6
    .vgpr_spill_count: 0
    .wavefront_size: 32
    .workgroup_processor_mode: 1
  - .args:
      - .offset:         0
        .size:           4
        .value_kind:     by_value
      - .offset:         8
        .size:           8
        .value_kind:     by_value
      - .address_space:  global
        .offset:         16
        .size:           8
        .value_kind:     global_buffer
    .group_segment_fixed_size: 0
    .kernarg_segment_align: 8
    .kernarg_segment_size: 24
    .language:       OpenCL C
    .language_version:
      - 2
      - 0
    .max_flat_workgroup_size: 256
    .name:           _ZN2at6native29vectorized_elementwise_kernelILi8ENS0_11FillFunctorIlEESt5arrayIPcLm1EEEEviT0_T1_
    .private_segment_fixed_size: 0
    .sgpr_count:     18
    .sgpr_spill_count: 0
    .symbol:         _ZN2at6native29vectorized_elementwise_kernelILi8ENS0_11FillFunctorIlEESt5arrayIPcLm1EEEEviT0_T1_.kd
    .uniform_work_group_size: 1
    .uses_dynamic_stack: false
    .vgpr_count:     6
    .vgpr_spill_count: 0
    .wavefront_size: 32
    .workgroup_processor_mode: 1
  - .args:
      - .offset:         0
        .size:           4
        .value_kind:     by_value
      - .offset:         8
        .size:           8
        .value_kind:     by_value
      - .address_space:  global
        .offset:         16
        .size:           8
        .value_kind:     global_buffer
    .group_segment_fixed_size: 0
    .kernarg_segment_align: 8
    .kernarg_segment_size: 24
    .language:       OpenCL C
    .language_version:
      - 2
      - 0
    .max_flat_workgroup_size: 256
    .name:           _ZN2at6native29vectorized_elementwise_kernelILi4ENS0_11FillFunctorIlEESt5arrayIPcLm1EEEEviT0_T1_
    .private_segment_fixed_size: 0
    .sgpr_count:     18
    .sgpr_spill_count: 0
    .symbol:         _ZN2at6native29vectorized_elementwise_kernelILi4ENS0_11FillFunctorIlEESt5arrayIPcLm1EEEEviT0_T1_.kd
    .uniform_work_group_size: 1
    .uses_dynamic_stack: false
    .vgpr_count:     6
    .vgpr_spill_count: 0
    .wavefront_size: 32
    .workgroup_processor_mode: 1
  - .args:
      - .offset:         0
        .size:           4
        .value_kind:     by_value
      - .offset:         8
        .size:           8
        .value_kind:     by_value
      - .address_space:  global
        .offset:         16
        .size:           8
        .value_kind:     global_buffer
    .group_segment_fixed_size: 0
    .kernarg_segment_align: 8
    .kernarg_segment_size: 24
    .language:       OpenCL C
    .language_version:
      - 2
      - 0
    .max_flat_workgroup_size: 256
    .name:           _ZN2at6native29vectorized_elementwise_kernelILi2ENS0_11FillFunctorIlEESt5arrayIPcLm1EEEEviT0_T1_
    .private_segment_fixed_size: 0
    .sgpr_count:     18
    .sgpr_spill_count: 0
    .symbol:         _ZN2at6native29vectorized_elementwise_kernelILi2ENS0_11FillFunctorIlEESt5arrayIPcLm1EEEEviT0_T1_.kd
    .uniform_work_group_size: 1
    .uses_dynamic_stack: false
    .vgpr_count:     8
    .vgpr_spill_count: 0
    .wavefront_size: 32
    .workgroup_processor_mode: 1
  - .args:
      - .offset:         0
        .size:           4
        .value_kind:     by_value
      - .offset:         8
        .size:           8
        .value_kind:     by_value
      - .address_space:  global
        .offset:         16
        .size:           8
        .value_kind:     global_buffer
      - .offset:         24
        .size:           1
        .value_kind:     by_value
      - .offset:         25
        .size:           1
        .value_kind:     by_value
      - .offset:         26
        .size:           1
        .value_kind:     by_value
      - .offset:         27
        .size:           1
        .value_kind:     by_value
    .group_segment_fixed_size: 0
    .kernarg_segment_align: 8
    .kernarg_segment_size: 28
    .language:       OpenCL C
    .language_version:
      - 2
      - 0
    .max_flat_workgroup_size: 256
    .name:           _ZN2at6native27unrolled_elementwise_kernelINS0_11FillFunctorIlEESt5arrayIPcLm1EELi4E23TrivialOffsetCalculatorILi0EjES7_ILi1EjENS0_6memory15LoadWithoutCastENSA_16StoreWithoutCastEEEviT_T0_T2_T3_T4_T5_
    .private_segment_fixed_size: 0
    .sgpr_count:     18
    .sgpr_spill_count: 0
    .symbol:         _ZN2at6native27unrolled_elementwise_kernelINS0_11FillFunctorIlEESt5arrayIPcLm1EELi4E23TrivialOffsetCalculatorILi0EjES7_ILi1EjENS0_6memory15LoadWithoutCastENSA_16StoreWithoutCastEEEviT_T0_T2_T3_T4_T5_.kd
    .uniform_work_group_size: 1
    .uses_dynamic_stack: false
    .vgpr_count:     9
    .vgpr_spill_count: 0
    .wavefront_size: 32
    .workgroup_processor_mode: 1
  - .args:
      - .offset:         0
        .size:           4
        .value_kind:     by_value
      - .offset:         8
        .size:           280
        .value_kind:     by_value
    .group_segment_fixed_size: 0
    .kernarg_segment_align: 8
    .kernarg_segment_size: 288
    .language:       OpenCL C
    .language_version:
      - 2
      - 0
    .max_flat_workgroup_size: 128
    .name:           _ZN2at6native32elementwise_kernel_manual_unrollILi128ELi4EZNS0_22gpu_kernel_impl_nocastINS0_11FillFunctorIlEEEEvRNS_18TensorIteratorBaseERKT_EUlibE_EEviT1_
    .private_segment_fixed_size: 0
    .sgpr_count:     54
    .sgpr_spill_count: 0
    .symbol:         _ZN2at6native32elementwise_kernel_manual_unrollILi128ELi4EZNS0_22gpu_kernel_impl_nocastINS0_11FillFunctorIlEEEEvRNS_18TensorIteratorBaseERKT_EUlibE_EEviT1_.kd
    .uniform_work_group_size: 1
    .uses_dynamic_stack: false
    .vgpr_count:     14
    .vgpr_spill_count: 0
    .wavefront_size: 32
    .workgroup_processor_mode: 1
  - .args:
      - .offset:         0
        .size:           4
        .value_kind:     by_value
      - .offset:         8
        .size:           32
        .value_kind:     by_value
    .group_segment_fixed_size: 0
    .kernarg_segment_align: 8
    .kernarg_segment_size: 40
    .language:       OpenCL C
    .language_version:
      - 2
      - 0
    .max_flat_workgroup_size: 128
    .name:           _ZN2at6native32elementwise_kernel_manual_unrollILi128ELi4EZNS0_15gpu_kernel_implINS0_11FillFunctorIlEEEEvRNS_18TensorIteratorBaseERKT_EUlibE_EEviT1_
    .private_segment_fixed_size: 0
    .sgpr_count:     40
    .sgpr_spill_count: 0
    .symbol:         _ZN2at6native32elementwise_kernel_manual_unrollILi128ELi4EZNS0_15gpu_kernel_implINS0_11FillFunctorIlEEEEvRNS_18TensorIteratorBaseERKT_EUlibE_EEviT1_.kd
    .uniform_work_group_size: 1
    .uses_dynamic_stack: false
    .vgpr_count:     18
    .vgpr_spill_count: 0
    .wavefront_size: 32
    .workgroup_processor_mode: 1
  - .args:
      - .offset:         0
        .size:           4
        .value_kind:     by_value
      - .offset:         8
        .size:           288
        .value_kind:     by_value
    .group_segment_fixed_size: 0
    .kernarg_segment_align: 8
    .kernarg_segment_size: 296
    .language:       OpenCL C
    .language_version:
      - 2
      - 0
    .max_flat_workgroup_size: 128
    .name:           _ZN2at6native32elementwise_kernel_manual_unrollILi128ELi4EZNS0_15gpu_kernel_implINS0_11FillFunctorIlEEEEvRNS_18TensorIteratorBaseERKT_EUlibE0_EEviT1_
    .private_segment_fixed_size: 0
    .sgpr_count:     78
    .sgpr_spill_count: 0
    .symbol:         _ZN2at6native32elementwise_kernel_manual_unrollILi128ELi4EZNS0_15gpu_kernel_implINS0_11FillFunctorIlEEEEvRNS_18TensorIteratorBaseERKT_EUlibE0_EEviT1_.kd
    .uniform_work_group_size: 1
    .uses_dynamic_stack: false
    .vgpr_count:     21
    .vgpr_spill_count: 0
    .wavefront_size: 32
    .workgroup_processor_mode: 1
  - .args:
      - .offset:         0
        .size:           4
        .value_kind:     by_value
      - .offset:         4
        .size:           2
        .value_kind:     by_value
      - .address_space:  global
        .offset:         8
        .size:           8
        .value_kind:     global_buffer
    .group_segment_fixed_size: 0
    .kernarg_segment_align: 8
    .kernarg_segment_size: 16
    .language:       OpenCL C
    .language_version:
      - 2
      - 0
    .max_flat_workgroup_size: 256
    .name:           _ZN2at6native29vectorized_elementwise_kernelILi16ENS0_11FillFunctorIsEESt5arrayIPcLm1EEEEviT0_T1_
    .private_segment_fixed_size: 0
    .sgpr_count:     18
    .sgpr_spill_count: 0
    .symbol:         _ZN2at6native29vectorized_elementwise_kernelILi16ENS0_11FillFunctorIsEESt5arrayIPcLm1EEEEviT0_T1_.kd
    .uniform_work_group_size: 1
    .uses_dynamic_stack: false
    .vgpr_count:     8
    .vgpr_spill_count: 0
    .wavefront_size: 32
    .workgroup_processor_mode: 1
  - .args:
      - .offset:         0
        .size:           4
        .value_kind:     by_value
      - .offset:         4
        .size:           2
        .value_kind:     by_value
      - .address_space:  global
        .offset:         8
        .size:           8
        .value_kind:     global_buffer
    .group_segment_fixed_size: 0
    .kernarg_segment_align: 8
    .kernarg_segment_size: 16
    .language:       OpenCL C
    .language_version:
      - 2
      - 0
    .max_flat_workgroup_size: 256
    .name:           _ZN2at6native29vectorized_elementwise_kernelILi8ENS0_11FillFunctorIsEESt5arrayIPcLm1EEEEviT0_T1_
    .private_segment_fixed_size: 0
    .sgpr_count:     18
    .sgpr_spill_count: 0
    .symbol:         _ZN2at6native29vectorized_elementwise_kernelILi8ENS0_11FillFunctorIsEESt5arrayIPcLm1EEEEviT0_T1_.kd
    .uniform_work_group_size: 1
    .uses_dynamic_stack: false
    .vgpr_count:     8
    .vgpr_spill_count: 0
    .wavefront_size: 32
    .workgroup_processor_mode: 1
  - .args:
      - .offset:         0
        .size:           4
        .value_kind:     by_value
      - .offset:         4
        .size:           2
        .value_kind:     by_value
      - .address_space:  global
        .offset:         8
        .size:           8
        .value_kind:     global_buffer
    .group_segment_fixed_size: 0
    .kernarg_segment_align: 8
    .kernarg_segment_size: 16
    .language:       OpenCL C
    .language_version:
      - 2
      - 0
    .max_flat_workgroup_size: 256
    .name:           _ZN2at6native29vectorized_elementwise_kernelILi4ENS0_11FillFunctorIsEESt5arrayIPcLm1EEEEviT0_T1_
    .private_segment_fixed_size: 0
    .sgpr_count:     18
    .sgpr_spill_count: 0
    .symbol:         _ZN2at6native29vectorized_elementwise_kernelILi4ENS0_11FillFunctorIsEESt5arrayIPcLm1EEEEviT0_T1_.kd
    .uniform_work_group_size: 1
    .uses_dynamic_stack: false
    .vgpr_count:     8
    .vgpr_spill_count: 0
    .wavefront_size: 32
    .workgroup_processor_mode: 1
  - .args:
      - .offset:         0
        .size:           4
        .value_kind:     by_value
      - .offset:         4
        .size:           2
        .value_kind:     by_value
      - .address_space:  global
        .offset:         8
        .size:           8
        .value_kind:     global_buffer
    .group_segment_fixed_size: 0
    .kernarg_segment_align: 8
    .kernarg_segment_size: 16
    .language:       OpenCL C
    .language_version:
      - 2
      - 0
    .max_flat_workgroup_size: 256
    .name:           _ZN2at6native29vectorized_elementwise_kernelILi2ENS0_11FillFunctorIsEESt5arrayIPcLm1EEEEviT0_T1_
    .private_segment_fixed_size: 0
    .sgpr_count:     18
    .sgpr_spill_count: 0
    .symbol:         _ZN2at6native29vectorized_elementwise_kernelILi2ENS0_11FillFunctorIsEESt5arrayIPcLm1EEEEviT0_T1_.kd
    .uniform_work_group_size: 1
    .uses_dynamic_stack: false
    .vgpr_count:     8
    .vgpr_spill_count: 0
    .wavefront_size: 32
    .workgroup_processor_mode: 1
  - .args:
      - .offset:         0
        .size:           4
        .value_kind:     by_value
      - .offset:         4
        .size:           2
        .value_kind:     by_value
      - .address_space:  global
        .offset:         8
        .size:           8
        .value_kind:     global_buffer
      - .offset:         16
        .size:           1
        .value_kind:     by_value
      - .offset:         17
        .size:           1
        .value_kind:     by_value
      - .offset:         18
        .size:           1
        .value_kind:     by_value
      - .offset:         19
        .size:           1
        .value_kind:     by_value
    .group_segment_fixed_size: 0
    .kernarg_segment_align: 8
    .kernarg_segment_size: 20
    .language:       OpenCL C
    .language_version:
      - 2
      - 0
    .max_flat_workgroup_size: 256
    .name:           _ZN2at6native27unrolled_elementwise_kernelINS0_11FillFunctorIsEESt5arrayIPcLm1EELi4E23TrivialOffsetCalculatorILi0EjES7_ILi1EjENS0_6memory15LoadWithoutCastENSA_16StoreWithoutCastEEEviT_T0_T2_T3_T4_T5_
    .private_segment_fixed_size: 0
    .sgpr_count:     18
    .sgpr_spill_count: 0
    .symbol:         _ZN2at6native27unrolled_elementwise_kernelINS0_11FillFunctorIsEESt5arrayIPcLm1EELi4E23TrivialOffsetCalculatorILi0EjES7_ILi1EjENS0_6memory15LoadWithoutCastENSA_16StoreWithoutCastEEEviT_T0_T2_T3_T4_T5_.kd
    .uniform_work_group_size: 1
    .uses_dynamic_stack: false
    .vgpr_count:     6
    .vgpr_spill_count: 0
    .wavefront_size: 32
    .workgroup_processor_mode: 1
  - .args:
      - .offset:         0
        .size:           4
        .value_kind:     by_value
      - .offset:         8
        .size:           280
        .value_kind:     by_value
    .group_segment_fixed_size: 0
    .kernarg_segment_align: 8
    .kernarg_segment_size: 288
    .language:       OpenCL C
    .language_version:
      - 2
      - 0
    .max_flat_workgroup_size: 128
    .name:           _ZN2at6native32elementwise_kernel_manual_unrollILi128ELi8EZNS0_22gpu_kernel_impl_nocastINS0_11FillFunctorIsEEEEvRNS_18TensorIteratorBaseERKT_EUlibE_EEviT1_
    .private_segment_fixed_size: 0
    .sgpr_count:     54
    .sgpr_spill_count: 0
    .symbol:         _ZN2at6native32elementwise_kernel_manual_unrollILi128ELi8EZNS0_22gpu_kernel_impl_nocastINS0_11FillFunctorIsEEEEvRNS_18TensorIteratorBaseERKT_EUlibE_EEviT1_.kd
    .uniform_work_group_size: 1
    .uses_dynamic_stack: false
    .vgpr_count:     18
    .vgpr_spill_count: 0
    .wavefront_size: 32
    .workgroup_processor_mode: 1
  - .args:
      - .offset:         0
        .size:           4
        .value_kind:     by_value
      - .offset:         8
        .size:           16
        .value_kind:     by_value
    .group_segment_fixed_size: 0
    .kernarg_segment_align: 8
    .kernarg_segment_size: 24
    .language:       OpenCL C
    .language_version:
      - 2
      - 0
    .max_flat_workgroup_size: 128
    .name:           _ZN2at6native32elementwise_kernel_manual_unrollILi128ELi4EZNS0_15gpu_kernel_implINS0_11FillFunctorIsEEEEvRNS_18TensorIteratorBaseERKT_EUlibE_EEviT1_
    .private_segment_fixed_size: 0
    .sgpr_count:     41
    .sgpr_spill_count: 0
    .symbol:         _ZN2at6native32elementwise_kernel_manual_unrollILi128ELi4EZNS0_15gpu_kernel_implINS0_11FillFunctorIsEEEEvRNS_18TensorIteratorBaseERKT_EUlibE_EEviT1_.kd
    .uniform_work_group_size: 1
    .uses_dynamic_stack: false
    .vgpr_count:     18
    .vgpr_spill_count: 0
    .wavefront_size: 32
    .workgroup_processor_mode: 1
  - .args:
      - .offset:         0
        .size:           4
        .value_kind:     by_value
      - .offset:         8
        .size:           280
        .value_kind:     by_value
    .group_segment_fixed_size: 0
    .kernarg_segment_align: 8
    .kernarg_segment_size: 288
    .language:       OpenCL C
    .language_version:
      - 2
      - 0
    .max_flat_workgroup_size: 128
    .name:           _ZN2at6native32elementwise_kernel_manual_unrollILi128ELi4EZNS0_15gpu_kernel_implINS0_11FillFunctorIsEEEEvRNS_18TensorIteratorBaseERKT_EUlibE0_EEviT1_
    .private_segment_fixed_size: 0
    .sgpr_count:     82
    .sgpr_spill_count: 0
    .symbol:         _ZN2at6native32elementwise_kernel_manual_unrollILi128ELi4EZNS0_15gpu_kernel_implINS0_11FillFunctorIsEEEEvRNS_18TensorIteratorBaseERKT_EUlibE0_EEviT1_.kd
    .uniform_work_group_size: 1
    .uses_dynamic_stack: false
    .vgpr_count:     21
    .vgpr_spill_count: 0
    .wavefront_size: 32
    .workgroup_processor_mode: 1
  - .args:
      - .offset:         0
        .size:           4
        .value_kind:     by_value
      - .offset:         8
        .size:           8
        .value_kind:     by_value
      - .address_space:  global
        .offset:         16
        .size:           8
        .value_kind:     global_buffer
    .group_segment_fixed_size: 0
    .kernarg_segment_align: 8
    .kernarg_segment_size: 24
    .language:       OpenCL C
    .language_version:
      - 2
      - 0
    .max_flat_workgroup_size: 256
    .name:           _ZN2at6native29vectorized_elementwise_kernelILi16ENS0_11FillFunctorIdEESt5arrayIPcLm1EEEEviT0_T1_
    .private_segment_fixed_size: 0
    .sgpr_count:     18
    .sgpr_spill_count: 0
    .symbol:         _ZN2at6native29vectorized_elementwise_kernelILi16ENS0_11FillFunctorIdEESt5arrayIPcLm1EEEEviT0_T1_.kd
    .uniform_work_group_size: 1
    .uses_dynamic_stack: false
    .vgpr_count:     6
    .vgpr_spill_count: 0
    .wavefront_size: 32
    .workgroup_processor_mode: 1
  - .args:
      - .offset:         0
        .size:           4
        .value_kind:     by_value
      - .offset:         8
        .size:           8
        .value_kind:     by_value
      - .address_space:  global
        .offset:         16
        .size:           8
        .value_kind:     global_buffer
    .group_segment_fixed_size: 0
    .kernarg_segment_align: 8
    .kernarg_segment_size: 24
    .language:       OpenCL C
    .language_version:
      - 2
      - 0
    .max_flat_workgroup_size: 256
    .name:           _ZN2at6native29vectorized_elementwise_kernelILi8ENS0_11FillFunctorIdEESt5arrayIPcLm1EEEEviT0_T1_
    .private_segment_fixed_size: 0
    .sgpr_count:     18
    .sgpr_spill_count: 0
    .symbol:         _ZN2at6native29vectorized_elementwise_kernelILi8ENS0_11FillFunctorIdEESt5arrayIPcLm1EEEEviT0_T1_.kd
    .uniform_work_group_size: 1
    .uses_dynamic_stack: false
    .vgpr_count:     6
    .vgpr_spill_count: 0
    .wavefront_size: 32
    .workgroup_processor_mode: 1
  - .args:
      - .offset:         0
        .size:           4
        .value_kind:     by_value
      - .offset:         8
        .size:           8
        .value_kind:     by_value
      - .address_space:  global
        .offset:         16
        .size:           8
        .value_kind:     global_buffer
    .group_segment_fixed_size: 0
    .kernarg_segment_align: 8
    .kernarg_segment_size: 24
    .language:       OpenCL C
    .language_version:
      - 2
      - 0
    .max_flat_workgroup_size: 256
    .name:           _ZN2at6native29vectorized_elementwise_kernelILi4ENS0_11FillFunctorIdEESt5arrayIPcLm1EEEEviT0_T1_
    .private_segment_fixed_size: 0
    .sgpr_count:     18
    .sgpr_spill_count: 0
    .symbol:         _ZN2at6native29vectorized_elementwise_kernelILi4ENS0_11FillFunctorIdEESt5arrayIPcLm1EEEEviT0_T1_.kd
    .uniform_work_group_size: 1
    .uses_dynamic_stack: false
    .vgpr_count:     6
    .vgpr_spill_count: 0
    .wavefront_size: 32
    .workgroup_processor_mode: 1
  - .args:
      - .offset:         0
        .size:           4
        .value_kind:     by_value
      - .offset:         8
        .size:           8
        .value_kind:     by_value
      - .address_space:  global
        .offset:         16
        .size:           8
        .value_kind:     global_buffer
    .group_segment_fixed_size: 0
    .kernarg_segment_align: 8
    .kernarg_segment_size: 24
    .language:       OpenCL C
    .language_version:
      - 2
      - 0
    .max_flat_workgroup_size: 256
    .name:           _ZN2at6native29vectorized_elementwise_kernelILi2ENS0_11FillFunctorIdEESt5arrayIPcLm1EEEEviT0_T1_
    .private_segment_fixed_size: 0
    .sgpr_count:     18
    .sgpr_spill_count: 0
    .symbol:         _ZN2at6native29vectorized_elementwise_kernelILi2ENS0_11FillFunctorIdEESt5arrayIPcLm1EEEEviT0_T1_.kd
    .uniform_work_group_size: 1
    .uses_dynamic_stack: false
    .vgpr_count:     8
    .vgpr_spill_count: 0
    .wavefront_size: 32
    .workgroup_processor_mode: 1
  - .args:
      - .offset:         0
        .size:           4
        .value_kind:     by_value
      - .offset:         8
        .size:           8
        .value_kind:     by_value
      - .address_space:  global
        .offset:         16
        .size:           8
        .value_kind:     global_buffer
      - .offset:         24
        .size:           1
        .value_kind:     by_value
      - .offset:         25
        .size:           1
        .value_kind:     by_value
      - .offset:         26
        .size:           1
        .value_kind:     by_value
      - .offset:         27
        .size:           1
        .value_kind:     by_value
    .group_segment_fixed_size: 0
    .kernarg_segment_align: 8
    .kernarg_segment_size: 28
    .language:       OpenCL C
    .language_version:
      - 2
      - 0
    .max_flat_workgroup_size: 256
    .name:           _ZN2at6native27unrolled_elementwise_kernelINS0_11FillFunctorIdEESt5arrayIPcLm1EELi4E23TrivialOffsetCalculatorILi0EjES7_ILi1EjENS0_6memory15LoadWithoutCastENSA_16StoreWithoutCastEEEviT_T0_T2_T3_T4_T5_
    .private_segment_fixed_size: 0
    .sgpr_count:     18
    .sgpr_spill_count: 0
    .symbol:         _ZN2at6native27unrolled_elementwise_kernelINS0_11FillFunctorIdEESt5arrayIPcLm1EELi4E23TrivialOffsetCalculatorILi0EjES7_ILi1EjENS0_6memory15LoadWithoutCastENSA_16StoreWithoutCastEEEviT_T0_T2_T3_T4_T5_.kd
    .uniform_work_group_size: 1
    .uses_dynamic_stack: false
    .vgpr_count:     6
    .vgpr_spill_count: 0
    .wavefront_size: 32
    .workgroup_processor_mode: 1
  - .args:
      - .offset:         0
        .size:           4
        .value_kind:     by_value
      - .offset:         8
        .size:           280
        .value_kind:     by_value
    .group_segment_fixed_size: 0
    .kernarg_segment_align: 8
    .kernarg_segment_size: 288
    .language:       OpenCL C
    .language_version:
      - 2
      - 0
    .max_flat_workgroup_size: 128
    .name:           _ZN2at6native32elementwise_kernel_manual_unrollILi128ELi4EZNS0_22gpu_kernel_impl_nocastINS0_11FillFunctorIdEEEEvRNS_18TensorIteratorBaseERKT_EUlibE_EEviT1_
    .private_segment_fixed_size: 0
    .sgpr_count:     54
    .sgpr_spill_count: 0
    .symbol:         _ZN2at6native32elementwise_kernel_manual_unrollILi128ELi4EZNS0_22gpu_kernel_impl_nocastINS0_11FillFunctorIdEEEEvRNS_18TensorIteratorBaseERKT_EUlibE_EEviT1_.kd
    .uniform_work_group_size: 1
    .uses_dynamic_stack: false
    .vgpr_count:     14
    .vgpr_spill_count: 0
    .wavefront_size: 32
    .workgroup_processor_mode: 1
  - .args:
      - .offset:         0
        .size:           4
        .value_kind:     by_value
      - .offset:         8
        .size:           32
        .value_kind:     by_value
    .group_segment_fixed_size: 0
    .kernarg_segment_align: 8
    .kernarg_segment_size: 40
    .language:       OpenCL C
    .language_version:
      - 2
      - 0
    .max_flat_workgroup_size: 128
    .name:           _ZN2at6native32elementwise_kernel_manual_unrollILi128ELi4EZNS0_15gpu_kernel_implINS0_11FillFunctorIdEEEEvRNS_18TensorIteratorBaseERKT_EUlibE_EEviT1_
    .private_segment_fixed_size: 0
    .sgpr_count:     40
    .sgpr_spill_count: 0
    .symbol:         _ZN2at6native32elementwise_kernel_manual_unrollILi128ELi4EZNS0_15gpu_kernel_implINS0_11FillFunctorIdEEEEvRNS_18TensorIteratorBaseERKT_EUlibE_EEviT1_.kd
    .uniform_work_group_size: 1
    .uses_dynamic_stack: false
    .vgpr_count:     24
    .vgpr_spill_count: 0
    .wavefront_size: 32
    .workgroup_processor_mode: 1
  - .args:
      - .offset:         0
        .size:           4
        .value_kind:     by_value
      - .offset:         8
        .size:           288
        .value_kind:     by_value
    .group_segment_fixed_size: 0
    .kernarg_segment_align: 8
    .kernarg_segment_size: 296
    .language:       OpenCL C
    .language_version:
      - 2
      - 0
    .max_flat_workgroup_size: 128
    .name:           _ZN2at6native32elementwise_kernel_manual_unrollILi128ELi4EZNS0_15gpu_kernel_implINS0_11FillFunctorIdEEEEvRNS_18TensorIteratorBaseERKT_EUlibE0_EEviT1_
    .private_segment_fixed_size: 0
    .sgpr_count:     78
    .sgpr_spill_count: 0
    .symbol:         _ZN2at6native32elementwise_kernel_manual_unrollILi128ELi4EZNS0_15gpu_kernel_implINS0_11FillFunctorIdEEEEvRNS_18TensorIteratorBaseERKT_EUlibE0_EEviT1_.kd
    .uniform_work_group_size: 1
    .uses_dynamic_stack: false
    .vgpr_count:     25
    .vgpr_spill_count: 0
    .wavefront_size: 32
    .workgroup_processor_mode: 1
  - .args:
      - .offset:         0
        .size:           4
        .value_kind:     by_value
      - .offset:         4
        .size:           4
        .value_kind:     by_value
      - .address_space:  global
        .offset:         8
        .size:           8
        .value_kind:     global_buffer
    .group_segment_fixed_size: 0
    .kernarg_segment_align: 8
    .kernarg_segment_size: 16
    .language:       OpenCL C
    .language_version:
      - 2
      - 0
    .max_flat_workgroup_size: 256
    .name:           _ZN2at6native29vectorized_elementwise_kernelILi16ENS0_11FillFunctorIfEESt5arrayIPcLm1EEEEviT0_T1_
    .private_segment_fixed_size: 0
    .sgpr_count:     18
    .sgpr_spill_count: 0
    .symbol:         _ZN2at6native29vectorized_elementwise_kernelILi16ENS0_11FillFunctorIfEESt5arrayIPcLm1EEEEviT0_T1_.kd
    .uniform_work_group_size: 1
    .uses_dynamic_stack: false
    .vgpr_count:     6
    .vgpr_spill_count: 0
    .wavefront_size: 32
    .workgroup_processor_mode: 1
  - .args:
      - .offset:         0
        .size:           4
        .value_kind:     by_value
      - .offset:         4
        .size:           4
        .value_kind:     by_value
      - .address_space:  global
        .offset:         8
        .size:           8
        .value_kind:     global_buffer
    .group_segment_fixed_size: 0
    .kernarg_segment_align: 8
    .kernarg_segment_size: 16
    .language:       OpenCL C
    .language_version:
      - 2
      - 0
    .max_flat_workgroup_size: 256
    .name:           _ZN2at6native29vectorized_elementwise_kernelILi8ENS0_11FillFunctorIfEESt5arrayIPcLm1EEEEviT0_T1_
    .private_segment_fixed_size: 0
    .sgpr_count:     18
    .sgpr_spill_count: 0
    .symbol:         _ZN2at6native29vectorized_elementwise_kernelILi8ENS0_11FillFunctorIfEESt5arrayIPcLm1EEEEviT0_T1_.kd
    .uniform_work_group_size: 1
    .uses_dynamic_stack: false
    .vgpr_count:     6
    .vgpr_spill_count: 0
    .wavefront_size: 32
    .workgroup_processor_mode: 1
  - .args:
      - .offset:         0
        .size:           4
        .value_kind:     by_value
      - .offset:         4
        .size:           4
        .value_kind:     by_value
      - .address_space:  global
        .offset:         8
        .size:           8
        .value_kind:     global_buffer
    .group_segment_fixed_size: 0
    .kernarg_segment_align: 8
    .kernarg_segment_size: 16
    .language:       OpenCL C
    .language_version:
      - 2
      - 0
    .max_flat_workgroup_size: 256
    .name:           _ZN2at6native29vectorized_elementwise_kernelILi4ENS0_11FillFunctorIfEESt5arrayIPcLm1EEEEviT0_T1_
    .private_segment_fixed_size: 0
    .sgpr_count:     18
    .sgpr_spill_count: 0
    .symbol:         _ZN2at6native29vectorized_elementwise_kernelILi4ENS0_11FillFunctorIfEESt5arrayIPcLm1EEEEviT0_T1_.kd
    .uniform_work_group_size: 1
    .uses_dynamic_stack: false
    .vgpr_count:     6
    .vgpr_spill_count: 0
    .wavefront_size: 32
    .workgroup_processor_mode: 1
  - .args:
      - .offset:         0
        .size:           4
        .value_kind:     by_value
      - .offset:         4
        .size:           4
        .value_kind:     by_value
      - .address_space:  global
        .offset:         8
        .size:           8
        .value_kind:     global_buffer
    .group_segment_fixed_size: 0
    .kernarg_segment_align: 8
    .kernarg_segment_size: 16
    .language:       OpenCL C
    .language_version:
      - 2
      - 0
    .max_flat_workgroup_size: 256
    .name:           _ZN2at6native29vectorized_elementwise_kernelILi2ENS0_11FillFunctorIfEESt5arrayIPcLm1EEEEviT0_T1_
    .private_segment_fixed_size: 0
    .sgpr_count:     18
    .sgpr_spill_count: 0
    .symbol:         _ZN2at6native29vectorized_elementwise_kernelILi2ENS0_11FillFunctorIfEESt5arrayIPcLm1EEEEviT0_T1_.kd
    .uniform_work_group_size: 1
    .uses_dynamic_stack: false
    .vgpr_count:     4
    .vgpr_spill_count: 0
    .wavefront_size: 32
    .workgroup_processor_mode: 1
  - .args:
      - .offset:         0
        .size:           4
        .value_kind:     by_value
      - .offset:         4
        .size:           4
        .value_kind:     by_value
      - .address_space:  global
        .offset:         8
        .size:           8
        .value_kind:     global_buffer
      - .offset:         16
        .size:           1
        .value_kind:     by_value
      - .offset:         17
        .size:           1
        .value_kind:     by_value
      - .offset:         18
        .size:           1
        .value_kind:     by_value
      - .offset:         19
        .size:           1
        .value_kind:     by_value
    .group_segment_fixed_size: 0
    .kernarg_segment_align: 8
    .kernarg_segment_size: 20
    .language:       OpenCL C
    .language_version:
      - 2
      - 0
    .max_flat_workgroup_size: 256
    .name:           _ZN2at6native27unrolled_elementwise_kernelINS0_11FillFunctorIfEESt5arrayIPcLm1EELi4E23TrivialOffsetCalculatorILi0EjES7_ILi1EjENS0_6memory15LoadWithoutCastENSA_16StoreWithoutCastEEEviT_T0_T2_T3_T4_T5_
    .private_segment_fixed_size: 0
    .sgpr_count:     18
    .sgpr_spill_count: 0
    .symbol:         _ZN2at6native27unrolled_elementwise_kernelINS0_11FillFunctorIfEESt5arrayIPcLm1EELi4E23TrivialOffsetCalculatorILi0EjES7_ILi1EjENS0_6memory15LoadWithoutCastENSA_16StoreWithoutCastEEEviT_T0_T2_T3_T4_T5_.kd
    .uniform_work_group_size: 1
    .uses_dynamic_stack: false
    .vgpr_count:     4
    .vgpr_spill_count: 0
    .wavefront_size: 32
    .workgroup_processor_mode: 1
  - .args:
      - .offset:         0
        .size:           4
        .value_kind:     by_value
      - .offset:         8
        .size:           280
        .value_kind:     by_value
    .group_segment_fixed_size: 0
    .kernarg_segment_align: 8
    .kernarg_segment_size: 288
    .language:       OpenCL C
    .language_version:
      - 2
      - 0
    .max_flat_workgroup_size: 128
    .name:           _ZN2at6native32elementwise_kernel_manual_unrollILi128ELi4EZNS0_22gpu_kernel_impl_nocastINS0_11FillFunctorIfEEEEvRNS_18TensorIteratorBaseERKT_EUlibE_EEviT1_
    .private_segment_fixed_size: 0
    .sgpr_count:     54
    .sgpr_spill_count: 0
    .symbol:         _ZN2at6native32elementwise_kernel_manual_unrollILi128ELi4EZNS0_22gpu_kernel_impl_nocastINS0_11FillFunctorIfEEEEvRNS_18TensorIteratorBaseERKT_EUlibE_EEviT1_.kd
    .uniform_work_group_size: 1
    .uses_dynamic_stack: false
    .vgpr_count:     14
    .vgpr_spill_count: 0
    .wavefront_size: 32
    .workgroup_processor_mode: 1
  - .args:
      - .offset:         0
        .size:           4
        .value_kind:     by_value
      - .offset:         8
        .size:           24
        .value_kind:     by_value
    .group_segment_fixed_size: 0
    .kernarg_segment_align: 8
    .kernarg_segment_size: 32
    .language:       OpenCL C
    .language_version:
      - 2
      - 0
    .max_flat_workgroup_size: 128
    .name:           _ZN2at6native32elementwise_kernel_manual_unrollILi128ELi4EZNS0_15gpu_kernel_implINS0_11FillFunctorIfEEEEvRNS_18TensorIteratorBaseERKT_EUlibE_EEviT1_
    .private_segment_fixed_size: 0
    .sgpr_count:     43
    .sgpr_spill_count: 0
    .symbol:         _ZN2at6native32elementwise_kernel_manual_unrollILi128ELi4EZNS0_15gpu_kernel_implINS0_11FillFunctorIfEEEEvRNS_18TensorIteratorBaseERKT_EUlibE_EEviT1_.kd
    .uniform_work_group_size: 1
    .uses_dynamic_stack: false
    .vgpr_count:     18
    .vgpr_spill_count: 0
    .wavefront_size: 32
    .workgroup_processor_mode: 1
  - .args:
      - .offset:         0
        .size:           4
        .value_kind:     by_value
      - .offset:         8
        .size:           280
        .value_kind:     by_value
    .group_segment_fixed_size: 0
    .kernarg_segment_align: 8
    .kernarg_segment_size: 288
    .language:       OpenCL C
    .language_version:
      - 2
      - 0
    .max_flat_workgroup_size: 128
    .name:           _ZN2at6native32elementwise_kernel_manual_unrollILi128ELi4EZNS0_15gpu_kernel_implINS0_11FillFunctorIfEEEEvRNS_18TensorIteratorBaseERKT_EUlibE0_EEviT1_
    .private_segment_fixed_size: 0
    .sgpr_count:     82
    .sgpr_spill_count: 0
    .symbol:         _ZN2at6native32elementwise_kernel_manual_unrollILi128ELi4EZNS0_15gpu_kernel_implINS0_11FillFunctorIfEEEEvRNS_18TensorIteratorBaseERKT_EUlibE0_EEviT1_.kd
    .uniform_work_group_size: 1
    .uses_dynamic_stack: false
    .vgpr_count:     22
    .vgpr_spill_count: 0
    .wavefront_size: 32
    .workgroup_processor_mode: 1
  - .args:
      - .offset:         0
        .size:           4
        .value_kind:     by_value
      - .offset:         16
        .size:           16
        .value_kind:     by_value
      - .address_space:  global
        .offset:         32
        .size:           8
        .value_kind:     global_buffer
    .group_segment_fixed_size: 0
    .kernarg_segment_align: 16
    .kernarg_segment_size: 40
    .language:       OpenCL C
    .language_version:
      - 2
      - 0
    .max_flat_workgroup_size: 256
    .name:           _ZN2at6native29vectorized_elementwise_kernelILi16ENS0_11FillFunctorIN3c107complexIdEEEESt5arrayIPcLm1EEEEviT0_T1_
    .private_segment_fixed_size: 0
    .sgpr_count:     18
    .sgpr_spill_count: 0
    .symbol:         _ZN2at6native29vectorized_elementwise_kernelILi16ENS0_11FillFunctorIN3c107complexIdEEEESt5arrayIPcLm1EEEEviT0_T1_.kd
    .uniform_work_group_size: 1
    .uses_dynamic_stack: false
    .vgpr_count:     10
    .vgpr_spill_count: 0
    .wavefront_size: 32
    .workgroup_processor_mode: 1
  - .args:
      - .offset:         0
        .size:           4
        .value_kind:     by_value
      - .offset:         16
        .size:           16
        .value_kind:     by_value
      - .address_space:  global
        .offset:         32
        .size:           8
        .value_kind:     global_buffer
    .group_segment_fixed_size: 0
    .kernarg_segment_align: 16
    .kernarg_segment_size: 40
    .language:       OpenCL C
    .language_version:
      - 2
      - 0
    .max_flat_workgroup_size: 256
    .name:           _ZN2at6native29vectorized_elementwise_kernelILi8ENS0_11FillFunctorIN3c107complexIdEEEESt5arrayIPcLm1EEEEviT0_T1_
    .private_segment_fixed_size: 0
    .sgpr_count:     18
    .sgpr_spill_count: 0
    .symbol:         _ZN2at6native29vectorized_elementwise_kernelILi8ENS0_11FillFunctorIN3c107complexIdEEEESt5arrayIPcLm1EEEEviT0_T1_.kd
    .uniform_work_group_size: 1
    .uses_dynamic_stack: false
    .vgpr_count:     10
    .vgpr_spill_count: 0
    .wavefront_size: 32
    .workgroup_processor_mode: 1
  - .args:
      - .offset:         0
        .size:           4
        .value_kind:     by_value
      - .offset:         16
        .size:           16
        .value_kind:     by_value
      - .address_space:  global
        .offset:         32
        .size:           8
        .value_kind:     global_buffer
    .group_segment_fixed_size: 0
    .kernarg_segment_align: 16
    .kernarg_segment_size: 40
    .language:       OpenCL C
    .language_version:
      - 2
      - 0
    .max_flat_workgroup_size: 256
    .name:           _ZN2at6native29vectorized_elementwise_kernelILi4ENS0_11FillFunctorIN3c107complexIdEEEESt5arrayIPcLm1EEEEviT0_T1_
    .private_segment_fixed_size: 0
    .sgpr_count:     18
    .sgpr_spill_count: 0
    .symbol:         _ZN2at6native29vectorized_elementwise_kernelILi4ENS0_11FillFunctorIN3c107complexIdEEEESt5arrayIPcLm1EEEEviT0_T1_.kd
    .uniform_work_group_size: 1
    .uses_dynamic_stack: false
    .vgpr_count:     10
    .vgpr_spill_count: 0
    .wavefront_size: 32
    .workgroup_processor_mode: 1
  - .args:
      - .offset:         0
        .size:           4
        .value_kind:     by_value
      - .offset:         16
        .size:           16
        .value_kind:     by_value
      - .address_space:  global
        .offset:         32
        .size:           8
        .value_kind:     global_buffer
    .group_segment_fixed_size: 0
    .kernarg_segment_align: 16
    .kernarg_segment_size: 40
    .language:       OpenCL C
    .language_version:
      - 2
      - 0
    .max_flat_workgroup_size: 256
    .name:           _ZN2at6native29vectorized_elementwise_kernelILi2ENS0_11FillFunctorIN3c107complexIdEEEESt5arrayIPcLm1EEEEviT0_T1_
    .private_segment_fixed_size: 0
    .sgpr_count:     18
    .sgpr_spill_count: 0
    .symbol:         _ZN2at6native29vectorized_elementwise_kernelILi2ENS0_11FillFunctorIN3c107complexIdEEEESt5arrayIPcLm1EEEEviT0_T1_.kd
    .uniform_work_group_size: 1
    .uses_dynamic_stack: false
    .vgpr_count:     10
    .vgpr_spill_count: 0
    .wavefront_size: 32
    .workgroup_processor_mode: 1
  - .args:
      - .offset:         0
        .size:           4
        .value_kind:     by_value
      - .offset:         16
        .size:           16
        .value_kind:     by_value
      - .address_space:  global
        .offset:         32
        .size:           8
        .value_kind:     global_buffer
      - .offset:         40
        .size:           1
        .value_kind:     by_value
      - .offset:         41
        .size:           1
        .value_kind:     by_value
      - .offset:         42
        .size:           1
        .value_kind:     by_value
      - .offset:         43
        .size:           1
        .value_kind:     by_value
    .group_segment_fixed_size: 0
    .kernarg_segment_align: 16
    .kernarg_segment_size: 44
    .language:       OpenCL C
    .language_version:
      - 2
      - 0
    .max_flat_workgroup_size: 256
    .name:           _ZN2at6native27unrolled_elementwise_kernelINS0_11FillFunctorIN3c107complexIdEEEESt5arrayIPcLm1EELi4E23TrivialOffsetCalculatorILi0EjESA_ILi1EjENS0_6memory15LoadWithoutCastENSD_16StoreWithoutCastEEEviT_T0_T2_T3_T4_T5_
    .private_segment_fixed_size: 0
    .sgpr_count:     18
    .sgpr_spill_count: 0
    .symbol:         _ZN2at6native27unrolled_elementwise_kernelINS0_11FillFunctorIN3c107complexIdEEEESt5arrayIPcLm1EELi4E23TrivialOffsetCalculatorILi0EjESA_ILi1EjENS0_6memory15LoadWithoutCastENSD_16StoreWithoutCastEEEviT_T0_T2_T3_T4_T5_.kd
    .uniform_work_group_size: 1
    .uses_dynamic_stack: false
    .vgpr_count:     10
    .vgpr_spill_count: 0
    .wavefront_size: 32
    .workgroup_processor_mode: 1
  - .args:
      - .offset:         0
        .size:           4
        .value_kind:     by_value
      - .offset:         16
        .size:           288
        .value_kind:     by_value
    .group_segment_fixed_size: 0
    .kernarg_segment_align: 16
    .kernarg_segment_size: 304
    .language:       OpenCL C
    .language_version:
      - 2
      - 0
    .max_flat_workgroup_size: 128
    .name:           _ZN2at6native32elementwise_kernel_manual_unrollILi128ELi4EZNS0_22gpu_kernel_impl_nocastINS0_11FillFunctorIN3c107complexIdEEEEEEvRNS_18TensorIteratorBaseERKT_EUlibE_EEviT1_
    .private_segment_fixed_size: 0
    .sgpr_count:     54
    .sgpr_spill_count: 0
    .symbol:         _ZN2at6native32elementwise_kernel_manual_unrollILi128ELi4EZNS0_22gpu_kernel_impl_nocastINS0_11FillFunctorIN3c107complexIdEEEEEEvRNS_18TensorIteratorBaseERKT_EUlibE_EEviT1_.kd
    .uniform_work_group_size: 1
    .uses_dynamic_stack: false
    .vgpr_count:     14
    .vgpr_spill_count: 0
    .wavefront_size: 32
    .workgroup_processor_mode: 1
  - .args:
      - .offset:         0
        .size:           4
        .value_kind:     by_value
      - .offset:         16
        .size:           48
        .value_kind:     by_value
    .group_segment_fixed_size: 0
    .kernarg_segment_align: 16
    .kernarg_segment_size: 64
    .language:       OpenCL C
    .language_version:
      - 2
      - 0
    .max_flat_workgroup_size: 128
    .name:           _ZN2at6native32elementwise_kernel_manual_unrollILi128ELi4EZNS0_15gpu_kernel_implINS0_11FillFunctorIN3c107complexIdEEEEEEvRNS_18TensorIteratorBaseERKT_EUlibE_EEviT1_
    .private_segment_fixed_size: 0
    .sgpr_count:     42
    .sgpr_spill_count: 0
    .symbol:         _ZN2at6native32elementwise_kernel_manual_unrollILi128ELi4EZNS0_15gpu_kernel_implINS0_11FillFunctorIN3c107complexIdEEEEEEvRNS_18TensorIteratorBaseERKT_EUlibE_EEviT1_.kd
    .uniform_work_group_size: 1
    .uses_dynamic_stack: false
    .vgpr_count:     25
    .vgpr_spill_count: 0
    .wavefront_size: 32
    .workgroup_processor_mode: 1
  - .args:
      - .offset:         0
        .size:           4
        .value_kind:     by_value
      - .offset:         16
        .size:           304
        .value_kind:     by_value
    .group_segment_fixed_size: 0
    .kernarg_segment_align: 16
    .kernarg_segment_size: 320
    .language:       OpenCL C
    .language_version:
      - 2
      - 0
    .max_flat_workgroup_size: 128
    .name:           _ZN2at6native32elementwise_kernel_manual_unrollILi128ELi4EZNS0_15gpu_kernel_implINS0_11FillFunctorIN3c107complexIdEEEEEEvRNS_18TensorIteratorBaseERKT_EUlibE0_EEviT1_
    .private_segment_fixed_size: 0
    .sgpr_count:     78
    .sgpr_spill_count: 0
    .symbol:         _ZN2at6native32elementwise_kernel_manual_unrollILi128ELi4EZNS0_15gpu_kernel_implINS0_11FillFunctorIN3c107complexIdEEEEEEvRNS_18TensorIteratorBaseERKT_EUlibE0_EEviT1_.kd
    .uniform_work_group_size: 1
    .uses_dynamic_stack: false
    .vgpr_count:     27
    .vgpr_spill_count: 0
    .wavefront_size: 32
    .workgroup_processor_mode: 1
  - .args:
      - .offset:         0
        .size:           4
        .value_kind:     by_value
      - .offset:         8
        .size:           8
        .value_kind:     by_value
      - .address_space:  global
        .offset:         16
        .size:           8
        .value_kind:     global_buffer
    .group_segment_fixed_size: 0
    .kernarg_segment_align: 8
    .kernarg_segment_size: 24
    .language:       OpenCL C
    .language_version:
      - 2
      - 0
    .max_flat_workgroup_size: 256
    .name:           _ZN2at6native29vectorized_elementwise_kernelILi16ENS0_11FillFunctorIN3c107complexIfEEEESt5arrayIPcLm1EEEEviT0_T1_
    .private_segment_fixed_size: 0
    .sgpr_count:     18
    .sgpr_spill_count: 0
    .symbol:         _ZN2at6native29vectorized_elementwise_kernelILi16ENS0_11FillFunctorIN3c107complexIfEEEESt5arrayIPcLm1EEEEviT0_T1_.kd
    .uniform_work_group_size: 1
    .uses_dynamic_stack: false
    .vgpr_count:     7
    .vgpr_spill_count: 0
    .wavefront_size: 32
    .workgroup_processor_mode: 1
  - .args:
      - .offset:         0
        .size:           4
        .value_kind:     by_value
      - .offset:         8
        .size:           8
        .value_kind:     by_value
      - .address_space:  global
        .offset:         16
        .size:           8
        .value_kind:     global_buffer
    .group_segment_fixed_size: 0
    .kernarg_segment_align: 8
    .kernarg_segment_size: 24
    .language:       OpenCL C
    .language_version:
      - 2
      - 0
    .max_flat_workgroup_size: 256
    .name:           _ZN2at6native29vectorized_elementwise_kernelILi8ENS0_11FillFunctorIN3c107complexIfEEEESt5arrayIPcLm1EEEEviT0_T1_
    .private_segment_fixed_size: 0
    .sgpr_count:     18
    .sgpr_spill_count: 0
    .symbol:         _ZN2at6native29vectorized_elementwise_kernelILi8ENS0_11FillFunctorIN3c107complexIfEEEESt5arrayIPcLm1EEEEviT0_T1_.kd
    .uniform_work_group_size: 1
    .uses_dynamic_stack: false
    .vgpr_count:     7
    .vgpr_spill_count: 0
    .wavefront_size: 32
    .workgroup_processor_mode: 1
  - .args:
      - .offset:         0
        .size:           4
        .value_kind:     by_value
      - .offset:         8
        .size:           8
        .value_kind:     by_value
      - .address_space:  global
        .offset:         16
        .size:           8
        .value_kind:     global_buffer
    .group_segment_fixed_size: 0
    .kernarg_segment_align: 8
    .kernarg_segment_size: 24
    .language:       OpenCL C
    .language_version:
      - 2
      - 0
    .max_flat_workgroup_size: 256
    .name:           _ZN2at6native29vectorized_elementwise_kernelILi4ENS0_11FillFunctorIN3c107complexIfEEEESt5arrayIPcLm1EEEEviT0_T1_
    .private_segment_fixed_size: 0
    .sgpr_count:     18
    .sgpr_spill_count: 0
    .symbol:         _ZN2at6native29vectorized_elementwise_kernelILi4ENS0_11FillFunctorIN3c107complexIfEEEESt5arrayIPcLm1EEEEviT0_T1_.kd
    .uniform_work_group_size: 1
    .uses_dynamic_stack: false
    .vgpr_count:     7
    .vgpr_spill_count: 0
    .wavefront_size: 32
    .workgroup_processor_mode: 1
  - .args:
      - .offset:         0
        .size:           4
        .value_kind:     by_value
      - .offset:         8
        .size:           8
        .value_kind:     by_value
      - .address_space:  global
        .offset:         16
        .size:           8
        .value_kind:     global_buffer
    .group_segment_fixed_size: 0
    .kernarg_segment_align: 8
    .kernarg_segment_size: 24
    .language:       OpenCL C
    .language_version:
      - 2
      - 0
    .max_flat_workgroup_size: 256
    .name:           _ZN2at6native29vectorized_elementwise_kernelILi2ENS0_11FillFunctorIN3c107complexIfEEEESt5arrayIPcLm1EEEEviT0_T1_
    .private_segment_fixed_size: 0
    .sgpr_count:     18
    .sgpr_spill_count: 0
    .symbol:         _ZN2at6native29vectorized_elementwise_kernelILi2ENS0_11FillFunctorIN3c107complexIfEEEESt5arrayIPcLm1EEEEviT0_T1_.kd
    .uniform_work_group_size: 1
    .uses_dynamic_stack: false
    .vgpr_count:     8
    .vgpr_spill_count: 0
    .wavefront_size: 32
    .workgroup_processor_mode: 1
  - .args:
      - .offset:         0
        .size:           4
        .value_kind:     by_value
      - .offset:         8
        .size:           8
        .value_kind:     by_value
      - .address_space:  global
        .offset:         16
        .size:           8
        .value_kind:     global_buffer
      - .offset:         24
        .size:           1
        .value_kind:     by_value
      - .offset:         25
        .size:           1
        .value_kind:     by_value
      - .offset:         26
        .size:           1
        .value_kind:     by_value
      - .offset:         27
        .size:           1
        .value_kind:     by_value
    .group_segment_fixed_size: 0
    .kernarg_segment_align: 8
    .kernarg_segment_size: 28
    .language:       OpenCL C
    .language_version:
      - 2
      - 0
    .max_flat_workgroup_size: 256
    .name:           _ZN2at6native27unrolled_elementwise_kernelINS0_11FillFunctorIN3c107complexIfEEEESt5arrayIPcLm1EELi4E23TrivialOffsetCalculatorILi0EjESA_ILi1EjENS0_6memory15LoadWithoutCastENSD_16StoreWithoutCastEEEviT_T0_T2_T3_T4_T5_
    .private_segment_fixed_size: 0
    .sgpr_count:     18
    .sgpr_spill_count: 0
    .symbol:         _ZN2at6native27unrolled_elementwise_kernelINS0_11FillFunctorIN3c107complexIfEEEESt5arrayIPcLm1EELi4E23TrivialOffsetCalculatorILi0EjESA_ILi1EjENS0_6memory15LoadWithoutCastENSD_16StoreWithoutCastEEEviT_T0_T2_T3_T4_T5_.kd
    .uniform_work_group_size: 1
    .uses_dynamic_stack: false
    .vgpr_count:     7
    .vgpr_spill_count: 0
    .wavefront_size: 32
    .workgroup_processor_mode: 1
  - .args:
      - .offset:         0
        .size:           4
        .value_kind:     by_value
      - .offset:         8
        .size:           280
        .value_kind:     by_value
    .group_segment_fixed_size: 0
    .kernarg_segment_align: 8
    .kernarg_segment_size: 288
    .language:       OpenCL C
    .language_version:
      - 2
      - 0
    .max_flat_workgroup_size: 128
    .name:           _ZN2at6native32elementwise_kernel_manual_unrollILi128ELi4EZNS0_22gpu_kernel_impl_nocastINS0_11FillFunctorIN3c107complexIfEEEEEEvRNS_18TensorIteratorBaseERKT_EUlibE_EEviT1_
    .private_segment_fixed_size: 0
    .sgpr_count:     54
    .sgpr_spill_count: 0
    .symbol:         _ZN2at6native32elementwise_kernel_manual_unrollILi128ELi4EZNS0_22gpu_kernel_impl_nocastINS0_11FillFunctorIN3c107complexIfEEEEEEvRNS_18TensorIteratorBaseERKT_EUlibE_EEviT1_.kd
    .uniform_work_group_size: 1
    .uses_dynamic_stack: false
    .vgpr_count:     14
    .vgpr_spill_count: 0
    .wavefront_size: 32
    .workgroup_processor_mode: 1
  - .args:
      - .offset:         0
        .size:           4
        .value_kind:     by_value
      - .offset:         8
        .size:           32
        .value_kind:     by_value
    .group_segment_fixed_size: 0
    .kernarg_segment_align: 8
    .kernarg_segment_size: 40
    .language:       OpenCL C
    .language_version:
      - 2
      - 0
    .max_flat_workgroup_size: 128
    .name:           _ZN2at6native32elementwise_kernel_manual_unrollILi128ELi4EZNS0_15gpu_kernel_implINS0_11FillFunctorIN3c107complexIfEEEEEEvRNS_18TensorIteratorBaseERKT_EUlibE_EEviT1_
    .private_segment_fixed_size: 0
    .sgpr_count:     45
    .sgpr_spill_count: 0
    .symbol:         _ZN2at6native32elementwise_kernel_manual_unrollILi128ELi4EZNS0_15gpu_kernel_implINS0_11FillFunctorIN3c107complexIfEEEEEEvRNS_18TensorIteratorBaseERKT_EUlibE_EEviT1_.kd
    .uniform_work_group_size: 1
    .uses_dynamic_stack: false
    .vgpr_count:     20
    .vgpr_spill_count: 0
    .wavefront_size: 32
    .workgroup_processor_mode: 1
  - .args:
      - .offset:         0
        .size:           4
        .value_kind:     by_value
      - .offset:         8
        .size:           288
        .value_kind:     by_value
    .group_segment_fixed_size: 0
    .kernarg_segment_align: 8
    .kernarg_segment_size: 296
    .language:       OpenCL C
    .language_version:
      - 2
      - 0
    .max_flat_workgroup_size: 128
    .name:           _ZN2at6native32elementwise_kernel_manual_unrollILi128ELi4EZNS0_15gpu_kernel_implINS0_11FillFunctorIN3c107complexIfEEEEEEvRNS_18TensorIteratorBaseERKT_EUlibE0_EEviT1_
    .private_segment_fixed_size: 0
    .sgpr_count:     82
    .sgpr_spill_count: 0
    .symbol:         _ZN2at6native32elementwise_kernel_manual_unrollILi128ELi4EZNS0_15gpu_kernel_implINS0_11FillFunctorIN3c107complexIfEEEEEEvRNS_18TensorIteratorBaseERKT_EUlibE0_EEviT1_.kd
    .uniform_work_group_size: 1
    .uses_dynamic_stack: false
    .vgpr_count:     24
    .vgpr_spill_count: 0
    .wavefront_size: 32
    .workgroup_processor_mode: 1
  - .args:
      - .offset:         0
        .size:           4
        .value_kind:     by_value
      - .offset:         4
        .size:           4
        .value_kind:     by_value
      - .address_space:  global
        .offset:         8
        .size:           8
        .value_kind:     global_buffer
    .group_segment_fixed_size: 0
    .kernarg_segment_align: 8
    .kernarg_segment_size: 16
    .language:       OpenCL C
    .language_version:
      - 2
      - 0
    .max_flat_workgroup_size: 256
    .name:           _ZN2at6native29vectorized_elementwise_kernelILi16ENS0_11FillFunctorIN3c107complexINS3_4HalfEEEEESt5arrayIPcLm1EEEEviT0_T1_
    .private_segment_fixed_size: 0
    .sgpr_count:     18
    .sgpr_spill_count: 0
    .symbol:         _ZN2at6native29vectorized_elementwise_kernelILi16ENS0_11FillFunctorIN3c107complexINS3_4HalfEEEEESt5arrayIPcLm1EEEEviT0_T1_.kd
    .uniform_work_group_size: 1
    .uses_dynamic_stack: false
    .vgpr_count:     7
    .vgpr_spill_count: 0
    .wavefront_size: 32
    .workgroup_processor_mode: 1
  - .args:
      - .offset:         0
        .size:           4
        .value_kind:     by_value
      - .offset:         4
        .size:           4
        .value_kind:     by_value
      - .address_space:  global
        .offset:         8
        .size:           8
        .value_kind:     global_buffer
    .group_segment_fixed_size: 0
    .kernarg_segment_align: 8
    .kernarg_segment_size: 16
    .language:       OpenCL C
    .language_version:
      - 2
      - 0
    .max_flat_workgroup_size: 256
    .name:           _ZN2at6native29vectorized_elementwise_kernelILi8ENS0_11FillFunctorIN3c107complexINS3_4HalfEEEEESt5arrayIPcLm1EEEEviT0_T1_
    .private_segment_fixed_size: 0
    .sgpr_count:     18
    .sgpr_spill_count: 0
    .symbol:         _ZN2at6native29vectorized_elementwise_kernelILi8ENS0_11FillFunctorIN3c107complexINS3_4HalfEEEEESt5arrayIPcLm1EEEEviT0_T1_.kd
    .uniform_work_group_size: 1
    .uses_dynamic_stack: false
    .vgpr_count:     7
    .vgpr_spill_count: 0
    .wavefront_size: 32
    .workgroup_processor_mode: 1
  - .args:
      - .offset:         0
        .size:           4
        .value_kind:     by_value
      - .offset:         4
        .size:           4
        .value_kind:     by_value
      - .address_space:  global
        .offset:         8
        .size:           8
        .value_kind:     global_buffer
    .group_segment_fixed_size: 0
    .kernarg_segment_align: 8
    .kernarg_segment_size: 16
    .language:       OpenCL C
    .language_version:
      - 2
      - 0
    .max_flat_workgroup_size: 256
    .name:           _ZN2at6native29vectorized_elementwise_kernelILi4ENS0_11FillFunctorIN3c107complexINS3_4HalfEEEEESt5arrayIPcLm1EEEEviT0_T1_
    .private_segment_fixed_size: 0
    .sgpr_count:     18
    .sgpr_spill_count: 0
    .symbol:         _ZN2at6native29vectorized_elementwise_kernelILi4ENS0_11FillFunctorIN3c107complexINS3_4HalfEEEEESt5arrayIPcLm1EEEEviT0_T1_.kd
    .uniform_work_group_size: 1
    .uses_dynamic_stack: false
    .vgpr_count:     7
    .vgpr_spill_count: 0
    .wavefront_size: 32
    .workgroup_processor_mode: 1
  - .args:
      - .offset:         0
        .size:           4
        .value_kind:     by_value
      - .offset:         4
        .size:           4
        .value_kind:     by_value
      - .address_space:  global
        .offset:         8
        .size:           8
        .value_kind:     global_buffer
    .group_segment_fixed_size: 0
    .kernarg_segment_align: 8
    .kernarg_segment_size: 16
    .language:       OpenCL C
    .language_version:
      - 2
      - 0
    .max_flat_workgroup_size: 256
    .name:           _ZN2at6native29vectorized_elementwise_kernelILi2ENS0_11FillFunctorIN3c107complexINS3_4HalfEEEEESt5arrayIPcLm1EEEEviT0_T1_
    .private_segment_fixed_size: 0
    .sgpr_count:     18
    .sgpr_spill_count: 0
    .symbol:         _ZN2at6native29vectorized_elementwise_kernelILi2ENS0_11FillFunctorIN3c107complexINS3_4HalfEEEEESt5arrayIPcLm1EEEEviT0_T1_.kd
    .uniform_work_group_size: 1
    .uses_dynamic_stack: false
    .vgpr_count:     4
    .vgpr_spill_count: 0
    .wavefront_size: 32
    .workgroup_processor_mode: 1
  - .args:
      - .offset:         0
        .size:           4
        .value_kind:     by_value
      - .offset:         4
        .size:           4
        .value_kind:     by_value
      - .address_space:  global
        .offset:         8
        .size:           8
        .value_kind:     global_buffer
      - .offset:         16
        .size:           1
        .value_kind:     by_value
      - .offset:         17
        .size:           1
        .value_kind:     by_value
      - .offset:         18
        .size:           1
        .value_kind:     by_value
      - .offset:         19
        .size:           1
        .value_kind:     by_value
    .group_segment_fixed_size: 0
    .kernarg_segment_align: 8
    .kernarg_segment_size: 20
    .language:       OpenCL C
    .language_version:
      - 2
      - 0
    .max_flat_workgroup_size: 256
    .name:           _ZN2at6native27unrolled_elementwise_kernelINS0_11FillFunctorIN3c107complexINS3_4HalfEEEEESt5arrayIPcLm1EELi4E23TrivialOffsetCalculatorILi0EjESB_ILi1EjENS0_6memory15LoadWithoutCastENSE_16StoreWithoutCastEEEviT_T0_T2_T3_T4_T5_
    .private_segment_fixed_size: 0
    .sgpr_count:     18
    .sgpr_spill_count: 0
    .symbol:         _ZN2at6native27unrolled_elementwise_kernelINS0_11FillFunctorIN3c107complexINS3_4HalfEEEEESt5arrayIPcLm1EELi4E23TrivialOffsetCalculatorILi0EjESB_ILi1EjENS0_6memory15LoadWithoutCastENSE_16StoreWithoutCastEEEviT_T0_T2_T3_T4_T5_.kd
    .uniform_work_group_size: 1
    .uses_dynamic_stack: false
    .vgpr_count:     4
    .vgpr_spill_count: 0
    .wavefront_size: 32
    .workgroup_processor_mode: 1
  - .args:
      - .offset:         0
        .size:           4
        .value_kind:     by_value
      - .offset:         8
        .size:           280
        .value_kind:     by_value
    .group_segment_fixed_size: 0
    .kernarg_segment_align: 8
    .kernarg_segment_size: 288
    .language:       OpenCL C
    .language_version:
      - 2
      - 0
    .max_flat_workgroup_size: 128
    .name:           _ZN2at6native32elementwise_kernel_manual_unrollILi128ELi4EZNS0_22gpu_kernel_impl_nocastINS0_11FillFunctorIN3c107complexINS4_4HalfEEEEEEEvRNS_18TensorIteratorBaseERKT_EUlibE_EEviT1_
    .private_segment_fixed_size: 0
    .sgpr_count:     54
    .sgpr_spill_count: 0
    .symbol:         _ZN2at6native32elementwise_kernel_manual_unrollILi128ELi4EZNS0_22gpu_kernel_impl_nocastINS0_11FillFunctorIN3c107complexINS4_4HalfEEEEEEEvRNS_18TensorIteratorBaseERKT_EUlibE_EEviT1_.kd
    .uniform_work_group_size: 1
    .uses_dynamic_stack: false
    .vgpr_count:     14
    .vgpr_spill_count: 0
    .wavefront_size: 32
    .workgroup_processor_mode: 1
  - .args:
      - .offset:         0
        .size:           4
        .value_kind:     by_value
      - .offset:         8
        .size:           24
        .value_kind:     by_value
    .group_segment_fixed_size: 0
    .kernarg_segment_align: 8
    .kernarg_segment_size: 32
    .language:       OpenCL C
    .language_version:
      - 2
      - 0
    .max_flat_workgroup_size: 128
    .name:           _ZN2at6native32elementwise_kernel_manual_unrollILi128ELi4EZNS0_15gpu_kernel_implINS0_11FillFunctorIN3c107complexINS4_4HalfEEEEEEEvRNS_18TensorIteratorBaseERKT_EUlibE_EEviT1_
    .private_segment_fixed_size: 0
    .sgpr_count:     39
    .sgpr_spill_count: 0
    .symbol:         _ZN2at6native32elementwise_kernel_manual_unrollILi128ELi4EZNS0_15gpu_kernel_implINS0_11FillFunctorIN3c107complexINS4_4HalfEEEEEEEvRNS_18TensorIteratorBaseERKT_EUlibE_EEviT1_.kd
    .uniform_work_group_size: 1
    .uses_dynamic_stack: false
    .vgpr_count:     24
    .vgpr_spill_count: 0
    .wavefront_size: 32
    .workgroup_processor_mode: 1
  - .args:
      - .offset:         0
        .size:           4
        .value_kind:     by_value
      - .offset:         8
        .size:           280
        .value_kind:     by_value
    .group_segment_fixed_size: 0
    .kernarg_segment_align: 8
    .kernarg_segment_size: 288
    .language:       OpenCL C
    .language_version:
      - 2
      - 0
    .max_flat_workgroup_size: 128
    .name:           _ZN2at6native32elementwise_kernel_manual_unrollILi128ELi4EZNS0_15gpu_kernel_implINS0_11FillFunctorIN3c107complexINS4_4HalfEEEEEEEvRNS_18TensorIteratorBaseERKT_EUlibE0_EEviT1_
    .private_segment_fixed_size: 0
    .sgpr_count:     78
    .sgpr_spill_count: 0
    .symbol:         _ZN2at6native32elementwise_kernel_manual_unrollILi128ELi4EZNS0_15gpu_kernel_implINS0_11FillFunctorIN3c107complexINS4_4HalfEEEEEEEvRNS_18TensorIteratorBaseERKT_EUlibE0_EEviT1_.kd
    .uniform_work_group_size: 1
    .uses_dynamic_stack: false
    .vgpr_count:     29
    .vgpr_spill_count: 0
    .wavefront_size: 32
    .workgroup_processor_mode: 1
  - .args:
      - .offset:         0
        .size:           4
        .value_kind:     by_value
      - .offset:         4
        .size:           4
        .value_kind:     by_value
      - .address_space:  global
        .offset:         8
        .size:           8
        .value_kind:     global_buffer
    .group_segment_fixed_size: 0
    .kernarg_segment_align: 8
    .kernarg_segment_size: 16
    .language:       OpenCL C
    .language_version:
      - 2
      - 0
    .max_flat_workgroup_size: 256
    .name:           _ZN2at6native29vectorized_elementwise_kernelILi16ENS0_11FillFunctorIN3c107complexINS3_8BFloat16EEEEESt5arrayIPcLm1EEEEviT0_T1_
    .private_segment_fixed_size: 0
    .sgpr_count:     18
    .sgpr_spill_count: 0
    .symbol:         _ZN2at6native29vectorized_elementwise_kernelILi16ENS0_11FillFunctorIN3c107complexINS3_8BFloat16EEEEESt5arrayIPcLm1EEEEviT0_T1_.kd
    .uniform_work_group_size: 1
    .uses_dynamic_stack: false
    .vgpr_count:     7
    .vgpr_spill_count: 0
    .wavefront_size: 32
    .workgroup_processor_mode: 1
  - .args:
      - .offset:         0
        .size:           4
        .value_kind:     by_value
      - .offset:         4
        .size:           4
        .value_kind:     by_value
      - .address_space:  global
        .offset:         8
        .size:           8
        .value_kind:     global_buffer
    .group_segment_fixed_size: 0
    .kernarg_segment_align: 8
    .kernarg_segment_size: 16
    .language:       OpenCL C
    .language_version:
      - 2
      - 0
    .max_flat_workgroup_size: 256
    .name:           _ZN2at6native29vectorized_elementwise_kernelILi8ENS0_11FillFunctorIN3c107complexINS3_8BFloat16EEEEESt5arrayIPcLm1EEEEviT0_T1_
    .private_segment_fixed_size: 0
    .sgpr_count:     18
    .sgpr_spill_count: 0
    .symbol:         _ZN2at6native29vectorized_elementwise_kernelILi8ENS0_11FillFunctorIN3c107complexINS3_8BFloat16EEEEESt5arrayIPcLm1EEEEviT0_T1_.kd
    .uniform_work_group_size: 1
    .uses_dynamic_stack: false
    .vgpr_count:     7
    .vgpr_spill_count: 0
    .wavefront_size: 32
    .workgroup_processor_mode: 1
  - .args:
      - .offset:         0
        .size:           4
        .value_kind:     by_value
      - .offset:         4
        .size:           4
        .value_kind:     by_value
      - .address_space:  global
        .offset:         8
        .size:           8
        .value_kind:     global_buffer
    .group_segment_fixed_size: 0
    .kernarg_segment_align: 8
    .kernarg_segment_size: 16
    .language:       OpenCL C
    .language_version:
      - 2
      - 0
    .max_flat_workgroup_size: 256
    .name:           _ZN2at6native29vectorized_elementwise_kernelILi4ENS0_11FillFunctorIN3c107complexINS3_8BFloat16EEEEESt5arrayIPcLm1EEEEviT0_T1_
    .private_segment_fixed_size: 0
    .sgpr_count:     18
    .sgpr_spill_count: 0
    .symbol:         _ZN2at6native29vectorized_elementwise_kernelILi4ENS0_11FillFunctorIN3c107complexINS3_8BFloat16EEEEESt5arrayIPcLm1EEEEviT0_T1_.kd
    .uniform_work_group_size: 1
    .uses_dynamic_stack: false
    .vgpr_count:     7
    .vgpr_spill_count: 0
    .wavefront_size: 32
    .workgroup_processor_mode: 1
  - .args:
      - .offset:         0
        .size:           4
        .value_kind:     by_value
      - .offset:         4
        .size:           4
        .value_kind:     by_value
      - .address_space:  global
        .offset:         8
        .size:           8
        .value_kind:     global_buffer
    .group_segment_fixed_size: 0
    .kernarg_segment_align: 8
    .kernarg_segment_size: 16
    .language:       OpenCL C
    .language_version:
      - 2
      - 0
    .max_flat_workgroup_size: 256
    .name:           _ZN2at6native29vectorized_elementwise_kernelILi2ENS0_11FillFunctorIN3c107complexINS3_8BFloat16EEEEESt5arrayIPcLm1EEEEviT0_T1_
    .private_segment_fixed_size: 0
    .sgpr_count:     18
    .sgpr_spill_count: 0
    .symbol:         _ZN2at6native29vectorized_elementwise_kernelILi2ENS0_11FillFunctorIN3c107complexINS3_8BFloat16EEEEESt5arrayIPcLm1EEEEviT0_T1_.kd
    .uniform_work_group_size: 1
    .uses_dynamic_stack: false
    .vgpr_count:     4
    .vgpr_spill_count: 0
    .wavefront_size: 32
    .workgroup_processor_mode: 1
  - .args:
      - .offset:         0
        .size:           4
        .value_kind:     by_value
      - .offset:         4
        .size:           4
        .value_kind:     by_value
      - .address_space:  global
        .offset:         8
        .size:           8
        .value_kind:     global_buffer
      - .offset:         16
        .size:           1
        .value_kind:     by_value
      - .offset:         17
        .size:           1
        .value_kind:     by_value
      - .offset:         18
        .size:           1
        .value_kind:     by_value
      - .offset:         19
        .size:           1
        .value_kind:     by_value
    .group_segment_fixed_size: 0
    .kernarg_segment_align: 8
    .kernarg_segment_size: 20
    .language:       OpenCL C
    .language_version:
      - 2
      - 0
    .max_flat_workgroup_size: 256
    .name:           _ZN2at6native27unrolled_elementwise_kernelINS0_11FillFunctorIN3c107complexINS3_8BFloat16EEEEESt5arrayIPcLm1EELi4E23TrivialOffsetCalculatorILi0EjESB_ILi1EjENS0_6memory15LoadWithoutCastENSE_16StoreWithoutCastEEEviT_T0_T2_T3_T4_T5_
    .private_segment_fixed_size: 0
    .sgpr_count:     18
    .sgpr_spill_count: 0
    .symbol:         _ZN2at6native27unrolled_elementwise_kernelINS0_11FillFunctorIN3c107complexINS3_8BFloat16EEEEESt5arrayIPcLm1EELi4E23TrivialOffsetCalculatorILi0EjESB_ILi1EjENS0_6memory15LoadWithoutCastENSE_16StoreWithoutCastEEEviT_T0_T2_T3_T4_T5_.kd
    .uniform_work_group_size: 1
    .uses_dynamic_stack: false
    .vgpr_count:     4
    .vgpr_spill_count: 0
    .wavefront_size: 32
    .workgroup_processor_mode: 1
  - .args:
      - .offset:         0
        .size:           4
        .value_kind:     by_value
      - .offset:         8
        .size:           280
        .value_kind:     by_value
    .group_segment_fixed_size: 0
    .kernarg_segment_align: 8
    .kernarg_segment_size: 288
    .language:       OpenCL C
    .language_version:
      - 2
      - 0
    .max_flat_workgroup_size: 128
    .name:           _ZN2at6native32elementwise_kernel_manual_unrollILi128ELi4EZNS0_22gpu_kernel_impl_nocastINS0_11FillFunctorIN3c107complexINS4_8BFloat16EEEEEEEvRNS_18TensorIteratorBaseERKT_EUlibE_EEviT1_
    .private_segment_fixed_size: 0
    .sgpr_count:     54
    .sgpr_spill_count: 0
    .symbol:         _ZN2at6native32elementwise_kernel_manual_unrollILi128ELi4EZNS0_22gpu_kernel_impl_nocastINS0_11FillFunctorIN3c107complexINS4_8BFloat16EEEEEEEvRNS_18TensorIteratorBaseERKT_EUlibE_EEviT1_.kd
    .uniform_work_group_size: 1
    .uses_dynamic_stack: false
    .vgpr_count:     14
    .vgpr_spill_count: 0
    .wavefront_size: 32
    .workgroup_processor_mode: 1
  - .args:
      - .offset:         0
        .size:           4
        .value_kind:     by_value
      - .offset:         8
        .size:           24
        .value_kind:     by_value
    .group_segment_fixed_size: 0
    .kernarg_segment_align: 8
    .kernarg_segment_size: 32
    .language:       OpenCL C
    .language_version:
      - 2
      - 0
    .max_flat_workgroup_size: 128
    .name:           _ZN2at6native32elementwise_kernel_manual_unrollILi128ELi4EZNS0_15gpu_kernel_implINS0_11FillFunctorIN3c107complexINS4_8BFloat16EEEEEEEvRNS_18TensorIteratorBaseERKT_EUlibE_EEviT1_
    .private_segment_fixed_size: 0
    .sgpr_count:     44
    .sgpr_spill_count: 0
    .symbol:         _ZN2at6native32elementwise_kernel_manual_unrollILi128ELi4EZNS0_15gpu_kernel_implINS0_11FillFunctorIN3c107complexINS4_8BFloat16EEEEEEEvRNS_18TensorIteratorBaseERKT_EUlibE_EEviT1_.kd
    .uniform_work_group_size: 1
    .uses_dynamic_stack: false
    .vgpr_count:     20
    .vgpr_spill_count: 0
    .wavefront_size: 32
    .workgroup_processor_mode: 1
  - .args:
      - .offset:         0
        .size:           4
        .value_kind:     by_value
      - .offset:         8
        .size:           280
        .value_kind:     by_value
    .group_segment_fixed_size: 0
    .kernarg_segment_align: 8
    .kernarg_segment_size: 288
    .language:       OpenCL C
    .language_version:
      - 2
      - 0
    .max_flat_workgroup_size: 128
    .name:           _ZN2at6native32elementwise_kernel_manual_unrollILi128ELi4EZNS0_15gpu_kernel_implINS0_11FillFunctorIN3c107complexINS4_8BFloat16EEEEEEEvRNS_18TensorIteratorBaseERKT_EUlibE0_EEviT1_
    .private_segment_fixed_size: 0
    .sgpr_count:     82
    .sgpr_spill_count: 0
    .symbol:         _ZN2at6native32elementwise_kernel_manual_unrollILi128ELi4EZNS0_15gpu_kernel_implINS0_11FillFunctorIN3c107complexINS4_8BFloat16EEEEEEEvRNS_18TensorIteratorBaseERKT_EUlibE0_EEviT1_.kd
    .uniform_work_group_size: 1
    .uses_dynamic_stack: false
    .vgpr_count:     24
    .vgpr_spill_count: 0
    .wavefront_size: 32
    .workgroup_processor_mode: 1
  - .args:
      - .offset:         0
        .size:           4
        .value_kind:     by_value
      - .offset:         4
        .size:           1
        .value_kind:     by_value
      - .address_space:  global
        .offset:         8
        .size:           8
        .value_kind:     global_buffer
    .group_segment_fixed_size: 0
    .kernarg_segment_align: 8
    .kernarg_segment_size: 16
    .language:       OpenCL C
    .language_version:
      - 2
      - 0
    .max_flat_workgroup_size: 256
    .name:           _ZN2at6native29vectorized_elementwise_kernelILi16ENS0_11FillFunctorIbEESt5arrayIPcLm1EEEEviT0_T1_
    .private_segment_fixed_size: 0
    .sgpr_count:     18
    .sgpr_spill_count: 0
    .symbol:         _ZN2at6native29vectorized_elementwise_kernelILi16ENS0_11FillFunctorIbEESt5arrayIPcLm1EEEEviT0_T1_.kd
    .uniform_work_group_size: 1
    .uses_dynamic_stack: false
    .vgpr_count:     16
    .vgpr_spill_count: 0
    .wavefront_size: 32
    .workgroup_processor_mode: 1
  - .args:
      - .offset:         0
        .size:           4
        .value_kind:     by_value
      - .offset:         4
        .size:           1
        .value_kind:     by_value
      - .address_space:  global
        .offset:         8
        .size:           8
        .value_kind:     global_buffer
    .group_segment_fixed_size: 0
    .kernarg_segment_align: 8
    .kernarg_segment_size: 16
    .language:       OpenCL C
    .language_version:
      - 2
      - 0
    .max_flat_workgroup_size: 256
    .name:           _ZN2at6native29vectorized_elementwise_kernelILi8ENS0_11FillFunctorIbEESt5arrayIPcLm1EEEEviT0_T1_
    .private_segment_fixed_size: 0
    .sgpr_count:     18
    .sgpr_spill_count: 0
    .symbol:         _ZN2at6native29vectorized_elementwise_kernelILi8ENS0_11FillFunctorIbEESt5arrayIPcLm1EEEEviT0_T1_.kd
    .uniform_work_group_size: 1
    .uses_dynamic_stack: false
    .vgpr_count:     15
    .vgpr_spill_count: 0
    .wavefront_size: 32
    .workgroup_processor_mode: 1
  - .args:
      - .offset:         0
        .size:           4
        .value_kind:     by_value
      - .offset:         4
        .size:           1
        .value_kind:     by_value
      - .address_space:  global
        .offset:         8
        .size:           8
        .value_kind:     global_buffer
    .group_segment_fixed_size: 0
    .kernarg_segment_align: 8
    .kernarg_segment_size: 16
    .language:       OpenCL C
    .language_version:
      - 2
      - 0
    .max_flat_workgroup_size: 256
    .name:           _ZN2at6native29vectorized_elementwise_kernelILi4ENS0_11FillFunctorIbEESt5arrayIPcLm1EEEEviT0_T1_
    .private_segment_fixed_size: 0
    .sgpr_count:     18
    .sgpr_spill_count: 0
    .symbol:         _ZN2at6native29vectorized_elementwise_kernelILi4ENS0_11FillFunctorIbEESt5arrayIPcLm1EEEEviT0_T1_.kd
    .uniform_work_group_size: 1
    .uses_dynamic_stack: false
    .vgpr_count:     15
    .vgpr_spill_count: 0
    .wavefront_size: 32
    .workgroup_processor_mode: 1
  - .args:
      - .offset:         0
        .size:           4
        .value_kind:     by_value
      - .offset:         4
        .size:           1
        .value_kind:     by_value
      - .address_space:  global
        .offset:         8
        .size:           8
        .value_kind:     global_buffer
    .group_segment_fixed_size: 0
    .kernarg_segment_align: 8
    .kernarg_segment_size: 16
    .language:       OpenCL C
    .language_version:
      - 2
      - 0
    .max_flat_workgroup_size: 256
    .name:           _ZN2at6native29vectorized_elementwise_kernelILi2ENS0_11FillFunctorIbEESt5arrayIPcLm1EEEEviT0_T1_
    .private_segment_fixed_size: 0
    .sgpr_count:     18
    .sgpr_spill_count: 0
    .symbol:         _ZN2at6native29vectorized_elementwise_kernelILi2ENS0_11FillFunctorIbEESt5arrayIPcLm1EEEEviT0_T1_.kd
    .uniform_work_group_size: 1
    .uses_dynamic_stack: false
    .vgpr_count:     15
    .vgpr_spill_count: 0
    .wavefront_size: 32
    .workgroup_processor_mode: 1
  - .args:
      - .offset:         0
        .size:           4
        .value_kind:     by_value
      - .offset:         4
        .size:           1
        .value_kind:     by_value
      - .address_space:  global
        .offset:         8
        .size:           8
        .value_kind:     global_buffer
      - .offset:         16
        .size:           1
        .value_kind:     by_value
      - .offset:         17
        .size:           1
        .value_kind:     by_value
      - .offset:         18
        .size:           1
        .value_kind:     by_value
      - .offset:         19
        .size:           1
        .value_kind:     by_value
    .group_segment_fixed_size: 0
    .kernarg_segment_align: 8
    .kernarg_segment_size: 20
    .language:       OpenCL C
    .language_version:
      - 2
      - 0
    .max_flat_workgroup_size: 256
    .name:           _ZN2at6native27unrolled_elementwise_kernelINS0_11FillFunctorIbEESt5arrayIPcLm1EELi4E23TrivialOffsetCalculatorILi0EjES7_ILi1EjENS0_6memory15LoadWithoutCastENSA_16StoreWithoutCastEEEviT_T0_T2_T3_T4_T5_
    .private_segment_fixed_size: 0
    .sgpr_count:     18
    .sgpr_spill_count: 0
    .symbol:         _ZN2at6native27unrolled_elementwise_kernelINS0_11FillFunctorIbEESt5arrayIPcLm1EELi4E23TrivialOffsetCalculatorILi0EjES7_ILi1EjENS0_6memory15LoadWithoutCastENSA_16StoreWithoutCastEEEviT_T0_T2_T3_T4_T5_.kd
    .uniform_work_group_size: 1
    .uses_dynamic_stack: false
    .vgpr_count:     6
    .vgpr_spill_count: 0
    .wavefront_size: 32
    .workgroup_processor_mode: 1
  - .args:
      - .offset:         0
        .size:           4
        .value_kind:     by_value
      - .offset:         8
        .size:           280
        .value_kind:     by_value
    .group_segment_fixed_size: 0
    .kernarg_segment_align: 8
    .kernarg_segment_size: 288
    .language:       OpenCL C
    .language_version:
      - 2
      - 0
    .max_flat_workgroup_size: 128
    .name:           _ZN2at6native32elementwise_kernel_manual_unrollILi128ELi8EZNS0_22gpu_kernel_impl_nocastINS0_11FillFunctorIbEEEEvRNS_18TensorIteratorBaseERKT_EUlibE_EEviT1_
    .private_segment_fixed_size: 0
    .sgpr_count:     54
    .sgpr_spill_count: 0
    .symbol:         _ZN2at6native32elementwise_kernel_manual_unrollILi128ELi8EZNS0_22gpu_kernel_impl_nocastINS0_11FillFunctorIbEEEEvRNS_18TensorIteratorBaseERKT_EUlibE_EEviT1_.kd
    .uniform_work_group_size: 1
    .uses_dynamic_stack: false
    .vgpr_count:     18
    .vgpr_spill_count: 0
    .wavefront_size: 32
    .workgroup_processor_mode: 1
  - .args:
      - .offset:         0
        .size:           4
        .value_kind:     by_value
      - .offset:         8
        .size:           16
        .value_kind:     by_value
    .group_segment_fixed_size: 0
    .kernarg_segment_align: 8
    .kernarg_segment_size: 24
    .language:       OpenCL C
    .language_version:
      - 2
      - 0
    .max_flat_workgroup_size: 128
    .name:           _ZN2at6native32elementwise_kernel_manual_unrollILi128ELi4EZNS0_15gpu_kernel_implINS0_11FillFunctorIbEEEEvRNS_18TensorIteratorBaseERKT_EUlibE_EEviT1_
    .private_segment_fixed_size: 0
    .sgpr_count:     31
    .sgpr_spill_count: 0
    .symbol:         _ZN2at6native32elementwise_kernel_manual_unrollILi128ELi4EZNS0_15gpu_kernel_implINS0_11FillFunctorIbEEEEvRNS_18TensorIteratorBaseERKT_EUlibE_EEviT1_.kd
    .uniform_work_group_size: 1
    .uses_dynamic_stack: false
    .vgpr_count:     25
    .vgpr_spill_count: 0
    .wavefront_size: 32
    .workgroup_processor_mode: 1
  - .args:
      - .offset:         0
        .size:           4
        .value_kind:     by_value
      - .offset:         8
        .size:           280
        .value_kind:     by_value
    .group_segment_fixed_size: 0
    .kernarg_segment_align: 8
    .kernarg_segment_size: 288
    .language:       OpenCL C
    .language_version:
      - 2
      - 0
    .max_flat_workgroup_size: 128
    .name:           _ZN2at6native32elementwise_kernel_manual_unrollILi128ELi4EZNS0_15gpu_kernel_implINS0_11FillFunctorIbEEEEvRNS_18TensorIteratorBaseERKT_EUlibE0_EEviT1_
    .private_segment_fixed_size: 0
    .sgpr_count:     70
    .sgpr_spill_count: 0
    .symbol:         _ZN2at6native32elementwise_kernel_manual_unrollILi128ELi4EZNS0_15gpu_kernel_implINS0_11FillFunctorIbEEEEvRNS_18TensorIteratorBaseERKT_EUlibE0_EEviT1_.kd
    .uniform_work_group_size: 1
    .uses_dynamic_stack: false
    .vgpr_count:     29
    .vgpr_spill_count: 0
    .wavefront_size: 32
    .workgroup_processor_mode: 1
  - .args:
      - .offset:         0
        .size:           4
        .value_kind:     by_value
      - .offset:         4
        .size:           2
        .value_kind:     by_value
      - .address_space:  global
        .offset:         8
        .size:           8
        .value_kind:     global_buffer
    .group_segment_fixed_size: 0
    .kernarg_segment_align: 8
    .kernarg_segment_size: 16
    .language:       OpenCL C
    .language_version:
      - 2
      - 0
    .max_flat_workgroup_size: 256
    .name:           _ZN2at6native29vectorized_elementwise_kernelILi16ENS0_11FillFunctorIN3c104HalfEEESt5arrayIPcLm1EEEEviT0_T1_
    .private_segment_fixed_size: 0
    .sgpr_count:     18
    .sgpr_spill_count: 0
    .symbol:         _ZN2at6native29vectorized_elementwise_kernelILi16ENS0_11FillFunctorIN3c104HalfEEESt5arrayIPcLm1EEEEviT0_T1_.kd
    .uniform_work_group_size: 1
    .uses_dynamic_stack: false
    .vgpr_count:     8
    .vgpr_spill_count: 0
    .wavefront_size: 32
    .workgroup_processor_mode: 1
  - .args:
      - .offset:         0
        .size:           4
        .value_kind:     by_value
      - .offset:         4
        .size:           2
        .value_kind:     by_value
      - .address_space:  global
        .offset:         8
        .size:           8
        .value_kind:     global_buffer
    .group_segment_fixed_size: 0
    .kernarg_segment_align: 8
    .kernarg_segment_size: 16
    .language:       OpenCL C
    .language_version:
      - 2
      - 0
    .max_flat_workgroup_size: 256
    .name:           _ZN2at6native29vectorized_elementwise_kernelILi8ENS0_11FillFunctorIN3c104HalfEEESt5arrayIPcLm1EEEEviT0_T1_
    .private_segment_fixed_size: 0
    .sgpr_count:     18
    .sgpr_spill_count: 0
    .symbol:         _ZN2at6native29vectorized_elementwise_kernelILi8ENS0_11FillFunctorIN3c104HalfEEESt5arrayIPcLm1EEEEviT0_T1_.kd
    .uniform_work_group_size: 1
    .uses_dynamic_stack: false
    .vgpr_count:     8
    .vgpr_spill_count: 0
    .wavefront_size: 32
    .workgroup_processor_mode: 1
  - .args:
      - .offset:         0
        .size:           4
        .value_kind:     by_value
      - .offset:         4
        .size:           2
        .value_kind:     by_value
      - .address_space:  global
        .offset:         8
        .size:           8
        .value_kind:     global_buffer
    .group_segment_fixed_size: 0
    .kernarg_segment_align: 8
    .kernarg_segment_size: 16
    .language:       OpenCL C
    .language_version:
      - 2
      - 0
    .max_flat_workgroup_size: 256
    .name:           _ZN2at6native29vectorized_elementwise_kernelILi4ENS0_11FillFunctorIN3c104HalfEEESt5arrayIPcLm1EEEEviT0_T1_
    .private_segment_fixed_size: 0
    .sgpr_count:     18
    .sgpr_spill_count: 0
    .symbol:         _ZN2at6native29vectorized_elementwise_kernelILi4ENS0_11FillFunctorIN3c104HalfEEESt5arrayIPcLm1EEEEviT0_T1_.kd
    .uniform_work_group_size: 1
    .uses_dynamic_stack: false
    .vgpr_count:     4
    .vgpr_spill_count: 0
    .wavefront_size: 32
    .workgroup_processor_mode: 1
  - .args:
      - .offset:         0
        .size:           4
        .value_kind:     by_value
      - .offset:         4
        .size:           2
        .value_kind:     by_value
      - .address_space:  global
        .offset:         8
        .size:           8
        .value_kind:     global_buffer
    .group_segment_fixed_size: 0
    .kernarg_segment_align: 8
    .kernarg_segment_size: 16
    .language:       OpenCL C
    .language_version:
      - 2
      - 0
    .max_flat_workgroup_size: 256
    .name:           _ZN2at6native29vectorized_elementwise_kernelILi2ENS0_11FillFunctorIN3c104HalfEEESt5arrayIPcLm1EEEEviT0_T1_
    .private_segment_fixed_size: 0
    .sgpr_count:     18
    .sgpr_spill_count: 0
    .symbol:         _ZN2at6native29vectorized_elementwise_kernelILi2ENS0_11FillFunctorIN3c104HalfEEESt5arrayIPcLm1EEEEviT0_T1_.kd
    .uniform_work_group_size: 1
    .uses_dynamic_stack: false
    .vgpr_count:     4
    .vgpr_spill_count: 0
    .wavefront_size: 32
    .workgroup_processor_mode: 1
  - .args:
      - .offset:         0
        .size:           4
        .value_kind:     by_value
      - .offset:         4
        .size:           2
        .value_kind:     by_value
      - .address_space:  global
        .offset:         8
        .size:           8
        .value_kind:     global_buffer
      - .offset:         16
        .size:           1
        .value_kind:     by_value
      - .offset:         17
        .size:           1
        .value_kind:     by_value
      - .offset:         18
        .size:           1
        .value_kind:     by_value
      - .offset:         19
        .size:           1
        .value_kind:     by_value
    .group_segment_fixed_size: 0
    .kernarg_segment_align: 8
    .kernarg_segment_size: 20
    .language:       OpenCL C
    .language_version:
      - 2
      - 0
    .max_flat_workgroup_size: 256
    .name:           _ZN2at6native27unrolled_elementwise_kernelINS0_11FillFunctorIN3c104HalfEEESt5arrayIPcLm1EELi4E23TrivialOffsetCalculatorILi0EjES9_ILi1EjENS0_6memory15LoadWithoutCastENSC_16StoreWithoutCastEEEviT_T0_T2_T3_T4_T5_
    .private_segment_fixed_size: 0
    .sgpr_count:     18
    .sgpr_spill_count: 0
    .symbol:         _ZN2at6native27unrolled_elementwise_kernelINS0_11FillFunctorIN3c104HalfEEESt5arrayIPcLm1EELi4E23TrivialOffsetCalculatorILi0EjES9_ILi1EjENS0_6memory15LoadWithoutCastENSC_16StoreWithoutCastEEEviT_T0_T2_T3_T4_T5_.kd
    .uniform_work_group_size: 1
    .uses_dynamic_stack: false
    .vgpr_count:     4
    .vgpr_spill_count: 0
    .wavefront_size: 32
    .workgroup_processor_mode: 1
  - .args:
      - .offset:         0
        .size:           4
        .value_kind:     by_value
      - .offset:         8
        .size:           280
        .value_kind:     by_value
    .group_segment_fixed_size: 0
    .kernarg_segment_align: 8
    .kernarg_segment_size: 288
    .language:       OpenCL C
    .language_version:
      - 2
      - 0
    .max_flat_workgroup_size: 128
    .name:           _ZN2at6native32elementwise_kernel_manual_unrollILi128ELi8EZNS0_22gpu_kernel_impl_nocastINS0_11FillFunctorIN3c104HalfEEEEEvRNS_18TensorIteratorBaseERKT_EUlibE_EEviT1_
    .private_segment_fixed_size: 0
    .sgpr_count:     54
    .sgpr_spill_count: 0
    .symbol:         _ZN2at6native32elementwise_kernel_manual_unrollILi128ELi8EZNS0_22gpu_kernel_impl_nocastINS0_11FillFunctorIN3c104HalfEEEEEvRNS_18TensorIteratorBaseERKT_EUlibE_EEviT1_.kd
    .uniform_work_group_size: 1
    .uses_dynamic_stack: false
    .vgpr_count:     18
    .vgpr_spill_count: 0
    .wavefront_size: 32
    .workgroup_processor_mode: 1
  - .args:
      - .offset:         0
        .size:           4
        .value_kind:     by_value
      - .offset:         8
        .size:           16
        .value_kind:     by_value
    .group_segment_fixed_size: 0
    .kernarg_segment_align: 8
    .kernarg_segment_size: 24
    .language:       OpenCL C
    .language_version:
      - 2
      - 0
    .max_flat_workgroup_size: 128
    .name:           _ZN2at6native32elementwise_kernel_manual_unrollILi128ELi4EZNS0_15gpu_kernel_implINS0_11FillFunctorIN3c104HalfEEEEEvRNS_18TensorIteratorBaseERKT_EUlibE_EEviT1_
    .private_segment_fixed_size: 0
    .sgpr_count:     40
    .sgpr_spill_count: 0
    .symbol:         _ZN2at6native32elementwise_kernel_manual_unrollILi128ELi4EZNS0_15gpu_kernel_implINS0_11FillFunctorIN3c104HalfEEEEEvRNS_18TensorIteratorBaseERKT_EUlibE_EEviT1_.kd
    .uniform_work_group_size: 1
    .uses_dynamic_stack: false
    .vgpr_count:     22
    .vgpr_spill_count: 0
    .wavefront_size: 32
    .workgroup_processor_mode: 1
  - .args:
      - .offset:         0
        .size:           4
        .value_kind:     by_value
      - .offset:         8
        .size:           280
        .value_kind:     by_value
    .group_segment_fixed_size: 0
    .kernarg_segment_align: 8
    .kernarg_segment_size: 288
    .language:       OpenCL C
    .language_version:
      - 2
      - 0
    .max_flat_workgroup_size: 128
    .name:           _ZN2at6native32elementwise_kernel_manual_unrollILi128ELi4EZNS0_15gpu_kernel_implINS0_11FillFunctorIN3c104HalfEEEEEvRNS_18TensorIteratorBaseERKT_EUlibE0_EEviT1_
    .private_segment_fixed_size: 0
    .sgpr_count:     78
    .sgpr_spill_count: 0
    .symbol:         _ZN2at6native32elementwise_kernel_manual_unrollILi128ELi4EZNS0_15gpu_kernel_implINS0_11FillFunctorIN3c104HalfEEEEEvRNS_18TensorIteratorBaseERKT_EUlibE0_EEviT1_.kd
    .uniform_work_group_size: 1
    .uses_dynamic_stack: false
    .vgpr_count:     25
    .vgpr_spill_count: 0
    .wavefront_size: 32
    .workgroup_processor_mode: 1
  - .args:
      - .offset:         0
        .size:           4
        .value_kind:     by_value
      - .offset:         4
        .size:           2
        .value_kind:     by_value
      - .address_space:  global
        .offset:         8
        .size:           8
        .value_kind:     global_buffer
    .group_segment_fixed_size: 0
    .kernarg_segment_align: 8
    .kernarg_segment_size: 16
    .language:       OpenCL C
    .language_version:
      - 2
      - 0
    .max_flat_workgroup_size: 256
    .name:           _ZN2at6native29vectorized_elementwise_kernelILi16ENS0_11FillFunctorIN3c108BFloat16EEESt5arrayIPcLm1EEEEviT0_T1_
    .private_segment_fixed_size: 0
    .sgpr_count:     18
    .sgpr_spill_count: 0
    .symbol:         _ZN2at6native29vectorized_elementwise_kernelILi16ENS0_11FillFunctorIN3c108BFloat16EEESt5arrayIPcLm1EEEEviT0_T1_.kd
    .uniform_work_group_size: 1
    .uses_dynamic_stack: false
    .vgpr_count:     8
    .vgpr_spill_count: 0
    .wavefront_size: 32
    .workgroup_processor_mode: 1
  - .args:
      - .offset:         0
        .size:           4
        .value_kind:     by_value
      - .offset:         4
        .size:           2
        .value_kind:     by_value
      - .address_space:  global
        .offset:         8
        .size:           8
        .value_kind:     global_buffer
    .group_segment_fixed_size: 0
    .kernarg_segment_align: 8
    .kernarg_segment_size: 16
    .language:       OpenCL C
    .language_version:
      - 2
      - 0
    .max_flat_workgroup_size: 256
    .name:           _ZN2at6native29vectorized_elementwise_kernelILi8ENS0_11FillFunctorIN3c108BFloat16EEESt5arrayIPcLm1EEEEviT0_T1_
    .private_segment_fixed_size: 0
    .sgpr_count:     18
    .sgpr_spill_count: 0
    .symbol:         _ZN2at6native29vectorized_elementwise_kernelILi8ENS0_11FillFunctorIN3c108BFloat16EEESt5arrayIPcLm1EEEEviT0_T1_.kd
    .uniform_work_group_size: 1
    .uses_dynamic_stack: false
    .vgpr_count:     8
    .vgpr_spill_count: 0
    .wavefront_size: 32
    .workgroup_processor_mode: 1
  - .args:
      - .offset:         0
        .size:           4
        .value_kind:     by_value
      - .offset:         4
        .size:           2
        .value_kind:     by_value
      - .address_space:  global
        .offset:         8
        .size:           8
        .value_kind:     global_buffer
    .group_segment_fixed_size: 0
    .kernarg_segment_align: 8
    .kernarg_segment_size: 16
    .language:       OpenCL C
    .language_version:
      - 2
      - 0
    .max_flat_workgroup_size: 256
    .name:           _ZN2at6native29vectorized_elementwise_kernelILi4ENS0_11FillFunctorIN3c108BFloat16EEESt5arrayIPcLm1EEEEviT0_T1_
    .private_segment_fixed_size: 0
    .sgpr_count:     18
    .sgpr_spill_count: 0
    .symbol:         _ZN2at6native29vectorized_elementwise_kernelILi4ENS0_11FillFunctorIN3c108BFloat16EEESt5arrayIPcLm1EEEEviT0_T1_.kd
    .uniform_work_group_size: 1
    .uses_dynamic_stack: false
    .vgpr_count:     4
    .vgpr_spill_count: 0
    .wavefront_size: 32
    .workgroup_processor_mode: 1
  - .args:
      - .offset:         0
        .size:           4
        .value_kind:     by_value
      - .offset:         4
        .size:           2
        .value_kind:     by_value
      - .address_space:  global
        .offset:         8
        .size:           8
        .value_kind:     global_buffer
    .group_segment_fixed_size: 0
    .kernarg_segment_align: 8
    .kernarg_segment_size: 16
    .language:       OpenCL C
    .language_version:
      - 2
      - 0
    .max_flat_workgroup_size: 256
    .name:           _ZN2at6native29vectorized_elementwise_kernelILi2ENS0_11FillFunctorIN3c108BFloat16EEESt5arrayIPcLm1EEEEviT0_T1_
    .private_segment_fixed_size: 0
    .sgpr_count:     18
    .sgpr_spill_count: 0
    .symbol:         _ZN2at6native29vectorized_elementwise_kernelILi2ENS0_11FillFunctorIN3c108BFloat16EEESt5arrayIPcLm1EEEEviT0_T1_.kd
    .uniform_work_group_size: 1
    .uses_dynamic_stack: false
    .vgpr_count:     4
    .vgpr_spill_count: 0
    .wavefront_size: 32
    .workgroup_processor_mode: 1
  - .args:
      - .offset:         0
        .size:           4
        .value_kind:     by_value
      - .offset:         4
        .size:           2
        .value_kind:     by_value
      - .address_space:  global
        .offset:         8
        .size:           8
        .value_kind:     global_buffer
      - .offset:         16
        .size:           1
        .value_kind:     by_value
      - .offset:         17
        .size:           1
        .value_kind:     by_value
      - .offset:         18
        .size:           1
        .value_kind:     by_value
      - .offset:         19
        .size:           1
        .value_kind:     by_value
    .group_segment_fixed_size: 0
    .kernarg_segment_align: 8
    .kernarg_segment_size: 20
    .language:       OpenCL C
    .language_version:
      - 2
      - 0
    .max_flat_workgroup_size: 256
    .name:           _ZN2at6native27unrolled_elementwise_kernelINS0_11FillFunctorIN3c108BFloat16EEESt5arrayIPcLm1EELi4E23TrivialOffsetCalculatorILi0EjES9_ILi1EjENS0_6memory15LoadWithoutCastENSC_16StoreWithoutCastEEEviT_T0_T2_T3_T4_T5_
    .private_segment_fixed_size: 0
    .sgpr_count:     18
    .sgpr_spill_count: 0
    .symbol:         _ZN2at6native27unrolled_elementwise_kernelINS0_11FillFunctorIN3c108BFloat16EEESt5arrayIPcLm1EELi4E23TrivialOffsetCalculatorILi0EjES9_ILi1EjENS0_6memory15LoadWithoutCastENSC_16StoreWithoutCastEEEviT_T0_T2_T3_T4_T5_.kd
    .uniform_work_group_size: 1
    .uses_dynamic_stack: false
    .vgpr_count:     4
    .vgpr_spill_count: 0
    .wavefront_size: 32
    .workgroup_processor_mode: 1
  - .args:
      - .offset:         0
        .size:           4
        .value_kind:     by_value
      - .offset:         8
        .size:           280
        .value_kind:     by_value
    .group_segment_fixed_size: 0
    .kernarg_segment_align: 8
    .kernarg_segment_size: 288
    .language:       OpenCL C
    .language_version:
      - 2
      - 0
    .max_flat_workgroup_size: 128
    .name:           _ZN2at6native32elementwise_kernel_manual_unrollILi128ELi8EZNS0_22gpu_kernel_impl_nocastINS0_11FillFunctorIN3c108BFloat16EEEEEvRNS_18TensorIteratorBaseERKT_EUlibE_EEviT1_
    .private_segment_fixed_size: 0
    .sgpr_count:     54
    .sgpr_spill_count: 0
    .symbol:         _ZN2at6native32elementwise_kernel_manual_unrollILi128ELi8EZNS0_22gpu_kernel_impl_nocastINS0_11FillFunctorIN3c108BFloat16EEEEEvRNS_18TensorIteratorBaseERKT_EUlibE_EEviT1_.kd
    .uniform_work_group_size: 1
    .uses_dynamic_stack: false
    .vgpr_count:     18
    .vgpr_spill_count: 0
    .wavefront_size: 32
    .workgroup_processor_mode: 1
  - .args:
      - .offset:         0
        .size:           4
        .value_kind:     by_value
      - .offset:         8
        .size:           16
        .value_kind:     by_value
    .group_segment_fixed_size: 0
    .kernarg_segment_align: 8
    .kernarg_segment_size: 24
    .language:       OpenCL C
    .language_version:
      - 2
      - 0
    .max_flat_workgroup_size: 128
    .name:           _ZN2at6native32elementwise_kernel_manual_unrollILi128ELi4EZNS0_15gpu_kernel_implINS0_11FillFunctorIN3c108BFloat16EEEEEvRNS_18TensorIteratorBaseERKT_EUlibE_EEviT1_
    .private_segment_fixed_size: 0
    .sgpr_count:     44
    .sgpr_spill_count: 0
    .symbol:         _ZN2at6native32elementwise_kernel_manual_unrollILi128ELi4EZNS0_15gpu_kernel_implINS0_11FillFunctorIN3c108BFloat16EEEEEvRNS_18TensorIteratorBaseERKT_EUlibE_EEviT1_.kd
    .uniform_work_group_size: 1
    .uses_dynamic_stack: false
    .vgpr_count:     18
    .vgpr_spill_count: 0
    .wavefront_size: 32
    .workgroup_processor_mode: 1
  - .args:
      - .offset:         0
        .size:           4
        .value_kind:     by_value
      - .offset:         8
        .size:           280
        .value_kind:     by_value
    .group_segment_fixed_size: 0
    .kernarg_segment_align: 8
    .kernarg_segment_size: 288
    .language:       OpenCL C
    .language_version:
      - 2
      - 0
    .max_flat_workgroup_size: 128
    .name:           _ZN2at6native32elementwise_kernel_manual_unrollILi128ELi4EZNS0_15gpu_kernel_implINS0_11FillFunctorIN3c108BFloat16EEEEEvRNS_18TensorIteratorBaseERKT_EUlibE0_EEviT1_
    .private_segment_fixed_size: 0
    .sgpr_count:     82
    .sgpr_spill_count: 0
    .symbol:         _ZN2at6native32elementwise_kernel_manual_unrollILi128ELi4EZNS0_15gpu_kernel_implINS0_11FillFunctorIN3c108BFloat16EEEEEvRNS_18TensorIteratorBaseERKT_EUlibE0_EEviT1_.kd
    .uniform_work_group_size: 1
    .uses_dynamic_stack: false
    .vgpr_count:     22
    .vgpr_spill_count: 0
    .wavefront_size: 32
    .workgroup_processor_mode: 1
  - .args:
      - .offset:         0
        .size:           4
        .value_kind:     by_value
      - .offset:         4
        .size:           1
        .value_kind:     by_value
      - .address_space:  global
        .offset:         8
        .size:           8
        .value_kind:     global_buffer
    .group_segment_fixed_size: 0
    .kernarg_segment_align: 8
    .kernarg_segment_size: 16
    .language:       OpenCL C
    .language_version:
      - 2
      - 0
    .max_flat_workgroup_size: 256
    .name:           _ZN2at6native29vectorized_elementwise_kernelILi16ENS0_11FillFunctorIN3c1011Float8_e5m2EEESt5arrayIPcLm1EEEEviT0_T1_
    .private_segment_fixed_size: 0
    .sgpr_count:     18
    .sgpr_spill_count: 0
    .symbol:         _ZN2at6native29vectorized_elementwise_kernelILi16ENS0_11FillFunctorIN3c1011Float8_e5m2EEESt5arrayIPcLm1EEEEviT0_T1_.kd
    .uniform_work_group_size: 1
    .uses_dynamic_stack: false
    .vgpr_count:     9
    .vgpr_spill_count: 0
    .wavefront_size: 32
    .workgroup_processor_mode: 1
  - .args:
      - .offset:         0
        .size:           4
        .value_kind:     by_value
      - .offset:         4
        .size:           1
        .value_kind:     by_value
      - .address_space:  global
        .offset:         8
        .size:           8
        .value_kind:     global_buffer
    .group_segment_fixed_size: 0
    .kernarg_segment_align: 8
    .kernarg_segment_size: 16
    .language:       OpenCL C
    .language_version:
      - 2
      - 0
    .max_flat_workgroup_size: 256
    .name:           _ZN2at6native29vectorized_elementwise_kernelILi8ENS0_11FillFunctorIN3c1011Float8_e5m2EEESt5arrayIPcLm1EEEEviT0_T1_
    .private_segment_fixed_size: 0
    .sgpr_count:     18
    .sgpr_spill_count: 0
    .symbol:         _ZN2at6native29vectorized_elementwise_kernelILi8ENS0_11FillFunctorIN3c1011Float8_e5m2EEESt5arrayIPcLm1EEEEviT0_T1_.kd
    .uniform_work_group_size: 1
    .uses_dynamic_stack: false
    .vgpr_count:     4
    .vgpr_spill_count: 0
    .wavefront_size: 32
    .workgroup_processor_mode: 1
  - .args:
      - .offset:         0
        .size:           4
        .value_kind:     by_value
      - .offset:         4
        .size:           1
        .value_kind:     by_value
      - .address_space:  global
        .offset:         8
        .size:           8
        .value_kind:     global_buffer
    .group_segment_fixed_size: 0
    .kernarg_segment_align: 8
    .kernarg_segment_size: 16
    .language:       OpenCL C
    .language_version:
      - 2
      - 0
    .max_flat_workgroup_size: 256
    .name:           _ZN2at6native29vectorized_elementwise_kernelILi4ENS0_11FillFunctorIN3c1011Float8_e5m2EEESt5arrayIPcLm1EEEEviT0_T1_
    .private_segment_fixed_size: 0
    .sgpr_count:     18
    .sgpr_spill_count: 0
    .symbol:         _ZN2at6native29vectorized_elementwise_kernelILi4ENS0_11FillFunctorIN3c1011Float8_e5m2EEESt5arrayIPcLm1EEEEviT0_T1_.kd
    .uniform_work_group_size: 1
    .uses_dynamic_stack: false
    .vgpr_count:     4
    .vgpr_spill_count: 0
    .wavefront_size: 32
    .workgroup_processor_mode: 1
  - .args:
      - .offset:         0
        .size:           4
        .value_kind:     by_value
      - .offset:         4
        .size:           1
        .value_kind:     by_value
      - .address_space:  global
        .offset:         8
        .size:           8
        .value_kind:     global_buffer
    .group_segment_fixed_size: 0
    .kernarg_segment_align: 8
    .kernarg_segment_size: 16
    .language:       OpenCL C
    .language_version:
      - 2
      - 0
    .max_flat_workgroup_size: 256
    .name:           _ZN2at6native29vectorized_elementwise_kernelILi2ENS0_11FillFunctorIN3c1011Float8_e5m2EEESt5arrayIPcLm1EEEEviT0_T1_
    .private_segment_fixed_size: 0
    .sgpr_count:     18
    .sgpr_spill_count: 0
    .symbol:         _ZN2at6native29vectorized_elementwise_kernelILi2ENS0_11FillFunctorIN3c1011Float8_e5m2EEESt5arrayIPcLm1EEEEviT0_T1_.kd
    .uniform_work_group_size: 1
    .uses_dynamic_stack: false
    .vgpr_count:     4
    .vgpr_spill_count: 0
    .wavefront_size: 32
    .workgroup_processor_mode: 1
  - .args:
      - .offset:         0
        .size:           4
        .value_kind:     by_value
      - .offset:         4
        .size:           1
        .value_kind:     by_value
      - .address_space:  global
        .offset:         8
        .size:           8
        .value_kind:     global_buffer
      - .offset:         16
        .size:           1
        .value_kind:     by_value
      - .offset:         17
        .size:           1
        .value_kind:     by_value
      - .offset:         18
        .size:           1
        .value_kind:     by_value
      - .offset:         19
        .size:           1
        .value_kind:     by_value
    .group_segment_fixed_size: 0
    .kernarg_segment_align: 8
    .kernarg_segment_size: 20
    .language:       OpenCL C
    .language_version:
      - 2
      - 0
    .max_flat_workgroup_size: 256
    .name:           _ZN2at6native27unrolled_elementwise_kernelINS0_11FillFunctorIN3c1011Float8_e5m2EEESt5arrayIPcLm1EELi4E23TrivialOffsetCalculatorILi0EjES9_ILi1EjENS0_6memory15LoadWithoutCastENSC_16StoreWithoutCastEEEviT_T0_T2_T3_T4_T5_
    .private_segment_fixed_size: 0
    .sgpr_count:     18
    .sgpr_spill_count: 0
    .symbol:         _ZN2at6native27unrolled_elementwise_kernelINS0_11FillFunctorIN3c1011Float8_e5m2EEESt5arrayIPcLm1EELi4E23TrivialOffsetCalculatorILi0EjES9_ILi1EjENS0_6memory15LoadWithoutCastENSC_16StoreWithoutCastEEEviT_T0_T2_T3_T4_T5_.kd
    .uniform_work_group_size: 1
    .uses_dynamic_stack: false
    .vgpr_count:     4
    .vgpr_spill_count: 0
    .wavefront_size: 32
    .workgroup_processor_mode: 1
  - .args:
      - .offset:         0
        .size:           4
        .value_kind:     by_value
      - .offset:         8
        .size:           280
        .value_kind:     by_value
    .group_segment_fixed_size: 0
    .kernarg_segment_align: 8
    .kernarg_segment_size: 288
    .language:       OpenCL C
    .language_version:
      - 2
      - 0
    .max_flat_workgroup_size: 128
    .name:           _ZN2at6native32elementwise_kernel_manual_unrollILi128ELi8EZNS0_22gpu_kernel_impl_nocastINS0_11FillFunctorIN3c1011Float8_e5m2EEEEEvRNS_18TensorIteratorBaseERKT_EUlibE_EEviT1_
    .private_segment_fixed_size: 0
    .sgpr_count:     54
    .sgpr_spill_count: 0
    .symbol:         _ZN2at6native32elementwise_kernel_manual_unrollILi128ELi8EZNS0_22gpu_kernel_impl_nocastINS0_11FillFunctorIN3c1011Float8_e5m2EEEEEvRNS_18TensorIteratorBaseERKT_EUlibE_EEviT1_.kd
    .uniform_work_group_size: 1
    .uses_dynamic_stack: false
    .vgpr_count:     18
    .vgpr_spill_count: 0
    .wavefront_size: 32
    .workgroup_processor_mode: 1
  - .args:
      - .offset:         0
        .size:           4
        .value_kind:     by_value
      - .offset:         8
        .size:           16
        .value_kind:     by_value
    .group_segment_fixed_size: 0
    .kernarg_segment_align: 8
    .kernarg_segment_size: 24
    .language:       OpenCL C
    .language_version:
      - 2
      - 0
    .max_flat_workgroup_size: 128
    .name:           _ZN2at6native32elementwise_kernel_manual_unrollILi128ELi4EZNS0_15gpu_kernel_implINS0_11FillFunctorIN3c1011Float8_e5m2EEEEEvRNS_18TensorIteratorBaseERKT_EUlibE_EEviT1_
    .private_segment_fixed_size: 0
    .sgpr_count:     33
    .sgpr_spill_count: 0
    .symbol:         _ZN2at6native32elementwise_kernel_manual_unrollILi128ELi4EZNS0_15gpu_kernel_implINS0_11FillFunctorIN3c1011Float8_e5m2EEEEEvRNS_18TensorIteratorBaseERKT_EUlibE_EEviT1_.kd
    .uniform_work_group_size: 1
    .uses_dynamic_stack: false
    .vgpr_count:     22
    .vgpr_spill_count: 0
    .wavefront_size: 32
    .workgroup_processor_mode: 1
  - .args:
      - .offset:         0
        .size:           4
        .value_kind:     by_value
      - .offset:         8
        .size:           280
        .value_kind:     by_value
    .group_segment_fixed_size: 0
    .kernarg_segment_align: 8
    .kernarg_segment_size: 288
    .language:       OpenCL C
    .language_version:
      - 2
      - 0
    .max_flat_workgroup_size: 128
    .name:           _ZN2at6native32elementwise_kernel_manual_unrollILi128ELi4EZNS0_15gpu_kernel_implINS0_11FillFunctorIN3c1011Float8_e5m2EEEEEvRNS_18TensorIteratorBaseERKT_EUlibE0_EEviT1_
    .private_segment_fixed_size: 0
    .sgpr_count:     70
    .sgpr_spill_count: 0
    .symbol:         _ZN2at6native32elementwise_kernel_manual_unrollILi128ELi4EZNS0_15gpu_kernel_implINS0_11FillFunctorIN3c1011Float8_e5m2EEEEEvRNS_18TensorIteratorBaseERKT_EUlibE0_EEviT1_.kd
    .uniform_work_group_size: 1
    .uses_dynamic_stack: false
    .vgpr_count:     27
    .vgpr_spill_count: 0
    .wavefront_size: 32
    .workgroup_processor_mode: 1
  - .args:
      - .offset:         0
        .size:           4
        .value_kind:     by_value
      - .offset:         4
        .size:           1
        .value_kind:     by_value
      - .address_space:  global
        .offset:         8
        .size:           8
        .value_kind:     global_buffer
    .group_segment_fixed_size: 0
    .kernarg_segment_align: 8
    .kernarg_segment_size: 16
    .language:       OpenCL C
    .language_version:
      - 2
      - 0
    .max_flat_workgroup_size: 256
    .name:           _ZN2at6native29vectorized_elementwise_kernelILi16ENS0_11FillFunctorIN3c1015Float8_e5m2fnuzEEESt5arrayIPcLm1EEEEviT0_T1_
    .private_segment_fixed_size: 0
    .sgpr_count:     18
    .sgpr_spill_count: 0
    .symbol:         _ZN2at6native29vectorized_elementwise_kernelILi16ENS0_11FillFunctorIN3c1015Float8_e5m2fnuzEEESt5arrayIPcLm1EEEEviT0_T1_.kd
    .uniform_work_group_size: 1
    .uses_dynamic_stack: false
    .vgpr_count:     9
    .vgpr_spill_count: 0
    .wavefront_size: 32
    .workgroup_processor_mode: 1
  - .args:
      - .offset:         0
        .size:           4
        .value_kind:     by_value
      - .offset:         4
        .size:           1
        .value_kind:     by_value
      - .address_space:  global
        .offset:         8
        .size:           8
        .value_kind:     global_buffer
    .group_segment_fixed_size: 0
    .kernarg_segment_align: 8
    .kernarg_segment_size: 16
    .language:       OpenCL C
    .language_version:
      - 2
      - 0
    .max_flat_workgroup_size: 256
    .name:           _ZN2at6native29vectorized_elementwise_kernelILi8ENS0_11FillFunctorIN3c1015Float8_e5m2fnuzEEESt5arrayIPcLm1EEEEviT0_T1_
    .private_segment_fixed_size: 0
    .sgpr_count:     18
    .sgpr_spill_count: 0
    .symbol:         _ZN2at6native29vectorized_elementwise_kernelILi8ENS0_11FillFunctorIN3c1015Float8_e5m2fnuzEEESt5arrayIPcLm1EEEEviT0_T1_.kd
    .uniform_work_group_size: 1
    .uses_dynamic_stack: false
    .vgpr_count:     4
    .vgpr_spill_count: 0
    .wavefront_size: 32
    .workgroup_processor_mode: 1
  - .args:
      - .offset:         0
        .size:           4
        .value_kind:     by_value
      - .offset:         4
        .size:           1
        .value_kind:     by_value
      - .address_space:  global
        .offset:         8
        .size:           8
        .value_kind:     global_buffer
    .group_segment_fixed_size: 0
    .kernarg_segment_align: 8
    .kernarg_segment_size: 16
    .language:       OpenCL C
    .language_version:
      - 2
      - 0
    .max_flat_workgroup_size: 256
    .name:           _ZN2at6native29vectorized_elementwise_kernelILi4ENS0_11FillFunctorIN3c1015Float8_e5m2fnuzEEESt5arrayIPcLm1EEEEviT0_T1_
    .private_segment_fixed_size: 0
    .sgpr_count:     18
    .sgpr_spill_count: 0
    .symbol:         _ZN2at6native29vectorized_elementwise_kernelILi4ENS0_11FillFunctorIN3c1015Float8_e5m2fnuzEEESt5arrayIPcLm1EEEEviT0_T1_.kd
    .uniform_work_group_size: 1
    .uses_dynamic_stack: false
    .vgpr_count:     4
    .vgpr_spill_count: 0
    .wavefront_size: 32
    .workgroup_processor_mode: 1
  - .args:
      - .offset:         0
        .size:           4
        .value_kind:     by_value
      - .offset:         4
        .size:           1
        .value_kind:     by_value
      - .address_space:  global
        .offset:         8
        .size:           8
        .value_kind:     global_buffer
    .group_segment_fixed_size: 0
    .kernarg_segment_align: 8
    .kernarg_segment_size: 16
    .language:       OpenCL C
    .language_version:
      - 2
      - 0
    .max_flat_workgroup_size: 256
    .name:           _ZN2at6native29vectorized_elementwise_kernelILi2ENS0_11FillFunctorIN3c1015Float8_e5m2fnuzEEESt5arrayIPcLm1EEEEviT0_T1_
    .private_segment_fixed_size: 0
    .sgpr_count:     18
    .sgpr_spill_count: 0
    .symbol:         _ZN2at6native29vectorized_elementwise_kernelILi2ENS0_11FillFunctorIN3c1015Float8_e5m2fnuzEEESt5arrayIPcLm1EEEEviT0_T1_.kd
    .uniform_work_group_size: 1
    .uses_dynamic_stack: false
    .vgpr_count:     4
    .vgpr_spill_count: 0
    .wavefront_size: 32
    .workgroup_processor_mode: 1
  - .args:
      - .offset:         0
        .size:           4
        .value_kind:     by_value
      - .offset:         4
        .size:           1
        .value_kind:     by_value
      - .address_space:  global
        .offset:         8
        .size:           8
        .value_kind:     global_buffer
      - .offset:         16
        .size:           1
        .value_kind:     by_value
      - .offset:         17
        .size:           1
        .value_kind:     by_value
      - .offset:         18
        .size:           1
        .value_kind:     by_value
      - .offset:         19
        .size:           1
        .value_kind:     by_value
    .group_segment_fixed_size: 0
    .kernarg_segment_align: 8
    .kernarg_segment_size: 20
    .language:       OpenCL C
    .language_version:
      - 2
      - 0
    .max_flat_workgroup_size: 256
    .name:           _ZN2at6native27unrolled_elementwise_kernelINS0_11FillFunctorIN3c1015Float8_e5m2fnuzEEESt5arrayIPcLm1EELi4E23TrivialOffsetCalculatorILi0EjES9_ILi1EjENS0_6memory15LoadWithoutCastENSC_16StoreWithoutCastEEEviT_T0_T2_T3_T4_T5_
    .private_segment_fixed_size: 0
    .sgpr_count:     18
    .sgpr_spill_count: 0
    .symbol:         _ZN2at6native27unrolled_elementwise_kernelINS0_11FillFunctorIN3c1015Float8_e5m2fnuzEEESt5arrayIPcLm1EELi4E23TrivialOffsetCalculatorILi0EjES9_ILi1EjENS0_6memory15LoadWithoutCastENSC_16StoreWithoutCastEEEviT_T0_T2_T3_T4_T5_.kd
    .uniform_work_group_size: 1
    .uses_dynamic_stack: false
    .vgpr_count:     4
    .vgpr_spill_count: 0
    .wavefront_size: 32
    .workgroup_processor_mode: 1
  - .args:
      - .offset:         0
        .size:           4
        .value_kind:     by_value
      - .offset:         8
        .size:           280
        .value_kind:     by_value
    .group_segment_fixed_size: 0
    .kernarg_segment_align: 8
    .kernarg_segment_size: 288
    .language:       OpenCL C
    .language_version:
      - 2
      - 0
    .max_flat_workgroup_size: 128
    .name:           _ZN2at6native32elementwise_kernel_manual_unrollILi128ELi8EZNS0_22gpu_kernel_impl_nocastINS0_11FillFunctorIN3c1015Float8_e5m2fnuzEEEEEvRNS_18TensorIteratorBaseERKT_EUlibE_EEviT1_
    .private_segment_fixed_size: 0
    .sgpr_count:     54
    .sgpr_spill_count: 0
    .symbol:         _ZN2at6native32elementwise_kernel_manual_unrollILi128ELi8EZNS0_22gpu_kernel_impl_nocastINS0_11FillFunctorIN3c1015Float8_e5m2fnuzEEEEEvRNS_18TensorIteratorBaseERKT_EUlibE_EEviT1_.kd
    .uniform_work_group_size: 1
    .uses_dynamic_stack: false
    .vgpr_count:     18
    .vgpr_spill_count: 0
    .wavefront_size: 32
    .workgroup_processor_mode: 1
  - .args:
      - .offset:         0
        .size:           4
        .value_kind:     by_value
      - .offset:         8
        .size:           16
        .value_kind:     by_value
    .group_segment_fixed_size: 0
    .kernarg_segment_align: 8
    .kernarg_segment_size: 24
    .language:       OpenCL C
    .language_version:
      - 2
      - 0
    .max_flat_workgroup_size: 128
    .name:           _ZN2at6native32elementwise_kernel_manual_unrollILi128ELi4EZNS0_15gpu_kernel_implINS0_11FillFunctorIN3c1015Float8_e5m2fnuzEEEEEvRNS_18TensorIteratorBaseERKT_EUlibE_EEviT1_
    .private_segment_fixed_size: 0
    .sgpr_count:     23
    .sgpr_spill_count: 0
    .symbol:         _ZN2at6native32elementwise_kernel_manual_unrollILi128ELi4EZNS0_15gpu_kernel_implINS0_11FillFunctorIN3c1015Float8_e5m2fnuzEEEEEvRNS_18TensorIteratorBaseERKT_EUlibE_EEviT1_.kd
    .uniform_work_group_size: 1
    .uses_dynamic_stack: false
    .vgpr_count:     18
    .vgpr_spill_count: 0
    .wavefront_size: 32
    .workgroup_processor_mode: 1
  - .args:
      - .offset:         0
        .size:           4
        .value_kind:     by_value
      - .offset:         8
        .size:           280
        .value_kind:     by_value
    .group_segment_fixed_size: 0
    .kernarg_segment_align: 8
    .kernarg_segment_size: 288
    .language:       OpenCL C
    .language_version:
      - 2
      - 0
    .max_flat_workgroup_size: 128
    .name:           _ZN2at6native32elementwise_kernel_manual_unrollILi128ELi4EZNS0_15gpu_kernel_implINS0_11FillFunctorIN3c1015Float8_e5m2fnuzEEEEEvRNS_18TensorIteratorBaseERKT_EUlibE0_EEviT1_
    .private_segment_fixed_size: 0
    .sgpr_count:     62
    .sgpr_spill_count: 0
    .symbol:         _ZN2at6native32elementwise_kernel_manual_unrollILi128ELi4EZNS0_15gpu_kernel_implINS0_11FillFunctorIN3c1015Float8_e5m2fnuzEEEEEvRNS_18TensorIteratorBaseERKT_EUlibE0_EEviT1_.kd
    .uniform_work_group_size: 1
    .uses_dynamic_stack: false
    .vgpr_count:     21
    .vgpr_spill_count: 0
    .wavefront_size: 32
    .workgroup_processor_mode: 1
  - .args:
      - .offset:         0
        .size:           4
        .value_kind:     by_value
      - .offset:         4
        .size:           1
        .value_kind:     by_value
      - .address_space:  global
        .offset:         8
        .size:           8
        .value_kind:     global_buffer
    .group_segment_fixed_size: 0
    .kernarg_segment_align: 8
    .kernarg_segment_size: 16
    .language:       OpenCL C
    .language_version:
      - 2
      - 0
    .max_flat_workgroup_size: 256
    .name:           _ZN2at6native29vectorized_elementwise_kernelILi16ENS0_11FillFunctorIN3c1013Float8_e4m3fnEEESt5arrayIPcLm1EEEEviT0_T1_
    .private_segment_fixed_size: 0
    .sgpr_count:     18
    .sgpr_spill_count: 0
    .symbol:         _ZN2at6native29vectorized_elementwise_kernelILi16ENS0_11FillFunctorIN3c1013Float8_e4m3fnEEESt5arrayIPcLm1EEEEviT0_T1_.kd
    .uniform_work_group_size: 1
    .uses_dynamic_stack: false
    .vgpr_count:     9
    .vgpr_spill_count: 0
    .wavefront_size: 32
    .workgroup_processor_mode: 1
  - .args:
      - .offset:         0
        .size:           4
        .value_kind:     by_value
      - .offset:         4
        .size:           1
        .value_kind:     by_value
      - .address_space:  global
        .offset:         8
        .size:           8
        .value_kind:     global_buffer
    .group_segment_fixed_size: 0
    .kernarg_segment_align: 8
    .kernarg_segment_size: 16
    .language:       OpenCL C
    .language_version:
      - 2
      - 0
    .max_flat_workgroup_size: 256
    .name:           _ZN2at6native29vectorized_elementwise_kernelILi8ENS0_11FillFunctorIN3c1013Float8_e4m3fnEEESt5arrayIPcLm1EEEEviT0_T1_
    .private_segment_fixed_size: 0
    .sgpr_count:     18
    .sgpr_spill_count: 0
    .symbol:         _ZN2at6native29vectorized_elementwise_kernelILi8ENS0_11FillFunctorIN3c1013Float8_e4m3fnEEESt5arrayIPcLm1EEEEviT0_T1_.kd
    .uniform_work_group_size: 1
    .uses_dynamic_stack: false
    .vgpr_count:     4
    .vgpr_spill_count: 0
    .wavefront_size: 32
    .workgroup_processor_mode: 1
  - .args:
      - .offset:         0
        .size:           4
        .value_kind:     by_value
      - .offset:         4
        .size:           1
        .value_kind:     by_value
      - .address_space:  global
        .offset:         8
        .size:           8
        .value_kind:     global_buffer
    .group_segment_fixed_size: 0
    .kernarg_segment_align: 8
    .kernarg_segment_size: 16
    .language:       OpenCL C
    .language_version:
      - 2
      - 0
    .max_flat_workgroup_size: 256
    .name:           _ZN2at6native29vectorized_elementwise_kernelILi4ENS0_11FillFunctorIN3c1013Float8_e4m3fnEEESt5arrayIPcLm1EEEEviT0_T1_
    .private_segment_fixed_size: 0
    .sgpr_count:     18
    .sgpr_spill_count: 0
    .symbol:         _ZN2at6native29vectorized_elementwise_kernelILi4ENS0_11FillFunctorIN3c1013Float8_e4m3fnEEESt5arrayIPcLm1EEEEviT0_T1_.kd
    .uniform_work_group_size: 1
    .uses_dynamic_stack: false
    .vgpr_count:     4
    .vgpr_spill_count: 0
    .wavefront_size: 32
    .workgroup_processor_mode: 1
  - .args:
      - .offset:         0
        .size:           4
        .value_kind:     by_value
      - .offset:         4
        .size:           1
        .value_kind:     by_value
      - .address_space:  global
        .offset:         8
        .size:           8
        .value_kind:     global_buffer
    .group_segment_fixed_size: 0
    .kernarg_segment_align: 8
    .kernarg_segment_size: 16
    .language:       OpenCL C
    .language_version:
      - 2
      - 0
    .max_flat_workgroup_size: 256
    .name:           _ZN2at6native29vectorized_elementwise_kernelILi2ENS0_11FillFunctorIN3c1013Float8_e4m3fnEEESt5arrayIPcLm1EEEEviT0_T1_
    .private_segment_fixed_size: 0
    .sgpr_count:     18
    .sgpr_spill_count: 0
    .symbol:         _ZN2at6native29vectorized_elementwise_kernelILi2ENS0_11FillFunctorIN3c1013Float8_e4m3fnEEESt5arrayIPcLm1EEEEviT0_T1_.kd
    .uniform_work_group_size: 1
    .uses_dynamic_stack: false
    .vgpr_count:     4
    .vgpr_spill_count: 0
    .wavefront_size: 32
    .workgroup_processor_mode: 1
  - .args:
      - .offset:         0
        .size:           4
        .value_kind:     by_value
      - .offset:         4
        .size:           1
        .value_kind:     by_value
      - .address_space:  global
        .offset:         8
        .size:           8
        .value_kind:     global_buffer
      - .offset:         16
        .size:           1
        .value_kind:     by_value
      - .offset:         17
        .size:           1
        .value_kind:     by_value
      - .offset:         18
        .size:           1
        .value_kind:     by_value
      - .offset:         19
        .size:           1
        .value_kind:     by_value
    .group_segment_fixed_size: 0
    .kernarg_segment_align: 8
    .kernarg_segment_size: 20
    .language:       OpenCL C
    .language_version:
      - 2
      - 0
    .max_flat_workgroup_size: 256
    .name:           _ZN2at6native27unrolled_elementwise_kernelINS0_11FillFunctorIN3c1013Float8_e4m3fnEEESt5arrayIPcLm1EELi4E23TrivialOffsetCalculatorILi0EjES9_ILi1EjENS0_6memory15LoadWithoutCastENSC_16StoreWithoutCastEEEviT_T0_T2_T3_T4_T5_
    .private_segment_fixed_size: 0
    .sgpr_count:     18
    .sgpr_spill_count: 0
    .symbol:         _ZN2at6native27unrolled_elementwise_kernelINS0_11FillFunctorIN3c1013Float8_e4m3fnEEESt5arrayIPcLm1EELi4E23TrivialOffsetCalculatorILi0EjES9_ILi1EjENS0_6memory15LoadWithoutCastENSC_16StoreWithoutCastEEEviT_T0_T2_T3_T4_T5_.kd
    .uniform_work_group_size: 1
    .uses_dynamic_stack: false
    .vgpr_count:     4
    .vgpr_spill_count: 0
    .wavefront_size: 32
    .workgroup_processor_mode: 1
  - .args:
      - .offset:         0
        .size:           4
        .value_kind:     by_value
      - .offset:         8
        .size:           280
        .value_kind:     by_value
    .group_segment_fixed_size: 0
    .kernarg_segment_align: 8
    .kernarg_segment_size: 288
    .language:       OpenCL C
    .language_version:
      - 2
      - 0
    .max_flat_workgroup_size: 128
    .name:           _ZN2at6native32elementwise_kernel_manual_unrollILi128ELi8EZNS0_22gpu_kernel_impl_nocastINS0_11FillFunctorIN3c1013Float8_e4m3fnEEEEEvRNS_18TensorIteratorBaseERKT_EUlibE_EEviT1_
    .private_segment_fixed_size: 0
    .sgpr_count:     54
    .sgpr_spill_count: 0
    .symbol:         _ZN2at6native32elementwise_kernel_manual_unrollILi128ELi8EZNS0_22gpu_kernel_impl_nocastINS0_11FillFunctorIN3c1013Float8_e4m3fnEEEEEvRNS_18TensorIteratorBaseERKT_EUlibE_EEviT1_.kd
    .uniform_work_group_size: 1
    .uses_dynamic_stack: false
    .vgpr_count:     18
    .vgpr_spill_count: 0
    .wavefront_size: 32
    .workgroup_processor_mode: 1
  - .args:
      - .offset:         0
        .size:           4
        .value_kind:     by_value
      - .offset:         8
        .size:           16
        .value_kind:     by_value
    .group_segment_fixed_size: 0
    .kernarg_segment_align: 8
    .kernarg_segment_size: 24
    .language:       OpenCL C
    .language_version:
      - 2
      - 0
    .max_flat_workgroup_size: 128
    .name:           _ZN2at6native32elementwise_kernel_manual_unrollILi128ELi4EZNS0_15gpu_kernel_implINS0_11FillFunctorIN3c1013Float8_e4m3fnEEEEEvRNS_18TensorIteratorBaseERKT_EUlibE_EEviT1_
    .private_segment_fixed_size: 0
    .sgpr_count:     36
    .sgpr_spill_count: 0
    .symbol:         _ZN2at6native32elementwise_kernel_manual_unrollILi128ELi4EZNS0_15gpu_kernel_implINS0_11FillFunctorIN3c1013Float8_e4m3fnEEEEEvRNS_18TensorIteratorBaseERKT_EUlibE_EEviT1_.kd
    .uniform_work_group_size: 1
    .uses_dynamic_stack: false
    .vgpr_count:     20
    .vgpr_spill_count: 0
    .wavefront_size: 32
    .workgroup_processor_mode: 1
  - .args:
      - .offset:         0
        .size:           4
        .value_kind:     by_value
      - .offset:         8
        .size:           280
        .value_kind:     by_value
    .group_segment_fixed_size: 0
    .kernarg_segment_align: 8
    .kernarg_segment_size: 288
    .language:       OpenCL C
    .language_version:
      - 2
      - 0
    .max_flat_workgroup_size: 128
    .name:           _ZN2at6native32elementwise_kernel_manual_unrollILi128ELi4EZNS0_15gpu_kernel_implINS0_11FillFunctorIN3c1013Float8_e4m3fnEEEEEvRNS_18TensorIteratorBaseERKT_EUlibE0_EEviT1_
    .private_segment_fixed_size: 0
    .sgpr_count:     74
    .sgpr_spill_count: 0
    .symbol:         _ZN2at6native32elementwise_kernel_manual_unrollILi128ELi4EZNS0_15gpu_kernel_implINS0_11FillFunctorIN3c1013Float8_e4m3fnEEEEEvRNS_18TensorIteratorBaseERKT_EUlibE0_EEviT1_.kd
    .uniform_work_group_size: 1
    .uses_dynamic_stack: false
    .vgpr_count:     25
    .vgpr_spill_count: 0
    .wavefront_size: 32
    .workgroup_processor_mode: 1
  - .args:
      - .offset:         0
        .size:           4
        .value_kind:     by_value
      - .offset:         4
        .size:           1
        .value_kind:     by_value
      - .address_space:  global
        .offset:         8
        .size:           8
        .value_kind:     global_buffer
    .group_segment_fixed_size: 0
    .kernarg_segment_align: 8
    .kernarg_segment_size: 16
    .language:       OpenCL C
    .language_version:
      - 2
      - 0
    .max_flat_workgroup_size: 256
    .name:           _ZN2at6native29vectorized_elementwise_kernelILi16ENS0_11FillFunctorIN3c1015Float8_e4m3fnuzEEESt5arrayIPcLm1EEEEviT0_T1_
    .private_segment_fixed_size: 0
    .sgpr_count:     18
    .sgpr_spill_count: 0
    .symbol:         _ZN2at6native29vectorized_elementwise_kernelILi16ENS0_11FillFunctorIN3c1015Float8_e4m3fnuzEEESt5arrayIPcLm1EEEEviT0_T1_.kd
    .uniform_work_group_size: 1
    .uses_dynamic_stack: false
    .vgpr_count:     9
    .vgpr_spill_count: 0
    .wavefront_size: 32
    .workgroup_processor_mode: 1
  - .args:
      - .offset:         0
        .size:           4
        .value_kind:     by_value
      - .offset:         4
        .size:           1
        .value_kind:     by_value
      - .address_space:  global
        .offset:         8
        .size:           8
        .value_kind:     global_buffer
    .group_segment_fixed_size: 0
    .kernarg_segment_align: 8
    .kernarg_segment_size: 16
    .language:       OpenCL C
    .language_version:
      - 2
      - 0
    .max_flat_workgroup_size: 256
    .name:           _ZN2at6native29vectorized_elementwise_kernelILi8ENS0_11FillFunctorIN3c1015Float8_e4m3fnuzEEESt5arrayIPcLm1EEEEviT0_T1_
    .private_segment_fixed_size: 0
    .sgpr_count:     18
    .sgpr_spill_count: 0
    .symbol:         _ZN2at6native29vectorized_elementwise_kernelILi8ENS0_11FillFunctorIN3c1015Float8_e4m3fnuzEEESt5arrayIPcLm1EEEEviT0_T1_.kd
    .uniform_work_group_size: 1
    .uses_dynamic_stack: false
    .vgpr_count:     4
    .vgpr_spill_count: 0
    .wavefront_size: 32
    .workgroup_processor_mode: 1
  - .args:
      - .offset:         0
        .size:           4
        .value_kind:     by_value
      - .offset:         4
        .size:           1
        .value_kind:     by_value
      - .address_space:  global
        .offset:         8
        .size:           8
        .value_kind:     global_buffer
    .group_segment_fixed_size: 0
    .kernarg_segment_align: 8
    .kernarg_segment_size: 16
    .language:       OpenCL C
    .language_version:
      - 2
      - 0
    .max_flat_workgroup_size: 256
    .name:           _ZN2at6native29vectorized_elementwise_kernelILi4ENS0_11FillFunctorIN3c1015Float8_e4m3fnuzEEESt5arrayIPcLm1EEEEviT0_T1_
    .private_segment_fixed_size: 0
    .sgpr_count:     18
    .sgpr_spill_count: 0
    .symbol:         _ZN2at6native29vectorized_elementwise_kernelILi4ENS0_11FillFunctorIN3c1015Float8_e4m3fnuzEEESt5arrayIPcLm1EEEEviT0_T1_.kd
    .uniform_work_group_size: 1
    .uses_dynamic_stack: false
    .vgpr_count:     4
    .vgpr_spill_count: 0
    .wavefront_size: 32
    .workgroup_processor_mode: 1
  - .args:
      - .offset:         0
        .size:           4
        .value_kind:     by_value
      - .offset:         4
        .size:           1
        .value_kind:     by_value
      - .address_space:  global
        .offset:         8
        .size:           8
        .value_kind:     global_buffer
    .group_segment_fixed_size: 0
    .kernarg_segment_align: 8
    .kernarg_segment_size: 16
    .language:       OpenCL C
    .language_version:
      - 2
      - 0
    .max_flat_workgroup_size: 256
    .name:           _ZN2at6native29vectorized_elementwise_kernelILi2ENS0_11FillFunctorIN3c1015Float8_e4m3fnuzEEESt5arrayIPcLm1EEEEviT0_T1_
    .private_segment_fixed_size: 0
    .sgpr_count:     18
    .sgpr_spill_count: 0
    .symbol:         _ZN2at6native29vectorized_elementwise_kernelILi2ENS0_11FillFunctorIN3c1015Float8_e4m3fnuzEEESt5arrayIPcLm1EEEEviT0_T1_.kd
    .uniform_work_group_size: 1
    .uses_dynamic_stack: false
    .vgpr_count:     4
    .vgpr_spill_count: 0
    .wavefront_size: 32
    .workgroup_processor_mode: 1
  - .args:
      - .offset:         0
        .size:           4
        .value_kind:     by_value
      - .offset:         4
        .size:           1
        .value_kind:     by_value
      - .address_space:  global
        .offset:         8
        .size:           8
        .value_kind:     global_buffer
      - .offset:         16
        .size:           1
        .value_kind:     by_value
      - .offset:         17
        .size:           1
        .value_kind:     by_value
      - .offset:         18
        .size:           1
        .value_kind:     by_value
      - .offset:         19
        .size:           1
        .value_kind:     by_value
    .group_segment_fixed_size: 0
    .kernarg_segment_align: 8
    .kernarg_segment_size: 20
    .language:       OpenCL C
    .language_version:
      - 2
      - 0
    .max_flat_workgroup_size: 256
    .name:           _ZN2at6native27unrolled_elementwise_kernelINS0_11FillFunctorIN3c1015Float8_e4m3fnuzEEESt5arrayIPcLm1EELi4E23TrivialOffsetCalculatorILi0EjES9_ILi1EjENS0_6memory15LoadWithoutCastENSC_16StoreWithoutCastEEEviT_T0_T2_T3_T4_T5_
    .private_segment_fixed_size: 0
    .sgpr_count:     18
    .sgpr_spill_count: 0
    .symbol:         _ZN2at6native27unrolled_elementwise_kernelINS0_11FillFunctorIN3c1015Float8_e4m3fnuzEEESt5arrayIPcLm1EELi4E23TrivialOffsetCalculatorILi0EjES9_ILi1EjENS0_6memory15LoadWithoutCastENSC_16StoreWithoutCastEEEviT_T0_T2_T3_T4_T5_.kd
    .uniform_work_group_size: 1
    .uses_dynamic_stack: false
    .vgpr_count:     4
    .vgpr_spill_count: 0
    .wavefront_size: 32
    .workgroup_processor_mode: 1
  - .args:
      - .offset:         0
        .size:           4
        .value_kind:     by_value
      - .offset:         8
        .size:           280
        .value_kind:     by_value
    .group_segment_fixed_size: 0
    .kernarg_segment_align: 8
    .kernarg_segment_size: 288
    .language:       OpenCL C
    .language_version:
      - 2
      - 0
    .max_flat_workgroup_size: 128
    .name:           _ZN2at6native32elementwise_kernel_manual_unrollILi128ELi8EZNS0_22gpu_kernel_impl_nocastINS0_11FillFunctorIN3c1015Float8_e4m3fnuzEEEEEvRNS_18TensorIteratorBaseERKT_EUlibE_EEviT1_
    .private_segment_fixed_size: 0
    .sgpr_count:     54
    .sgpr_spill_count: 0
    .symbol:         _ZN2at6native32elementwise_kernel_manual_unrollILi128ELi8EZNS0_22gpu_kernel_impl_nocastINS0_11FillFunctorIN3c1015Float8_e4m3fnuzEEEEEvRNS_18TensorIteratorBaseERKT_EUlibE_EEviT1_.kd
    .uniform_work_group_size: 1
    .uses_dynamic_stack: false
    .vgpr_count:     18
    .vgpr_spill_count: 0
    .wavefront_size: 32
    .workgroup_processor_mode: 1
  - .args:
      - .offset:         0
        .size:           4
        .value_kind:     by_value
      - .offset:         8
        .size:           16
        .value_kind:     by_value
    .group_segment_fixed_size: 0
    .kernarg_segment_align: 8
    .kernarg_segment_size: 24
    .language:       OpenCL C
    .language_version:
      - 2
      - 0
    .max_flat_workgroup_size: 128
    .name:           _ZN2at6native32elementwise_kernel_manual_unrollILi128ELi4EZNS0_15gpu_kernel_implINS0_11FillFunctorIN3c1015Float8_e4m3fnuzEEEEEvRNS_18TensorIteratorBaseERKT_EUlibE_EEviT1_
    .private_segment_fixed_size: 0
    .sgpr_count:     23
    .sgpr_spill_count: 0
    .symbol:         _ZN2at6native32elementwise_kernel_manual_unrollILi128ELi4EZNS0_15gpu_kernel_implINS0_11FillFunctorIN3c1015Float8_e4m3fnuzEEEEEvRNS_18TensorIteratorBaseERKT_EUlibE_EEviT1_.kd
    .uniform_work_group_size: 1
    .uses_dynamic_stack: false
    .vgpr_count:     18
    .vgpr_spill_count: 0
    .wavefront_size: 32
    .workgroup_processor_mode: 1
  - .args:
      - .offset:         0
        .size:           4
        .value_kind:     by_value
      - .offset:         8
        .size:           280
        .value_kind:     by_value
    .group_segment_fixed_size: 0
    .kernarg_segment_align: 8
    .kernarg_segment_size: 288
    .language:       OpenCL C
    .language_version:
      - 2
      - 0
    .max_flat_workgroup_size: 128
    .name:           _ZN2at6native32elementwise_kernel_manual_unrollILi128ELi4EZNS0_15gpu_kernel_implINS0_11FillFunctorIN3c1015Float8_e4m3fnuzEEEEEvRNS_18TensorIteratorBaseERKT_EUlibE0_EEviT1_
    .private_segment_fixed_size: 0
    .sgpr_count:     62
    .sgpr_spill_count: 0
    .symbol:         _ZN2at6native32elementwise_kernel_manual_unrollILi128ELi4EZNS0_15gpu_kernel_implINS0_11FillFunctorIN3c1015Float8_e4m3fnuzEEEEEvRNS_18TensorIteratorBaseERKT_EUlibE0_EEviT1_.kd
    .uniform_work_group_size: 1
    .uses_dynamic_stack: false
    .vgpr_count:     21
    .vgpr_spill_count: 0
    .wavefront_size: 32
    .workgroup_processor_mode: 1
  - .args:
      - .offset:         0
        .size:           4
        .value_kind:     by_value
      - .offset:         4
        .size:           1
        .value_kind:     by_value
      - .address_space:  global
        .offset:         8
        .size:           8
        .value_kind:     global_buffer
    .group_segment_fixed_size: 0
    .kernarg_segment_align: 8
    .kernarg_segment_size: 16
    .language:       OpenCL C
    .language_version:
      - 2
      - 0
    .max_flat_workgroup_size: 256
    .name:           _ZN2at6native29vectorized_elementwise_kernelILi16ENS0_11FillFunctorIN3c1014Float8_e8m0fnuEEESt5arrayIPcLm1EEEEviT0_T1_
    .private_segment_fixed_size: 0
    .sgpr_count:     18
    .sgpr_spill_count: 0
    .symbol:         _ZN2at6native29vectorized_elementwise_kernelILi16ENS0_11FillFunctorIN3c1014Float8_e8m0fnuEEESt5arrayIPcLm1EEEEviT0_T1_.kd
    .uniform_work_group_size: 1
    .uses_dynamic_stack: false
    .vgpr_count:     9
    .vgpr_spill_count: 0
    .wavefront_size: 32
    .workgroup_processor_mode: 1
  - .args:
      - .offset:         0
        .size:           4
        .value_kind:     by_value
      - .offset:         4
        .size:           1
        .value_kind:     by_value
      - .address_space:  global
        .offset:         8
        .size:           8
        .value_kind:     global_buffer
    .group_segment_fixed_size: 0
    .kernarg_segment_align: 8
    .kernarg_segment_size: 16
    .language:       OpenCL C
    .language_version:
      - 2
      - 0
    .max_flat_workgroup_size: 256
    .name:           _ZN2at6native29vectorized_elementwise_kernelILi8ENS0_11FillFunctorIN3c1014Float8_e8m0fnuEEESt5arrayIPcLm1EEEEviT0_T1_
    .private_segment_fixed_size: 0
    .sgpr_count:     18
    .sgpr_spill_count: 0
    .symbol:         _ZN2at6native29vectorized_elementwise_kernelILi8ENS0_11FillFunctorIN3c1014Float8_e8m0fnuEEESt5arrayIPcLm1EEEEviT0_T1_.kd
    .uniform_work_group_size: 1
    .uses_dynamic_stack: false
    .vgpr_count:     4
    .vgpr_spill_count: 0
    .wavefront_size: 32
    .workgroup_processor_mode: 1
  - .args:
      - .offset:         0
        .size:           4
        .value_kind:     by_value
      - .offset:         4
        .size:           1
        .value_kind:     by_value
      - .address_space:  global
        .offset:         8
        .size:           8
        .value_kind:     global_buffer
    .group_segment_fixed_size: 0
    .kernarg_segment_align: 8
    .kernarg_segment_size: 16
    .language:       OpenCL C
    .language_version:
      - 2
      - 0
    .max_flat_workgroup_size: 256
    .name:           _ZN2at6native29vectorized_elementwise_kernelILi4ENS0_11FillFunctorIN3c1014Float8_e8m0fnuEEESt5arrayIPcLm1EEEEviT0_T1_
    .private_segment_fixed_size: 0
    .sgpr_count:     18
    .sgpr_spill_count: 0
    .symbol:         _ZN2at6native29vectorized_elementwise_kernelILi4ENS0_11FillFunctorIN3c1014Float8_e8m0fnuEEESt5arrayIPcLm1EEEEviT0_T1_.kd
    .uniform_work_group_size: 1
    .uses_dynamic_stack: false
    .vgpr_count:     4
    .vgpr_spill_count: 0
    .wavefront_size: 32
    .workgroup_processor_mode: 1
  - .args:
      - .offset:         0
        .size:           4
        .value_kind:     by_value
      - .offset:         4
        .size:           1
        .value_kind:     by_value
      - .address_space:  global
        .offset:         8
        .size:           8
        .value_kind:     global_buffer
    .group_segment_fixed_size: 0
    .kernarg_segment_align: 8
    .kernarg_segment_size: 16
    .language:       OpenCL C
    .language_version:
      - 2
      - 0
    .max_flat_workgroup_size: 256
    .name:           _ZN2at6native29vectorized_elementwise_kernelILi2ENS0_11FillFunctorIN3c1014Float8_e8m0fnuEEESt5arrayIPcLm1EEEEviT0_T1_
    .private_segment_fixed_size: 0
    .sgpr_count:     18
    .sgpr_spill_count: 0
    .symbol:         _ZN2at6native29vectorized_elementwise_kernelILi2ENS0_11FillFunctorIN3c1014Float8_e8m0fnuEEESt5arrayIPcLm1EEEEviT0_T1_.kd
    .uniform_work_group_size: 1
    .uses_dynamic_stack: false
    .vgpr_count:     4
    .vgpr_spill_count: 0
    .wavefront_size: 32
    .workgroup_processor_mode: 1
  - .args:
      - .offset:         0
        .size:           4
        .value_kind:     by_value
      - .offset:         4
        .size:           1
        .value_kind:     by_value
      - .address_space:  global
        .offset:         8
        .size:           8
        .value_kind:     global_buffer
      - .offset:         16
        .size:           1
        .value_kind:     by_value
      - .offset:         17
        .size:           1
        .value_kind:     by_value
      - .offset:         18
        .size:           1
        .value_kind:     by_value
      - .offset:         19
        .size:           1
        .value_kind:     by_value
    .group_segment_fixed_size: 0
    .kernarg_segment_align: 8
    .kernarg_segment_size: 20
    .language:       OpenCL C
    .language_version:
      - 2
      - 0
    .max_flat_workgroup_size: 256
    .name:           _ZN2at6native27unrolled_elementwise_kernelINS0_11FillFunctorIN3c1014Float8_e8m0fnuEEESt5arrayIPcLm1EELi4E23TrivialOffsetCalculatorILi0EjES9_ILi1EjENS0_6memory15LoadWithoutCastENSC_16StoreWithoutCastEEEviT_T0_T2_T3_T4_T5_
    .private_segment_fixed_size: 0
    .sgpr_count:     18
    .sgpr_spill_count: 0
    .symbol:         _ZN2at6native27unrolled_elementwise_kernelINS0_11FillFunctorIN3c1014Float8_e8m0fnuEEESt5arrayIPcLm1EELi4E23TrivialOffsetCalculatorILi0EjES9_ILi1EjENS0_6memory15LoadWithoutCastENSC_16StoreWithoutCastEEEviT_T0_T2_T3_T4_T5_.kd
    .uniform_work_group_size: 1
    .uses_dynamic_stack: false
    .vgpr_count:     4
    .vgpr_spill_count: 0
    .wavefront_size: 32
    .workgroup_processor_mode: 1
  - .args:
      - .offset:         0
        .size:           4
        .value_kind:     by_value
      - .offset:         8
        .size:           280
        .value_kind:     by_value
    .group_segment_fixed_size: 0
    .kernarg_segment_align: 8
    .kernarg_segment_size: 288
    .language:       OpenCL C
    .language_version:
      - 2
      - 0
    .max_flat_workgroup_size: 128
    .name:           _ZN2at6native32elementwise_kernel_manual_unrollILi128ELi8EZNS0_22gpu_kernel_impl_nocastINS0_11FillFunctorIN3c1014Float8_e8m0fnuEEEEEvRNS_18TensorIteratorBaseERKT_EUlibE_EEviT1_
    .private_segment_fixed_size: 0
    .sgpr_count:     54
    .sgpr_spill_count: 0
    .symbol:         _ZN2at6native32elementwise_kernel_manual_unrollILi128ELi8EZNS0_22gpu_kernel_impl_nocastINS0_11FillFunctorIN3c1014Float8_e8m0fnuEEEEEvRNS_18TensorIteratorBaseERKT_EUlibE_EEviT1_.kd
    .uniform_work_group_size: 1
    .uses_dynamic_stack: false
    .vgpr_count:     18
    .vgpr_spill_count: 0
    .wavefront_size: 32
    .workgroup_processor_mode: 1
  - .args:
      - .offset:         0
        .size:           4
        .value_kind:     by_value
      - .offset:         8
        .size:           16
        .value_kind:     by_value
    .group_segment_fixed_size: 0
    .kernarg_segment_align: 8
    .kernarg_segment_size: 24
    .language:       OpenCL C
    .language_version:
      - 2
      - 0
    .max_flat_workgroup_size: 128
    .name:           _ZN2at6native32elementwise_kernel_manual_unrollILi128ELi4EZNS0_15gpu_kernel_implINS0_11FillFunctorIN3c1014Float8_e8m0fnuEEEEEvRNS_18TensorIteratorBaseERKT_EUlibE_EEviT1_
    .private_segment_fixed_size: 0
    .sgpr_count:     33
    .sgpr_spill_count: 0
    .symbol:         _ZN2at6native32elementwise_kernel_manual_unrollILi128ELi4EZNS0_15gpu_kernel_implINS0_11FillFunctorIN3c1014Float8_e8m0fnuEEEEEvRNS_18TensorIteratorBaseERKT_EUlibE_EEviT1_.kd
    .uniform_work_group_size: 1
    .uses_dynamic_stack: false
    .vgpr_count:     25
    .vgpr_spill_count: 0
    .wavefront_size: 32
    .workgroup_processor_mode: 1
  - .args:
      - .offset:         0
        .size:           4
        .value_kind:     by_value
      - .offset:         8
        .size:           280
        .value_kind:     by_value
    .group_segment_fixed_size: 0
    .kernarg_segment_align: 8
    .kernarg_segment_size: 288
    .language:       OpenCL C
    .language_version:
      - 2
      - 0
    .max_flat_workgroup_size: 128
    .name:           _ZN2at6native32elementwise_kernel_manual_unrollILi128ELi4EZNS0_15gpu_kernel_implINS0_11FillFunctorIN3c1014Float8_e8m0fnuEEEEEvRNS_18TensorIteratorBaseERKT_EUlibE0_EEviT1_
    .private_segment_fixed_size: 0
    .sgpr_count:     70
    .sgpr_spill_count: 0
    .symbol:         _ZN2at6native32elementwise_kernel_manual_unrollILi128ELi4EZNS0_15gpu_kernel_implINS0_11FillFunctorIN3c1014Float8_e8m0fnuEEEEEvRNS_18TensorIteratorBaseERKT_EUlibE0_EEviT1_.kd
    .uniform_work_group_size: 1
    .uses_dynamic_stack: false
    .vgpr_count:     30
    .vgpr_spill_count: 0
    .wavefront_size: 32
    .workgroup_processor_mode: 1
  - .args:
      - .offset:         0
        .size:           4
        .value_kind:     by_value
      - .offset:         4
        .size:           2
        .value_kind:     by_value
      - .address_space:  global
        .offset:         8
        .size:           8
        .value_kind:     global_buffer
    .group_segment_fixed_size: 0
    .kernarg_segment_align: 8
    .kernarg_segment_size: 16
    .language:       OpenCL C
    .language_version:
      - 2
      - 0
    .max_flat_workgroup_size: 256
    .name:           _ZN2at6native29vectorized_elementwise_kernelILi16ENS0_11FillFunctorItEESt5arrayIPcLm1EEEEviT0_T1_
    .private_segment_fixed_size: 0
    .sgpr_count:     18
    .sgpr_spill_count: 0
    .symbol:         _ZN2at6native29vectorized_elementwise_kernelILi16ENS0_11FillFunctorItEESt5arrayIPcLm1EEEEviT0_T1_.kd
    .uniform_work_group_size: 1
    .uses_dynamic_stack: false
    .vgpr_count:     8
    .vgpr_spill_count: 0
    .wavefront_size: 32
    .workgroup_processor_mode: 1
  - .args:
      - .offset:         0
        .size:           4
        .value_kind:     by_value
      - .offset:         4
        .size:           2
        .value_kind:     by_value
      - .address_space:  global
        .offset:         8
        .size:           8
        .value_kind:     global_buffer
    .group_segment_fixed_size: 0
    .kernarg_segment_align: 8
    .kernarg_segment_size: 16
    .language:       OpenCL C
    .language_version:
      - 2
      - 0
    .max_flat_workgroup_size: 256
    .name:           _ZN2at6native29vectorized_elementwise_kernelILi8ENS0_11FillFunctorItEESt5arrayIPcLm1EEEEviT0_T1_
    .private_segment_fixed_size: 0
    .sgpr_count:     18
    .sgpr_spill_count: 0
    .symbol:         _ZN2at6native29vectorized_elementwise_kernelILi8ENS0_11FillFunctorItEESt5arrayIPcLm1EEEEviT0_T1_.kd
    .uniform_work_group_size: 1
    .uses_dynamic_stack: false
    .vgpr_count:     8
    .vgpr_spill_count: 0
    .wavefront_size: 32
    .workgroup_processor_mode: 1
  - .args:
      - .offset:         0
        .size:           4
        .value_kind:     by_value
      - .offset:         4
        .size:           2
        .value_kind:     by_value
      - .address_space:  global
        .offset:         8
        .size:           8
        .value_kind:     global_buffer
    .group_segment_fixed_size: 0
    .kernarg_segment_align: 8
    .kernarg_segment_size: 16
    .language:       OpenCL C
    .language_version:
      - 2
      - 0
    .max_flat_workgroup_size: 256
    .name:           _ZN2at6native29vectorized_elementwise_kernelILi4ENS0_11FillFunctorItEESt5arrayIPcLm1EEEEviT0_T1_
    .private_segment_fixed_size: 0
    .sgpr_count:     18
    .sgpr_spill_count: 0
    .symbol:         _ZN2at6native29vectorized_elementwise_kernelILi4ENS0_11FillFunctorItEESt5arrayIPcLm1EEEEviT0_T1_.kd
    .uniform_work_group_size: 1
    .uses_dynamic_stack: false
    .vgpr_count:     8
    .vgpr_spill_count: 0
    .wavefront_size: 32
    .workgroup_processor_mode: 1
  - .args:
      - .offset:         0
        .size:           4
        .value_kind:     by_value
      - .offset:         4
        .size:           2
        .value_kind:     by_value
      - .address_space:  global
        .offset:         8
        .size:           8
        .value_kind:     global_buffer
    .group_segment_fixed_size: 0
    .kernarg_segment_align: 8
    .kernarg_segment_size: 16
    .language:       OpenCL C
    .language_version:
      - 2
      - 0
    .max_flat_workgroup_size: 256
    .name:           _ZN2at6native29vectorized_elementwise_kernelILi2ENS0_11FillFunctorItEESt5arrayIPcLm1EEEEviT0_T1_
    .private_segment_fixed_size: 0
    .sgpr_count:     18
    .sgpr_spill_count: 0
    .symbol:         _ZN2at6native29vectorized_elementwise_kernelILi2ENS0_11FillFunctorItEESt5arrayIPcLm1EEEEviT0_T1_.kd
    .uniform_work_group_size: 1
    .uses_dynamic_stack: false
    .vgpr_count:     8
    .vgpr_spill_count: 0
    .wavefront_size: 32
    .workgroup_processor_mode: 1
  - .args:
      - .offset:         0
        .size:           4
        .value_kind:     by_value
      - .offset:         4
        .size:           2
        .value_kind:     by_value
      - .address_space:  global
        .offset:         8
        .size:           8
        .value_kind:     global_buffer
      - .offset:         16
        .size:           1
        .value_kind:     by_value
      - .offset:         17
        .size:           1
        .value_kind:     by_value
      - .offset:         18
        .size:           1
        .value_kind:     by_value
      - .offset:         19
        .size:           1
        .value_kind:     by_value
    .group_segment_fixed_size: 0
    .kernarg_segment_align: 8
    .kernarg_segment_size: 20
    .language:       OpenCL C
    .language_version:
      - 2
      - 0
    .max_flat_workgroup_size: 256
    .name:           _ZN2at6native27unrolled_elementwise_kernelINS0_11FillFunctorItEESt5arrayIPcLm1EELi4E23TrivialOffsetCalculatorILi0EjES7_ILi1EjENS0_6memory15LoadWithoutCastENSA_16StoreWithoutCastEEEviT_T0_T2_T3_T4_T5_
    .private_segment_fixed_size: 0
    .sgpr_count:     18
    .sgpr_spill_count: 0
    .symbol:         _ZN2at6native27unrolled_elementwise_kernelINS0_11FillFunctorItEESt5arrayIPcLm1EELi4E23TrivialOffsetCalculatorILi0EjES7_ILi1EjENS0_6memory15LoadWithoutCastENSA_16StoreWithoutCastEEEviT_T0_T2_T3_T4_T5_.kd
    .uniform_work_group_size: 1
    .uses_dynamic_stack: false
    .vgpr_count:     6
    .vgpr_spill_count: 0
    .wavefront_size: 32
    .workgroup_processor_mode: 1
  - .args:
      - .offset:         0
        .size:           4
        .value_kind:     by_value
      - .offset:         8
        .size:           280
        .value_kind:     by_value
    .group_segment_fixed_size: 0
    .kernarg_segment_align: 8
    .kernarg_segment_size: 288
    .language:       OpenCL C
    .language_version:
      - 2
      - 0
    .max_flat_workgroup_size: 128
    .name:           _ZN2at6native32elementwise_kernel_manual_unrollILi128ELi8EZNS0_22gpu_kernel_impl_nocastINS0_11FillFunctorItEEEEvRNS_18TensorIteratorBaseERKT_EUlibE_EEviT1_
    .private_segment_fixed_size: 0
    .sgpr_count:     54
    .sgpr_spill_count: 0
    .symbol:         _ZN2at6native32elementwise_kernel_manual_unrollILi128ELi8EZNS0_22gpu_kernel_impl_nocastINS0_11FillFunctorItEEEEvRNS_18TensorIteratorBaseERKT_EUlibE_EEviT1_.kd
    .uniform_work_group_size: 1
    .uses_dynamic_stack: false
    .vgpr_count:     18
    .vgpr_spill_count: 0
    .wavefront_size: 32
    .workgroup_processor_mode: 1
  - .args:
      - .offset:         0
        .size:           4
        .value_kind:     by_value
      - .offset:         8
        .size:           16
        .value_kind:     by_value
    .group_segment_fixed_size: 0
    .kernarg_segment_align: 8
    .kernarg_segment_size: 24
    .language:       OpenCL C
    .language_version:
      - 2
      - 0
    .max_flat_workgroup_size: 128
    .name:           _ZN2at6native32elementwise_kernel_manual_unrollILi128ELi4EZNS0_15gpu_kernel_implINS0_11FillFunctorItEEEEvRNS_18TensorIteratorBaseERKT_EUlibE_EEviT1_
    .private_segment_fixed_size: 0
    .sgpr_count:     32
    .sgpr_spill_count: 0
    .symbol:         _ZN2at6native32elementwise_kernel_manual_unrollILi128ELi4EZNS0_15gpu_kernel_implINS0_11FillFunctorItEEEEvRNS_18TensorIteratorBaseERKT_EUlibE_EEviT1_.kd
    .uniform_work_group_size: 1
    .uses_dynamic_stack: false
    .vgpr_count:     25
    .vgpr_spill_count: 0
    .wavefront_size: 32
    .workgroup_processor_mode: 1
  - .args:
      - .offset:         0
        .size:           4
        .value_kind:     by_value
      - .offset:         8
        .size:           280
        .value_kind:     by_value
    .group_segment_fixed_size: 0
    .kernarg_segment_align: 8
    .kernarg_segment_size: 288
    .language:       OpenCL C
    .language_version:
      - 2
      - 0
    .max_flat_workgroup_size: 128
    .name:           _ZN2at6native32elementwise_kernel_manual_unrollILi128ELi4EZNS0_15gpu_kernel_implINS0_11FillFunctorItEEEEvRNS_18TensorIteratorBaseERKT_EUlibE0_EEviT1_
    .private_segment_fixed_size: 0
    .sgpr_count:     74
    .sgpr_spill_count: 0
    .symbol:         _ZN2at6native32elementwise_kernel_manual_unrollILi128ELi4EZNS0_15gpu_kernel_implINS0_11FillFunctorItEEEEvRNS_18TensorIteratorBaseERKT_EUlibE0_EEviT1_.kd
    .uniform_work_group_size: 1
    .uses_dynamic_stack: false
    .vgpr_count:     28
    .vgpr_spill_count: 0
    .wavefront_size: 32
    .workgroup_processor_mode: 1
  - .args:
      - .offset:         0
        .size:           4
        .value_kind:     by_value
      - .offset:         4
        .size:           4
        .value_kind:     by_value
      - .address_space:  global
        .offset:         8
        .size:           8
        .value_kind:     global_buffer
    .group_segment_fixed_size: 0
    .kernarg_segment_align: 8
    .kernarg_segment_size: 16
    .language:       OpenCL C
    .language_version:
      - 2
      - 0
    .max_flat_workgroup_size: 256
    .name:           _ZN2at6native29vectorized_elementwise_kernelILi16ENS0_11FillFunctorIjEESt5arrayIPcLm1EEEEviT0_T1_
    .private_segment_fixed_size: 0
    .sgpr_count:     18
    .sgpr_spill_count: 0
    .symbol:         _ZN2at6native29vectorized_elementwise_kernelILi16ENS0_11FillFunctorIjEESt5arrayIPcLm1EEEEviT0_T1_.kd
    .uniform_work_group_size: 1
    .uses_dynamic_stack: false
    .vgpr_count:     6
    .vgpr_spill_count: 0
    .wavefront_size: 32
    .workgroup_processor_mode: 1
  - .args:
      - .offset:         0
        .size:           4
        .value_kind:     by_value
      - .offset:         4
        .size:           4
        .value_kind:     by_value
      - .address_space:  global
        .offset:         8
        .size:           8
        .value_kind:     global_buffer
    .group_segment_fixed_size: 0
    .kernarg_segment_align: 8
    .kernarg_segment_size: 16
    .language:       OpenCL C
    .language_version:
      - 2
      - 0
    .max_flat_workgroup_size: 256
    .name:           _ZN2at6native29vectorized_elementwise_kernelILi8ENS0_11FillFunctorIjEESt5arrayIPcLm1EEEEviT0_T1_
    .private_segment_fixed_size: 0
    .sgpr_count:     18
    .sgpr_spill_count: 0
    .symbol:         _ZN2at6native29vectorized_elementwise_kernelILi8ENS0_11FillFunctorIjEESt5arrayIPcLm1EEEEviT0_T1_.kd
    .uniform_work_group_size: 1
    .uses_dynamic_stack: false
    .vgpr_count:     6
    .vgpr_spill_count: 0
    .wavefront_size: 32
    .workgroup_processor_mode: 1
  - .args:
      - .offset:         0
        .size:           4
        .value_kind:     by_value
      - .offset:         4
        .size:           4
        .value_kind:     by_value
      - .address_space:  global
        .offset:         8
        .size:           8
        .value_kind:     global_buffer
    .group_segment_fixed_size: 0
    .kernarg_segment_align: 8
    .kernarg_segment_size: 16
    .language:       OpenCL C
    .language_version:
      - 2
      - 0
    .max_flat_workgroup_size: 256
    .name:           _ZN2at6native29vectorized_elementwise_kernelILi4ENS0_11FillFunctorIjEESt5arrayIPcLm1EEEEviT0_T1_
    .private_segment_fixed_size: 0
    .sgpr_count:     18
    .sgpr_spill_count: 0
    .symbol:         _ZN2at6native29vectorized_elementwise_kernelILi4ENS0_11FillFunctorIjEESt5arrayIPcLm1EEEEviT0_T1_.kd
    .uniform_work_group_size: 1
    .uses_dynamic_stack: false
    .vgpr_count:     6
    .vgpr_spill_count: 0
    .wavefront_size: 32
    .workgroup_processor_mode: 1
  - .args:
      - .offset:         0
        .size:           4
        .value_kind:     by_value
      - .offset:         4
        .size:           4
        .value_kind:     by_value
      - .address_space:  global
        .offset:         8
        .size:           8
        .value_kind:     global_buffer
    .group_segment_fixed_size: 0
    .kernarg_segment_align: 8
    .kernarg_segment_size: 16
    .language:       OpenCL C
    .language_version:
      - 2
      - 0
    .max_flat_workgroup_size: 256
    .name:           _ZN2at6native29vectorized_elementwise_kernelILi2ENS0_11FillFunctorIjEESt5arrayIPcLm1EEEEviT0_T1_
    .private_segment_fixed_size: 0
    .sgpr_count:     18
    .sgpr_spill_count: 0
    .symbol:         _ZN2at6native29vectorized_elementwise_kernelILi2ENS0_11FillFunctorIjEESt5arrayIPcLm1EEEEviT0_T1_.kd
    .uniform_work_group_size: 1
    .uses_dynamic_stack: false
    .vgpr_count:     4
    .vgpr_spill_count: 0
    .wavefront_size: 32
    .workgroup_processor_mode: 1
  - .args:
      - .offset:         0
        .size:           4
        .value_kind:     by_value
      - .offset:         4
        .size:           4
        .value_kind:     by_value
      - .address_space:  global
        .offset:         8
        .size:           8
        .value_kind:     global_buffer
      - .offset:         16
        .size:           1
        .value_kind:     by_value
      - .offset:         17
        .size:           1
        .value_kind:     by_value
      - .offset:         18
        .size:           1
        .value_kind:     by_value
      - .offset:         19
        .size:           1
        .value_kind:     by_value
    .group_segment_fixed_size: 0
    .kernarg_segment_align: 8
    .kernarg_segment_size: 20
    .language:       OpenCL C
    .language_version:
      - 2
      - 0
    .max_flat_workgroup_size: 256
    .name:           _ZN2at6native27unrolled_elementwise_kernelINS0_11FillFunctorIjEESt5arrayIPcLm1EELi4E23TrivialOffsetCalculatorILi0EjES7_ILi1EjENS0_6memory15LoadWithoutCastENSA_16StoreWithoutCastEEEviT_T0_T2_T3_T4_T5_
    .private_segment_fixed_size: 0
    .sgpr_count:     18
    .sgpr_spill_count: 0
    .symbol:         _ZN2at6native27unrolled_elementwise_kernelINS0_11FillFunctorIjEESt5arrayIPcLm1EELi4E23TrivialOffsetCalculatorILi0EjES7_ILi1EjENS0_6memory15LoadWithoutCastENSA_16StoreWithoutCastEEEviT_T0_T2_T3_T4_T5_.kd
    .uniform_work_group_size: 1
    .uses_dynamic_stack: false
    .vgpr_count:     4
    .vgpr_spill_count: 0
    .wavefront_size: 32
    .workgroup_processor_mode: 1
  - .args:
      - .offset:         0
        .size:           4
        .value_kind:     by_value
      - .offset:         8
        .size:           280
        .value_kind:     by_value
    .group_segment_fixed_size: 0
    .kernarg_segment_align: 8
    .kernarg_segment_size: 288
    .language:       OpenCL C
    .language_version:
      - 2
      - 0
    .max_flat_workgroup_size: 128
    .name:           _ZN2at6native32elementwise_kernel_manual_unrollILi128ELi4EZNS0_22gpu_kernel_impl_nocastINS0_11FillFunctorIjEEEEvRNS_18TensorIteratorBaseERKT_EUlibE_EEviT1_
    .private_segment_fixed_size: 0
    .sgpr_count:     54
    .sgpr_spill_count: 0
    .symbol:         _ZN2at6native32elementwise_kernel_manual_unrollILi128ELi4EZNS0_22gpu_kernel_impl_nocastINS0_11FillFunctorIjEEEEvRNS_18TensorIteratorBaseERKT_EUlibE_EEviT1_.kd
    .uniform_work_group_size: 1
    .uses_dynamic_stack: false
    .vgpr_count:     14
    .vgpr_spill_count: 0
    .wavefront_size: 32
    .workgroup_processor_mode: 1
  - .args:
      - .offset:         0
        .size:           4
        .value_kind:     by_value
      - .offset:         8
        .size:           24
        .value_kind:     by_value
    .group_segment_fixed_size: 0
    .kernarg_segment_align: 8
    .kernarg_segment_size: 32
    .language:       OpenCL C
    .language_version:
      - 2
      - 0
    .max_flat_workgroup_size: 128
    .name:           _ZN2at6native32elementwise_kernel_manual_unrollILi128ELi4EZNS0_15gpu_kernel_implINS0_11FillFunctorIjEEEEvRNS_18TensorIteratorBaseERKT_EUlibE_EEviT1_
    .private_segment_fixed_size: 0
    .sgpr_count:     32
    .sgpr_spill_count: 0
    .symbol:         _ZN2at6native32elementwise_kernel_manual_unrollILi128ELi4EZNS0_15gpu_kernel_implINS0_11FillFunctorIjEEEEvRNS_18TensorIteratorBaseERKT_EUlibE_EEviT1_.kd
    .uniform_work_group_size: 1
    .uses_dynamic_stack: false
    .vgpr_count:     25
    .vgpr_spill_count: 0
    .wavefront_size: 32
    .workgroup_processor_mode: 1
  - .args:
      - .offset:         0
        .size:           4
        .value_kind:     by_value
      - .offset:         8
        .size:           280
        .value_kind:     by_value
    .group_segment_fixed_size: 0
    .kernarg_segment_align: 8
    .kernarg_segment_size: 288
    .language:       OpenCL C
    .language_version:
      - 2
      - 0
    .max_flat_workgroup_size: 128
    .name:           _ZN2at6native32elementwise_kernel_manual_unrollILi128ELi4EZNS0_15gpu_kernel_implINS0_11FillFunctorIjEEEEvRNS_18TensorIteratorBaseERKT_EUlibE0_EEviT1_
    .private_segment_fixed_size: 0
    .sgpr_count:     70
    .sgpr_spill_count: 0
    .symbol:         _ZN2at6native32elementwise_kernel_manual_unrollILi128ELi4EZNS0_15gpu_kernel_implINS0_11FillFunctorIjEEEEvRNS_18TensorIteratorBaseERKT_EUlibE0_EEviT1_.kd
    .uniform_work_group_size: 1
    .uses_dynamic_stack: false
    .vgpr_count:     28
    .vgpr_spill_count: 0
    .wavefront_size: 32
    .workgroup_processor_mode: 1
  - .args:
      - .offset:         0
        .size:           4
        .value_kind:     by_value
      - .offset:         8
        .size:           8
        .value_kind:     by_value
      - .address_space:  global
        .offset:         16
        .size:           8
        .value_kind:     global_buffer
    .group_segment_fixed_size: 0
    .kernarg_segment_align: 8
    .kernarg_segment_size: 24
    .language:       OpenCL C
    .language_version:
      - 2
      - 0
    .max_flat_workgroup_size: 256
    .name:           _ZN2at6native29vectorized_elementwise_kernelILi16ENS0_11FillFunctorImEESt5arrayIPcLm1EEEEviT0_T1_
    .private_segment_fixed_size: 0
    .sgpr_count:     18
    .sgpr_spill_count: 0
    .symbol:         _ZN2at6native29vectorized_elementwise_kernelILi16ENS0_11FillFunctorImEESt5arrayIPcLm1EEEEviT0_T1_.kd
    .uniform_work_group_size: 1
    .uses_dynamic_stack: false
    .vgpr_count:     6
    .vgpr_spill_count: 0
    .wavefront_size: 32
    .workgroup_processor_mode: 1
  - .args:
      - .offset:         0
        .size:           4
        .value_kind:     by_value
      - .offset:         8
        .size:           8
        .value_kind:     by_value
      - .address_space:  global
        .offset:         16
        .size:           8
        .value_kind:     global_buffer
    .group_segment_fixed_size: 0
    .kernarg_segment_align: 8
    .kernarg_segment_size: 24
    .language:       OpenCL C
    .language_version:
      - 2
      - 0
    .max_flat_workgroup_size: 256
    .name:           _ZN2at6native29vectorized_elementwise_kernelILi8ENS0_11FillFunctorImEESt5arrayIPcLm1EEEEviT0_T1_
    .private_segment_fixed_size: 0
    .sgpr_count:     18
    .sgpr_spill_count: 0
    .symbol:         _ZN2at6native29vectorized_elementwise_kernelILi8ENS0_11FillFunctorImEESt5arrayIPcLm1EEEEviT0_T1_.kd
    .uniform_work_group_size: 1
    .uses_dynamic_stack: false
    .vgpr_count:     6
    .vgpr_spill_count: 0
    .wavefront_size: 32
    .workgroup_processor_mode: 1
  - .args:
      - .offset:         0
        .size:           4
        .value_kind:     by_value
      - .offset:         8
        .size:           8
        .value_kind:     by_value
      - .address_space:  global
        .offset:         16
        .size:           8
        .value_kind:     global_buffer
    .group_segment_fixed_size: 0
    .kernarg_segment_align: 8
    .kernarg_segment_size: 24
    .language:       OpenCL C
    .language_version:
      - 2
      - 0
    .max_flat_workgroup_size: 256
    .name:           _ZN2at6native29vectorized_elementwise_kernelILi4ENS0_11FillFunctorImEESt5arrayIPcLm1EEEEviT0_T1_
    .private_segment_fixed_size: 0
    .sgpr_count:     18
    .sgpr_spill_count: 0
    .symbol:         _ZN2at6native29vectorized_elementwise_kernelILi4ENS0_11FillFunctorImEESt5arrayIPcLm1EEEEviT0_T1_.kd
    .uniform_work_group_size: 1
    .uses_dynamic_stack: false
    .vgpr_count:     6
    .vgpr_spill_count: 0
    .wavefront_size: 32
    .workgroup_processor_mode: 1
  - .args:
      - .offset:         0
        .size:           4
        .value_kind:     by_value
      - .offset:         8
        .size:           8
        .value_kind:     by_value
      - .address_space:  global
        .offset:         16
        .size:           8
        .value_kind:     global_buffer
    .group_segment_fixed_size: 0
    .kernarg_segment_align: 8
    .kernarg_segment_size: 24
    .language:       OpenCL C
    .language_version:
      - 2
      - 0
    .max_flat_workgroup_size: 256
    .name:           _ZN2at6native29vectorized_elementwise_kernelILi2ENS0_11FillFunctorImEESt5arrayIPcLm1EEEEviT0_T1_
    .private_segment_fixed_size: 0
    .sgpr_count:     18
    .sgpr_spill_count: 0
    .symbol:         _ZN2at6native29vectorized_elementwise_kernelILi2ENS0_11FillFunctorImEESt5arrayIPcLm1EEEEviT0_T1_.kd
    .uniform_work_group_size: 1
    .uses_dynamic_stack: false
    .vgpr_count:     8
    .vgpr_spill_count: 0
    .wavefront_size: 32
    .workgroup_processor_mode: 1
  - .args:
      - .offset:         0
        .size:           4
        .value_kind:     by_value
      - .offset:         8
        .size:           8
        .value_kind:     by_value
      - .address_space:  global
        .offset:         16
        .size:           8
        .value_kind:     global_buffer
      - .offset:         24
        .size:           1
        .value_kind:     by_value
      - .offset:         25
        .size:           1
        .value_kind:     by_value
      - .offset:         26
        .size:           1
        .value_kind:     by_value
      - .offset:         27
        .size:           1
        .value_kind:     by_value
    .group_segment_fixed_size: 0
    .kernarg_segment_align: 8
    .kernarg_segment_size: 28
    .language:       OpenCL C
    .language_version:
      - 2
      - 0
    .max_flat_workgroup_size: 256
    .name:           _ZN2at6native27unrolled_elementwise_kernelINS0_11FillFunctorImEESt5arrayIPcLm1EELi4E23TrivialOffsetCalculatorILi0EjES7_ILi1EjENS0_6memory15LoadWithoutCastENSA_16StoreWithoutCastEEEviT_T0_T2_T3_T4_T5_
    .private_segment_fixed_size: 0
    .sgpr_count:     18
    .sgpr_spill_count: 0
    .symbol:         _ZN2at6native27unrolled_elementwise_kernelINS0_11FillFunctorImEESt5arrayIPcLm1EELi4E23TrivialOffsetCalculatorILi0EjES7_ILi1EjENS0_6memory15LoadWithoutCastENSA_16StoreWithoutCastEEEviT_T0_T2_T3_T4_T5_.kd
    .uniform_work_group_size: 1
    .uses_dynamic_stack: false
    .vgpr_count:     9
    .vgpr_spill_count: 0
    .wavefront_size: 32
    .workgroup_processor_mode: 1
  - .args:
      - .offset:         0
        .size:           4
        .value_kind:     by_value
      - .offset:         8
        .size:           280
        .value_kind:     by_value
    .group_segment_fixed_size: 0
    .kernarg_segment_align: 8
    .kernarg_segment_size: 288
    .language:       OpenCL C
    .language_version:
      - 2
      - 0
    .max_flat_workgroup_size: 128
    .name:           _ZN2at6native32elementwise_kernel_manual_unrollILi128ELi4EZNS0_22gpu_kernel_impl_nocastINS0_11FillFunctorImEEEEvRNS_18TensorIteratorBaseERKT_EUlibE_EEviT1_
    .private_segment_fixed_size: 0
    .sgpr_count:     54
    .sgpr_spill_count: 0
    .symbol:         _ZN2at6native32elementwise_kernel_manual_unrollILi128ELi4EZNS0_22gpu_kernel_impl_nocastINS0_11FillFunctorImEEEEvRNS_18TensorIteratorBaseERKT_EUlibE_EEviT1_.kd
    .uniform_work_group_size: 1
    .uses_dynamic_stack: false
    .vgpr_count:     14
    .vgpr_spill_count: 0
    .wavefront_size: 32
    .workgroup_processor_mode: 1
  - .args:
      - .offset:         0
        .size:           4
        .value_kind:     by_value
      - .offset:         8
        .size:           32
        .value_kind:     by_value
    .group_segment_fixed_size: 0
    .kernarg_segment_align: 8
    .kernarg_segment_size: 40
    .language:       OpenCL C
    .language_version:
      - 2
      - 0
    .max_flat_workgroup_size: 128
    .name:           _ZN2at6native32elementwise_kernel_manual_unrollILi128ELi4EZNS0_15gpu_kernel_implINS0_11FillFunctorImEEEEvRNS_18TensorIteratorBaseERKT_EUlibE_EEviT1_
    .private_segment_fixed_size: 0
    .sgpr_count:     31
    .sgpr_spill_count: 0
    .symbol:         _ZN2at6native32elementwise_kernel_manual_unrollILi128ELi4EZNS0_15gpu_kernel_implINS0_11FillFunctorImEEEEvRNS_18TensorIteratorBaseERKT_EUlibE_EEviT1_.kd
    .uniform_work_group_size: 1
    .uses_dynamic_stack: false
    .vgpr_count:     25
    .vgpr_spill_count: 0
    .wavefront_size: 32
    .workgroup_processor_mode: 1
  - .args:
      - .offset:         0
        .size:           4
        .value_kind:     by_value
      - .offset:         8
        .size:           288
        .value_kind:     by_value
    .group_segment_fixed_size: 0
    .kernarg_segment_align: 8
    .kernarg_segment_size: 296
    .language:       OpenCL C
    .language_version:
      - 2
      - 0
    .max_flat_workgroup_size: 128
    .name:           _ZN2at6native32elementwise_kernel_manual_unrollILi128ELi4EZNS0_15gpu_kernel_implINS0_11FillFunctorImEEEEvRNS_18TensorIteratorBaseERKT_EUlibE0_EEviT1_
    .private_segment_fixed_size: 0
    .sgpr_count:     70
    .sgpr_spill_count: 0
    .symbol:         _ZN2at6native32elementwise_kernel_manual_unrollILi128ELi4EZNS0_15gpu_kernel_implINS0_11FillFunctorImEEEEvRNS_18TensorIteratorBaseERKT_EUlibE0_EEviT1_.kd
    .uniform_work_group_size: 1
    .uses_dynamic_stack: false
    .vgpr_count:     28
    .vgpr_spill_count: 0
    .wavefront_size: 32
    .workgroup_processor_mode: 1
amdhsa.target:   amdgcn-amd-amdhsa--gfx1100
amdhsa.version:
  - 1
  - 2
...

	.end_amdgpu_metadata
